;; amdgpu-corpus repo=ROCm/rocSPARSE kind=compiled arch=gfx906 opt=O3
	.amdgcn_target "amdgcn-amd-amdhsa--gfx906"
	.amdhsa_code_object_version 6
	.section	.text._ZN9rocsparseL20bsrxmvn_17_32_kernelILj17EfiifffEEvT2_20rocsparse_direction_NS_24const_host_device_scalarIT0_EES1_PKS1_PKT1_SA_S7_PKT3_PKT4_S5_PT5_21rocsparse_index_base_b,"axG",@progbits,_ZN9rocsparseL20bsrxmvn_17_32_kernelILj17EfiifffEEvT2_20rocsparse_direction_NS_24const_host_device_scalarIT0_EES1_PKS1_PKT1_SA_S7_PKT3_PKT4_S5_PT5_21rocsparse_index_base_b,comdat
	.globl	_ZN9rocsparseL20bsrxmvn_17_32_kernelILj17EfiifffEEvT2_20rocsparse_direction_NS_24const_host_device_scalarIT0_EES1_PKS1_PKT1_SA_S7_PKT3_PKT4_S5_PT5_21rocsparse_index_base_b ; -- Begin function _ZN9rocsparseL20bsrxmvn_17_32_kernelILj17EfiifffEEvT2_20rocsparse_direction_NS_24const_host_device_scalarIT0_EES1_PKS1_PKT1_SA_S7_PKT3_PKT4_S5_PT5_21rocsparse_index_base_b
	.p2align	8
	.type	_ZN9rocsparseL20bsrxmvn_17_32_kernelILj17EfiifffEEvT2_20rocsparse_direction_NS_24const_host_device_scalarIT0_EES1_PKS1_PKT1_SA_S7_PKT3_PKT4_S5_PT5_21rocsparse_index_base_b,@function
_ZN9rocsparseL20bsrxmvn_17_32_kernelILj17EfiifffEEvT2_20rocsparse_direction_NS_24const_host_device_scalarIT0_EES1_PKS1_PKT1_SA_S7_PKT3_PKT4_S5_PT5_21rocsparse_index_base_b: ; @_ZN9rocsparseL20bsrxmvn_17_32_kernelILj17EfiifffEEvT2_20rocsparse_direction_NS_24const_host_device_scalarIT0_EES1_PKS1_PKT1_SA_S7_PKT3_PKT4_S5_PT5_21rocsparse_index_base_b
; %bb.0:
	s_load_dwordx2 s[14:15], s[4:5], 0x58
	s_load_dwordx2 s[10:11], s[4:5], 0x8
	;; [unrolled: 1-line block ×3, first 2 shown]
	s_waitcnt lgkmcnt(0)
	s_bitcmp1_b32 s15, 0
	s_cselect_b64 s[2:3], -1, 0
	s_xor_b64 s[0:1], s[2:3], -1
	s_and_b64 vcc, exec, s[2:3]
	s_cbranch_vccnz .LBB0_2
; %bb.1:
	s_load_dword s10, s[10:11], 0x0
.LBB0_2:
	s_andn2_b64 vcc, exec, s[0:1]
	s_cbranch_vccnz .LBB0_4
; %bb.3:
	s_load_dword s8, s[8:9], 0x0
.LBB0_4:
	s_waitcnt lgkmcnt(0)
	v_cmp_neq_f32_e64 s[0:1], s10, 0
	v_cmp_neq_f32_e64 s[2:3], s8, 1.0
	s_or_b64 s[0:1], s[0:1], s[2:3]
	s_andn2_b64 vcc, exec, s[0:1]
	s_cbranch_vccnz .LBB0_40
; %bb.5:
	s_load_dwordx4 s[0:3], s[4:5], 0x18
	s_load_dwordx2 s[18:19], s[4:5], 0x28
	s_waitcnt lgkmcnt(0)
	s_cmp_eq_u64 s[0:1], 0
	s_cbranch_scc1 .LBB0_7
; %bb.6:
	s_ashr_i32 s7, s6, 31
	s_lshl_b64 s[6:7], s[6:7], 2
	s_add_u32 s0, s0, s6
	s_addc_u32 s1, s1, s7
	s_load_dword s0, s[0:1], 0x0
	s_waitcnt lgkmcnt(0)
	s_sub_i32 s6, s0, s14
.LBB0_7:
	s_load_dword s0, s[4:5], 0x4
	s_load_dwordx2 s[12:13], s[4:5], 0x50
	v_mul_u32_u24_e32 v1, 0xf10, v0
	v_mov_b32_e32 v2, 17
	v_mul_lo_u16_sdwa v2, v1, v2 dst_sel:DWORD dst_unused:UNUSED_PAD src0_sel:WORD_1 src1_sel:DWORD
	s_waitcnt lgkmcnt(0)
	s_cmp_eq_u32 s0, 1
	s_cselect_b64 vcc, -1, 0
	s_cmp_lg_u32 s0, 1
	s_cselect_b64 s[16:17], -1, 0
	s_ashr_i32 s7, s6, 31
	s_lshl_b64 s[0:1], s[6:7], 2
	s_add_u32 s2, s2, s0
	s_addc_u32 s3, s3, s1
	s_load_dword s7, s[2:3], 0x0
	s_add_u32 s2, s2, 4
	s_addc_u32 s3, s3, 0
	s_add_u32 s0, s18, s0
	s_addc_u32 s1, s19, s1
	s_cmp_eq_u64 s[18:19], 0
	s_cselect_b32 s1, s3, s1
	s_cselect_b32 s0, s2, s0
	s_load_dword s9, s[0:1], 0x0
	v_sub_u16_e32 v8, v0, v2
	v_mov_b32_e32 v7, 0
	v_lshlrev_b32_e32 v6, 2, v0
	s_waitcnt lgkmcnt(0)
	s_cmp_ge_i32 s7, s9
	s_cbranch_scc1 .LBB0_12
; %bb.8:
	s_load_dwordx4 s[0:3], s[4:5], 0x30
	s_load_dwordx2 s[18:19], s[4:5], 0x40
	v_mov_b32_e32 v2, 31
	v_mul_lo_u16_sdwa v2, v1, v2 dst_sel:DWORD dst_unused:UNUSED_PAD src0_sel:WORD_1 src1_sel:DWORD
	v_lshrrev_b16_e32 v2, 9, v2
	s_sub_i32 s5, s7, s14
	s_sub_i32 s4, s9, s14
	v_mul_lo_u16_e32 v2, 17, v2
	s_mul_i32 s9, s5, 0x484
	v_sub_u16_sdwa v1, v1, v2 dst_sel:DWORD dst_unused:UNUSED_PAD src0_sel:WORD_1 src1_sel:DWORD
	s_mul_hi_i32 s7, s5, 0x484
	s_waitcnt lgkmcnt(0)
	s_add_u32 s2, s2, s9
	v_and_b32_e32 v1, 0xff, v1
	s_addc_u32 s3, s3, s7
	v_cndmask_b32_e32 v1, v8, v1, vcc
	v_mov_b32_e32 v3, s3
	v_add_co_u32_e32 v2, vcc, s2, v6
	s_movk_i32 s2, 0xe3
	v_mov_b32_e32 v7, 0
	v_addc_co_u32_e32 v3, vcc, 0, v3, vcc
	v_mul_u32_u24_sdwa v9, v0, s2 dst_sel:DWORD dst_unused:UNUSED_PAD src0_sel:WORD_0 src1_sel:DWORD
	s_branch .LBB0_10
.LBB0_9:                                ;   in Loop: Header=BB0_10 Depth=1
	s_or_b64 exec, exec, s[2:3]
	s_add_i32 s5, s5, 1
	s_cmp_lt_i32 s5, s4
	s_cbranch_scc0 .LBB0_12
.LBB0_10:                               ; =>This Inner Loop Header: Depth=1
	v_add_u32_sdwa v4, v9, s5 dst_sel:DWORD dst_unused:UNUSED_PAD src0_sel:WORD_1 src1_sel:DWORD
	v_cmp_gt_i32_e32 vcc, s4, v4
	s_and_saveexec_b64 s[2:3], vcc
	s_cbranch_execz .LBB0_9
; %bb.11:                               ;   in Loop: Header=BB0_10 Depth=1
	v_ashrrev_i32_e32 v5, 31, v4
	v_lshlrev_b64 v[4:5], 2, v[4:5]
	v_mov_b32_e32 v10, s1
	v_add_co_u32_e32 v4, vcc, s0, v4
	v_addc_co_u32_e32 v5, vcc, v10, v5, vcc
	global_load_dword v4, v[4:5], off
	v_mov_b32_e32 v11, s19
	global_load_dword v10, v[2:3], off
	s_waitcnt vmcnt(1)
	v_subrev_u32_e32 v4, s14, v4
	v_mad_u64_u32 v[4:5], s[20:21], v4, 17, v[1:2]
	v_ashrrev_i32_e32 v5, 31, v4
	v_lshlrev_b64 v[4:5], 2, v[4:5]
	v_add_co_u32_e32 v4, vcc, s18, v4
	v_addc_co_u32_e32 v5, vcc, v11, v5, vcc
	global_load_dword v4, v[4:5], off
	v_add_co_u32_e32 v2, vcc, 0x484, v2
	v_addc_co_u32_e32 v3, vcc, 0, v3, vcc
	s_waitcnt vmcnt(0)
	v_fmac_f32_e32 v7, v10, v4
	s_branch .LBB0_9
.LBB0_12:
	s_and_b64 vcc, exec, s[16:17]
	ds_write_b32 v6, v7
	s_waitcnt lgkmcnt(0)
	s_barrier
	s_cbranch_vccz .LBB0_24
; %bb.13:
	v_cmp_eq_u16_e32 vcc, 0, v8
	s_and_saveexec_b64 s[0:1], vcc
	s_cbranch_execz .LBB0_15
; %bb.14:
	ds_read2_b32 v[1:2], v6 offset1:16
	s_waitcnt lgkmcnt(0)
	v_add_f32_e32 v1, v2, v1
	ds_write_b32 v6, v1
.LBB0_15:
	s_or_b64 exec, exec, s[0:1]
	v_cmp_gt_u16_e32 vcc, 8, v8
	s_waitcnt lgkmcnt(0)
	s_barrier
	s_and_saveexec_b64 s[0:1], vcc
	s_cbranch_execz .LBB0_17
; %bb.16:
	ds_read2_b32 v[1:2], v6 offset1:8
	s_waitcnt lgkmcnt(0)
	v_add_f32_e32 v1, v2, v1
	ds_write_b32 v6, v1
.LBB0_17:
	s_or_b64 exec, exec, s[0:1]
	v_cmp_gt_u16_e32 vcc, 4, v8
	s_waitcnt lgkmcnt(0)
	s_barrier
	;; [unrolled: 12-line block ×3, first 2 shown]
	s_and_saveexec_b64 s[0:1], vcc
	s_cbranch_execz .LBB0_21
; %bb.20:
	ds_read2_b32 v[1:2], v6 offset1:2
	s_waitcnt lgkmcnt(0)
	v_add_f32_e32 v1, v2, v1
	ds_write_b32 v6, v1
.LBB0_21:
	s_or_b64 exec, exec, s[0:1]
	v_cmp_gt_u32_e32 vcc, 17, v0
	v_mov_b32_e32 v1, v7
	s_waitcnt lgkmcnt(0)
	s_barrier
	s_and_saveexec_b64 s[0:1], vcc
	s_cbranch_execz .LBB0_23
; %bb.22:
	v_lshl_add_u32 v1, v0, 6, v6
	ds_read2_b32 v[1:2], v1 offset1:1
	s_waitcnt lgkmcnt(0)
	v_add_f32_e32 v1, v1, v2
.LBB0_23:
	s_or_b64 exec, exec, s[0:1]
	v_cmp_gt_u32_e64 s[0:1], 17, v0
	s_branch .LBB0_36
.LBB0_24:
                                        ; implicit-def: $vgpr1
	v_cmp_gt_u32_e64 s[0:1], 17, v0
	s_cbranch_execz .LBB0_36
; %bb.25:
	s_and_saveexec_b64 s[2:3], s[0:1]
	s_cbranch_execz .LBB0_27
; %bb.26:
	ds_read_b32 v1, v6 offset:1088
	ds_read_b32 v2, v6
	s_waitcnt lgkmcnt(0)
	v_add_f32_e32 v1, v1, v2
	ds_write_b32 v6, v1
.LBB0_27:
	s_or_b64 exec, exec, s[2:3]
	s_movk_i32 s2, 0x88
	v_cmp_gt_u32_e32 vcc, s2, v0
	s_waitcnt lgkmcnt(0)
	s_barrier
	s_and_saveexec_b64 s[2:3], vcc
	s_cbranch_execz .LBB0_29
; %bb.28:
	ds_read2_b32 v[1:2], v6 offset1:136
	s_waitcnt lgkmcnt(0)
	v_add_f32_e32 v1, v2, v1
	ds_write_b32 v6, v1
.LBB0_29:
	s_or_b64 exec, exec, s[2:3]
	s_movk_i32 s2, 0x44
	v_cmp_gt_u32_e32 vcc, s2, v0
	s_waitcnt lgkmcnt(0)
	s_barrier
	s_and_saveexec_b64 s[2:3], vcc
	s_cbranch_execz .LBB0_31
; %bb.30:
	ds_read2_b32 v[1:2], v6 offset1:68
	s_waitcnt lgkmcnt(0)
	v_add_f32_e32 v1, v2, v1
	ds_write_b32 v6, v1
.LBB0_31:
	s_or_b64 exec, exec, s[2:3]
	v_cmp_gt_u32_e32 vcc, 34, v0
	s_waitcnt lgkmcnt(0)
	s_barrier
	s_and_saveexec_b64 s[2:3], vcc
	s_cbranch_execz .LBB0_33
; %bb.32:
	ds_read2_b32 v[1:2], v6 offset1:34
	s_waitcnt lgkmcnt(0)
	v_add_f32_e32 v1, v2, v1
	ds_write_b32 v6, v1
.LBB0_33:
	s_or_b64 exec, exec, s[2:3]
	s_waitcnt lgkmcnt(0)
	s_and_saveexec_b64 s[2:3], s[0:1]
	s_cbranch_execz .LBB0_35
; %bb.34:
	ds_read2_b32 v[1:2], v6 offset1:17
	s_waitcnt lgkmcnt(0)
	v_add_f32_e32 v7, v1, v2
.LBB0_35:
	s_or_b64 exec, exec, s[2:3]
	v_mov_b32_e32 v1, v7
.LBB0_36:
	v_cmp_gt_u32_e32 vcc, 17, v0
	s_and_saveexec_b64 s[0:1], vcc
	s_cbranch_execz .LBB0_40
; %bb.37:
	v_cmp_eq_f32_e64 s[0:1], s8, 0
	s_and_b64 vcc, exec, s[0:1]
	v_mul_f32_e32 v1, s10, v1
	s_cbranch_vccz .LBB0_41
; %bb.38:
	v_mad_u64_u32 v[2:3], s[0:1], s6, 17, v[0:1]
	v_mov_b32_e32 v3, 0
	v_mov_b32_e32 v4, s13
	v_lshlrev_b64 v[2:3], 2, v[2:3]
	v_add_co_u32_e32 v2, vcc, s12, v2
	v_addc_co_u32_e32 v3, vcc, v4, v3, vcc
	global_store_dword v[2:3], v1, off
	s_cbranch_execnz .LBB0_40
.LBB0_39:
	v_mad_u64_u32 v[2:3], s[0:1], s6, 17, v[0:1]
	v_mov_b32_e32 v3, 0
	v_mov_b32_e32 v0, s13
	v_lshlrev_b64 v[2:3], 2, v[2:3]
	v_add_co_u32_e32 v2, vcc, s12, v2
	v_addc_co_u32_e32 v3, vcc, v0, v3, vcc
	global_load_dword v0, v[2:3], off
	s_waitcnt vmcnt(0)
	v_fmac_f32_e32 v1, s8, v0
	global_store_dword v[2:3], v1, off
.LBB0_40:
	s_endpgm
.LBB0_41:
	s_branch .LBB0_39
	.section	.rodata,"a",@progbits
	.p2align	6, 0x0
	.amdhsa_kernel _ZN9rocsparseL20bsrxmvn_17_32_kernelILj17EfiifffEEvT2_20rocsparse_direction_NS_24const_host_device_scalarIT0_EES1_PKS1_PKT1_SA_S7_PKT3_PKT4_S5_PT5_21rocsparse_index_base_b
		.amdhsa_group_segment_fixed_size 1156
		.amdhsa_private_segment_fixed_size 0
		.amdhsa_kernarg_size 96
		.amdhsa_user_sgpr_count 6
		.amdhsa_user_sgpr_private_segment_buffer 1
		.amdhsa_user_sgpr_dispatch_ptr 0
		.amdhsa_user_sgpr_queue_ptr 0
		.amdhsa_user_sgpr_kernarg_segment_ptr 1
		.amdhsa_user_sgpr_dispatch_id 0
		.amdhsa_user_sgpr_flat_scratch_init 0
		.amdhsa_user_sgpr_private_segment_size 0
		.amdhsa_uses_dynamic_stack 0
		.amdhsa_system_sgpr_private_segment_wavefront_offset 0
		.amdhsa_system_sgpr_workgroup_id_x 1
		.amdhsa_system_sgpr_workgroup_id_y 0
		.amdhsa_system_sgpr_workgroup_id_z 0
		.amdhsa_system_sgpr_workgroup_info 0
		.amdhsa_system_vgpr_workitem_id 0
		.amdhsa_next_free_vgpr 12
		.amdhsa_next_free_sgpr 22
		.amdhsa_reserve_vcc 1
		.amdhsa_reserve_flat_scratch 0
		.amdhsa_float_round_mode_32 0
		.amdhsa_float_round_mode_16_64 0
		.amdhsa_float_denorm_mode_32 3
		.amdhsa_float_denorm_mode_16_64 3
		.amdhsa_dx10_clamp 1
		.amdhsa_ieee_mode 1
		.amdhsa_fp16_overflow 0
		.amdhsa_exception_fp_ieee_invalid_op 0
		.amdhsa_exception_fp_denorm_src 0
		.amdhsa_exception_fp_ieee_div_zero 0
		.amdhsa_exception_fp_ieee_overflow 0
		.amdhsa_exception_fp_ieee_underflow 0
		.amdhsa_exception_fp_ieee_inexact 0
		.amdhsa_exception_int_div_zero 0
	.end_amdhsa_kernel
	.section	.text._ZN9rocsparseL20bsrxmvn_17_32_kernelILj17EfiifffEEvT2_20rocsparse_direction_NS_24const_host_device_scalarIT0_EES1_PKS1_PKT1_SA_S7_PKT3_PKT4_S5_PT5_21rocsparse_index_base_b,"axG",@progbits,_ZN9rocsparseL20bsrxmvn_17_32_kernelILj17EfiifffEEvT2_20rocsparse_direction_NS_24const_host_device_scalarIT0_EES1_PKS1_PKT1_SA_S7_PKT3_PKT4_S5_PT5_21rocsparse_index_base_b,comdat
.Lfunc_end0:
	.size	_ZN9rocsparseL20bsrxmvn_17_32_kernelILj17EfiifffEEvT2_20rocsparse_direction_NS_24const_host_device_scalarIT0_EES1_PKS1_PKT1_SA_S7_PKT3_PKT4_S5_PT5_21rocsparse_index_base_b, .Lfunc_end0-_ZN9rocsparseL20bsrxmvn_17_32_kernelILj17EfiifffEEvT2_20rocsparse_direction_NS_24const_host_device_scalarIT0_EES1_PKS1_PKT1_SA_S7_PKT3_PKT4_S5_PT5_21rocsparse_index_base_b
                                        ; -- End function
	.set _ZN9rocsparseL20bsrxmvn_17_32_kernelILj17EfiifffEEvT2_20rocsparse_direction_NS_24const_host_device_scalarIT0_EES1_PKS1_PKT1_SA_S7_PKT3_PKT4_S5_PT5_21rocsparse_index_base_b.num_vgpr, 12
	.set _ZN9rocsparseL20bsrxmvn_17_32_kernelILj17EfiifffEEvT2_20rocsparse_direction_NS_24const_host_device_scalarIT0_EES1_PKS1_PKT1_SA_S7_PKT3_PKT4_S5_PT5_21rocsparse_index_base_b.num_agpr, 0
	.set _ZN9rocsparseL20bsrxmvn_17_32_kernelILj17EfiifffEEvT2_20rocsparse_direction_NS_24const_host_device_scalarIT0_EES1_PKS1_PKT1_SA_S7_PKT3_PKT4_S5_PT5_21rocsparse_index_base_b.numbered_sgpr, 22
	.set _ZN9rocsparseL20bsrxmvn_17_32_kernelILj17EfiifffEEvT2_20rocsparse_direction_NS_24const_host_device_scalarIT0_EES1_PKS1_PKT1_SA_S7_PKT3_PKT4_S5_PT5_21rocsparse_index_base_b.num_named_barrier, 0
	.set _ZN9rocsparseL20bsrxmvn_17_32_kernelILj17EfiifffEEvT2_20rocsparse_direction_NS_24const_host_device_scalarIT0_EES1_PKS1_PKT1_SA_S7_PKT3_PKT4_S5_PT5_21rocsparse_index_base_b.private_seg_size, 0
	.set _ZN9rocsparseL20bsrxmvn_17_32_kernelILj17EfiifffEEvT2_20rocsparse_direction_NS_24const_host_device_scalarIT0_EES1_PKS1_PKT1_SA_S7_PKT3_PKT4_S5_PT5_21rocsparse_index_base_b.uses_vcc, 1
	.set _ZN9rocsparseL20bsrxmvn_17_32_kernelILj17EfiifffEEvT2_20rocsparse_direction_NS_24const_host_device_scalarIT0_EES1_PKS1_PKT1_SA_S7_PKT3_PKT4_S5_PT5_21rocsparse_index_base_b.uses_flat_scratch, 0
	.set _ZN9rocsparseL20bsrxmvn_17_32_kernelILj17EfiifffEEvT2_20rocsparse_direction_NS_24const_host_device_scalarIT0_EES1_PKS1_PKT1_SA_S7_PKT3_PKT4_S5_PT5_21rocsparse_index_base_b.has_dyn_sized_stack, 0
	.set _ZN9rocsparseL20bsrxmvn_17_32_kernelILj17EfiifffEEvT2_20rocsparse_direction_NS_24const_host_device_scalarIT0_EES1_PKS1_PKT1_SA_S7_PKT3_PKT4_S5_PT5_21rocsparse_index_base_b.has_recursion, 0
	.set _ZN9rocsparseL20bsrxmvn_17_32_kernelILj17EfiifffEEvT2_20rocsparse_direction_NS_24const_host_device_scalarIT0_EES1_PKS1_PKT1_SA_S7_PKT3_PKT4_S5_PT5_21rocsparse_index_base_b.has_indirect_call, 0
	.section	.AMDGPU.csdata,"",@progbits
; Kernel info:
; codeLenInByte = 1232
; TotalNumSgprs: 26
; NumVgprs: 12
; ScratchSize: 0
; MemoryBound: 0
; FloatMode: 240
; IeeeMode: 1
; LDSByteSize: 1156 bytes/workgroup (compile time only)
; SGPRBlocks: 3
; VGPRBlocks: 2
; NumSGPRsForWavesPerEU: 26
; NumVGPRsForWavesPerEU: 12
; Occupancy: 10
; WaveLimiterHint : 1
; COMPUTE_PGM_RSRC2:SCRATCH_EN: 0
; COMPUTE_PGM_RSRC2:USER_SGPR: 6
; COMPUTE_PGM_RSRC2:TRAP_HANDLER: 0
; COMPUTE_PGM_RSRC2:TGID_X_EN: 1
; COMPUTE_PGM_RSRC2:TGID_Y_EN: 0
; COMPUTE_PGM_RSRC2:TGID_Z_EN: 0
; COMPUTE_PGM_RSRC2:TIDIG_COMP_CNT: 0
	.section	.text._ZN9rocsparseL20bsrxmvn_17_32_kernelILj18EfiifffEEvT2_20rocsparse_direction_NS_24const_host_device_scalarIT0_EES1_PKS1_PKT1_SA_S7_PKT3_PKT4_S5_PT5_21rocsparse_index_base_b,"axG",@progbits,_ZN9rocsparseL20bsrxmvn_17_32_kernelILj18EfiifffEEvT2_20rocsparse_direction_NS_24const_host_device_scalarIT0_EES1_PKS1_PKT1_SA_S7_PKT3_PKT4_S5_PT5_21rocsparse_index_base_b,comdat
	.globl	_ZN9rocsparseL20bsrxmvn_17_32_kernelILj18EfiifffEEvT2_20rocsparse_direction_NS_24const_host_device_scalarIT0_EES1_PKS1_PKT1_SA_S7_PKT3_PKT4_S5_PT5_21rocsparse_index_base_b ; -- Begin function _ZN9rocsparseL20bsrxmvn_17_32_kernelILj18EfiifffEEvT2_20rocsparse_direction_NS_24const_host_device_scalarIT0_EES1_PKS1_PKT1_SA_S7_PKT3_PKT4_S5_PT5_21rocsparse_index_base_b
	.p2align	8
	.type	_ZN9rocsparseL20bsrxmvn_17_32_kernelILj18EfiifffEEvT2_20rocsparse_direction_NS_24const_host_device_scalarIT0_EES1_PKS1_PKT1_SA_S7_PKT3_PKT4_S5_PT5_21rocsparse_index_base_b,@function
_ZN9rocsparseL20bsrxmvn_17_32_kernelILj18EfiifffEEvT2_20rocsparse_direction_NS_24const_host_device_scalarIT0_EES1_PKS1_PKT1_SA_S7_PKT3_PKT4_S5_PT5_21rocsparse_index_base_b: ; @_ZN9rocsparseL20bsrxmvn_17_32_kernelILj18EfiifffEEvT2_20rocsparse_direction_NS_24const_host_device_scalarIT0_EES1_PKS1_PKT1_SA_S7_PKT3_PKT4_S5_PT5_21rocsparse_index_base_b
; %bb.0:
	s_load_dwordx2 s[14:15], s[4:5], 0x58
	s_load_dwordx2 s[10:11], s[4:5], 0x8
	;; [unrolled: 1-line block ×3, first 2 shown]
	s_waitcnt lgkmcnt(0)
	s_bitcmp1_b32 s15, 0
	s_cselect_b64 s[2:3], -1, 0
	s_xor_b64 s[0:1], s[2:3], -1
	s_and_b64 vcc, exec, s[2:3]
	s_cbranch_vccnz .LBB1_2
; %bb.1:
	s_load_dword s10, s[10:11], 0x0
.LBB1_2:
	s_andn2_b64 vcc, exec, s[0:1]
	s_cbranch_vccnz .LBB1_4
; %bb.3:
	s_load_dword s8, s[8:9], 0x0
.LBB1_4:
	s_waitcnt lgkmcnt(0)
	v_cmp_neq_f32_e64 s[0:1], s10, 0
	v_cmp_neq_f32_e64 s[2:3], s8, 1.0
	s_or_b64 s[0:1], s[0:1], s[2:3]
	s_andn2_b64 vcc, exec, s[0:1]
	s_cbranch_vccnz .LBB1_40
; %bb.5:
	s_load_dwordx4 s[0:3], s[4:5], 0x18
	s_load_dwordx2 s[18:19], s[4:5], 0x28
	s_waitcnt lgkmcnt(0)
	s_cmp_eq_u64 s[0:1], 0
	s_cbranch_scc1 .LBB1_7
; %bb.6:
	s_ashr_i32 s7, s6, 31
	s_lshl_b64 s[6:7], s[6:7], 2
	s_add_u32 s0, s0, s6
	s_addc_u32 s1, s1, s7
	s_load_dword s0, s[0:1], 0x0
	s_waitcnt lgkmcnt(0)
	s_sub_i32 s6, s0, s14
.LBB1_7:
	s_load_dword s0, s[4:5], 0x4
	s_load_dwordx2 s[12:13], s[4:5], 0x50
	v_mul_u32_u24_e32 v1, 0xe39, v0
	v_mov_b32_e32 v2, 18
	v_mul_lo_u16_sdwa v3, v1, v2 dst_sel:DWORD dst_unused:UNUSED_PAD src0_sel:WORD_1 src1_sel:DWORD
	s_waitcnt lgkmcnt(0)
	s_cmp_eq_u32 s0, 1
	s_cselect_b64 vcc, -1, 0
	s_cmp_lg_u32 s0, 1
	s_cselect_b64 s[16:17], -1, 0
	s_ashr_i32 s7, s6, 31
	s_lshl_b64 s[0:1], s[6:7], 2
	s_add_u32 s2, s2, s0
	s_addc_u32 s3, s3, s1
	s_load_dword s7, s[2:3], 0x0
	s_add_u32 s2, s2, 4
	s_addc_u32 s3, s3, 0
	s_add_u32 s0, s18, s0
	s_addc_u32 s1, s19, s1
	s_cmp_eq_u64 s[18:19], 0
	s_cselect_b32 s1, s3, s1
	s_cselect_b32 s0, s2, s0
	s_load_dword s9, s[0:1], 0x0
	v_sub_u16_e32 v8, v0, v3
	v_mov_b32_e32 v7, 0
	v_lshlrev_b32_e32 v6, 2, v0
	s_waitcnt lgkmcnt(0)
	s_cmp_ge_i32 s7, s9
	s_cbranch_scc1 .LBB1_12
; %bb.8:
	s_load_dwordx4 s[0:3], s[4:5], 0x30
	s_load_dwordx2 s[18:19], s[4:5], 0x40
	v_mov_b32_e32 v3, 15
	v_mul_lo_u16_sdwa v3, v1, v3 dst_sel:DWORD dst_unused:UNUSED_PAD src0_sel:WORD_1 src1_sel:DWORD
	v_mul_lo_u16_sdwa v2, v3, v2 dst_sel:DWORD dst_unused:UNUSED_PAD src0_sel:BYTE_1 src1_sel:DWORD
	s_sub_i32 s5, s7, s14
	s_sub_i32 s4, s9, s14
	v_sub_u16_sdwa v1, v1, v2 dst_sel:DWORD dst_unused:UNUSED_PAD src0_sel:WORD_1 src1_sel:DWORD
	s_mul_i32 s9, s5, 0x510
	v_and_b32_e32 v1, 0xff, v1
	s_mul_hi_i32 s7, s5, 0x510
	s_waitcnt lgkmcnt(0)
	s_add_u32 s2, s2, s9
	v_cndmask_b32_e32 v1, v8, v1, vcc
	s_addc_u32 s3, s3, s7
	v_add_co_u32_e32 v2, vcc, s2, v6
	s_movk_i32 s2, 0x195
	v_mov_b32_e32 v3, s3
	v_mul_u32_u24_sdwa v4, v0, s2 dst_sel:DWORD dst_unused:UNUSED_PAD src0_sel:WORD_0 src1_sel:DWORD
	v_mov_b32_e32 v7, 0
	v_addc_co_u32_e32 v3, vcc, 0, v3, vcc
	v_lshrrev_b32_e32 v9, 17, v4
	s_branch .LBB1_10
.LBB1_9:                                ;   in Loop: Header=BB1_10 Depth=1
	s_or_b64 exec, exec, s[2:3]
	s_add_i32 s5, s5, 1
	s_cmp_lt_i32 s5, s4
	s_cbranch_scc0 .LBB1_12
.LBB1_10:                               ; =>This Inner Loop Header: Depth=1
	v_add_u32_e32 v4, s5, v9
	v_cmp_gt_i32_e32 vcc, s4, v4
	s_and_saveexec_b64 s[2:3], vcc
	s_cbranch_execz .LBB1_9
; %bb.11:                               ;   in Loop: Header=BB1_10 Depth=1
	v_ashrrev_i32_e32 v5, 31, v4
	v_lshlrev_b64 v[4:5], 2, v[4:5]
	v_mov_b32_e32 v10, s1
	v_add_co_u32_e32 v4, vcc, s0, v4
	v_addc_co_u32_e32 v5, vcc, v10, v5, vcc
	global_load_dword v4, v[4:5], off
	v_mov_b32_e32 v11, s19
	global_load_dword v10, v[2:3], off
	s_waitcnt vmcnt(1)
	v_subrev_u32_e32 v4, s14, v4
	v_mad_u64_u32 v[4:5], s[20:21], v4, 18, v[1:2]
	v_ashrrev_i32_e32 v5, 31, v4
	v_lshlrev_b64 v[4:5], 2, v[4:5]
	v_add_co_u32_e32 v4, vcc, s18, v4
	v_addc_co_u32_e32 v5, vcc, v11, v5, vcc
	global_load_dword v4, v[4:5], off
	v_add_co_u32_e32 v2, vcc, 0x510, v2
	v_addc_co_u32_e32 v3, vcc, 0, v3, vcc
	s_waitcnt vmcnt(0)
	v_fmac_f32_e32 v7, v10, v4
	s_branch .LBB1_9
.LBB1_12:
	s_and_b64 vcc, exec, s[16:17]
	ds_write_b32 v6, v7
	s_waitcnt lgkmcnt(0)
	s_barrier
	s_cbranch_vccz .LBB1_24
; %bb.13:
	v_cmp_gt_u16_e32 vcc, 2, v8
	s_and_saveexec_b64 s[0:1], vcc
	s_cbranch_execz .LBB1_15
; %bb.14:
	ds_read2_b32 v[1:2], v6 offset1:16
	s_waitcnt lgkmcnt(0)
	v_add_f32_e32 v1, v2, v1
	ds_write_b32 v6, v1
.LBB1_15:
	s_or_b64 exec, exec, s[0:1]
	v_cmp_gt_u16_e64 s[0:1], 8, v8
	s_waitcnt lgkmcnt(0)
	s_barrier
	s_and_saveexec_b64 s[2:3], s[0:1]
	s_cbranch_execz .LBB1_17
; %bb.16:
	ds_read2_b32 v[1:2], v6 offset1:8
	s_waitcnt lgkmcnt(0)
	v_add_f32_e32 v1, v2, v1
	ds_write_b32 v6, v1
.LBB1_17:
	s_or_b64 exec, exec, s[2:3]
	v_cmp_gt_u16_e64 s[0:1], 4, v8
	s_waitcnt lgkmcnt(0)
	s_barrier
	s_and_saveexec_b64 s[2:3], s[0:1]
	s_cbranch_execz .LBB1_19
; %bb.18:
	ds_read2_b32 v[1:2], v6 offset1:4
	s_waitcnt lgkmcnt(0)
	v_add_f32_e32 v1, v2, v1
	ds_write_b32 v6, v1
.LBB1_19:
	s_or_b64 exec, exec, s[2:3]
	s_waitcnt lgkmcnt(0)
	s_barrier
	s_and_saveexec_b64 s[0:1], vcc
	s_cbranch_execz .LBB1_21
; %bb.20:
	ds_read2_b32 v[1:2], v6 offset1:2
	s_waitcnt lgkmcnt(0)
	v_add_f32_e32 v1, v2, v1
	ds_write_b32 v6, v1
.LBB1_21:
	s_or_b64 exec, exec, s[0:1]
	v_cmp_gt_u32_e32 vcc, 18, v0
	v_mov_b32_e32 v1, v7
	s_waitcnt lgkmcnt(0)
	s_barrier
	s_and_saveexec_b64 s[0:1], vcc
	s_cbranch_execz .LBB1_23
; %bb.22:
	s_movk_i32 s2, 0x44
	v_mad_u32_u24 v1, v0, s2, v6
	ds_read_b64 v[1:2], v1
	s_waitcnt lgkmcnt(0)
	v_add_f32_e32 v1, v1, v2
.LBB1_23:
	s_or_b64 exec, exec, s[0:1]
	s_branch .LBB1_36
.LBB1_24:
                                        ; implicit-def: $vgpr1
	s_cbranch_execz .LBB1_36
; %bb.25:
	v_cmp_gt_u32_e32 vcc, 36, v0
	s_and_saveexec_b64 s[0:1], vcc
	s_cbranch_execz .LBB1_27
; %bb.26:
	ds_read_b32 v1, v6 offset:1152
	ds_read_b32 v2, v6
	s_waitcnt lgkmcnt(0)
	v_add_f32_e32 v1, v1, v2
	ds_write_b32 v6, v1
.LBB1_27:
	s_or_b64 exec, exec, s[0:1]
	s_movk_i32 s0, 0x90
	v_cmp_gt_u32_e64 s[0:1], s0, v0
	s_waitcnt lgkmcnt(0)
	s_barrier
	s_and_saveexec_b64 s[2:3], s[0:1]
	s_cbranch_execz .LBB1_29
; %bb.28:
	ds_read2_b32 v[1:2], v6 offset1:144
	s_waitcnt lgkmcnt(0)
	v_add_f32_e32 v1, v2, v1
	ds_write_b32 v6, v1
.LBB1_29:
	s_or_b64 exec, exec, s[2:3]
	s_movk_i32 s0, 0x48
	v_cmp_gt_u32_e64 s[0:1], s0, v0
	s_waitcnt lgkmcnt(0)
	s_barrier
	s_and_saveexec_b64 s[2:3], s[0:1]
	s_cbranch_execz .LBB1_31
; %bb.30:
	ds_read2_b32 v[1:2], v6 offset1:72
	s_waitcnt lgkmcnt(0)
	v_add_f32_e32 v1, v2, v1
	ds_write_b32 v6, v1
.LBB1_31:
	s_or_b64 exec, exec, s[2:3]
	s_waitcnt lgkmcnt(0)
	s_barrier
	s_and_saveexec_b64 s[0:1], vcc
	s_cbranch_execz .LBB1_33
; %bb.32:
	ds_read2_b32 v[1:2], v6 offset1:36
	s_waitcnt lgkmcnt(0)
	v_add_f32_e32 v1, v2, v1
	ds_write_b32 v6, v1
.LBB1_33:
	s_or_b64 exec, exec, s[0:1]
	v_cmp_gt_u32_e32 vcc, 18, v0
	s_waitcnt lgkmcnt(0)
	s_and_saveexec_b64 s[0:1], vcc
	s_cbranch_execz .LBB1_35
; %bb.34:
	ds_read2_b32 v[1:2], v6 offset1:18
	s_waitcnt lgkmcnt(0)
	v_add_f32_e32 v7, v1, v2
.LBB1_35:
	s_or_b64 exec, exec, s[0:1]
	v_mov_b32_e32 v1, v7
.LBB1_36:
	v_cmp_gt_u32_e32 vcc, 18, v0
	s_and_saveexec_b64 s[0:1], vcc
	s_cbranch_execz .LBB1_40
; %bb.37:
	v_cmp_eq_f32_e64 s[0:1], s8, 0
	s_and_b64 vcc, exec, s[0:1]
	v_mul_f32_e32 v1, s10, v1
	s_cbranch_vccz .LBB1_41
; %bb.38:
	v_mad_u64_u32 v[2:3], s[0:1], s6, 18, v[0:1]
	v_mov_b32_e32 v3, 0
	v_mov_b32_e32 v4, s13
	v_lshlrev_b64 v[2:3], 2, v[2:3]
	v_add_co_u32_e32 v2, vcc, s12, v2
	v_addc_co_u32_e32 v3, vcc, v4, v3, vcc
	global_store_dword v[2:3], v1, off
	s_cbranch_execnz .LBB1_40
.LBB1_39:
	v_mad_u64_u32 v[2:3], s[0:1], s6, 18, v[0:1]
	v_mov_b32_e32 v3, 0
	v_mov_b32_e32 v0, s13
	v_lshlrev_b64 v[2:3], 2, v[2:3]
	v_add_co_u32_e32 v2, vcc, s12, v2
	v_addc_co_u32_e32 v3, vcc, v0, v3, vcc
	global_load_dword v0, v[2:3], off
	s_waitcnt vmcnt(0)
	v_fmac_f32_e32 v1, s8, v0
	global_store_dword v[2:3], v1, off
.LBB1_40:
	s_endpgm
.LBB1_41:
	s_branch .LBB1_39
	.section	.rodata,"a",@progbits
	.p2align	6, 0x0
	.amdhsa_kernel _ZN9rocsparseL20bsrxmvn_17_32_kernelILj18EfiifffEEvT2_20rocsparse_direction_NS_24const_host_device_scalarIT0_EES1_PKS1_PKT1_SA_S7_PKT3_PKT4_S5_PT5_21rocsparse_index_base_b
		.amdhsa_group_segment_fixed_size 1296
		.amdhsa_private_segment_fixed_size 0
		.amdhsa_kernarg_size 96
		.amdhsa_user_sgpr_count 6
		.amdhsa_user_sgpr_private_segment_buffer 1
		.amdhsa_user_sgpr_dispatch_ptr 0
		.amdhsa_user_sgpr_queue_ptr 0
		.amdhsa_user_sgpr_kernarg_segment_ptr 1
		.amdhsa_user_sgpr_dispatch_id 0
		.amdhsa_user_sgpr_flat_scratch_init 0
		.amdhsa_user_sgpr_private_segment_size 0
		.amdhsa_uses_dynamic_stack 0
		.amdhsa_system_sgpr_private_segment_wavefront_offset 0
		.amdhsa_system_sgpr_workgroup_id_x 1
		.amdhsa_system_sgpr_workgroup_id_y 0
		.amdhsa_system_sgpr_workgroup_id_z 0
		.amdhsa_system_sgpr_workgroup_info 0
		.amdhsa_system_vgpr_workitem_id 0
		.amdhsa_next_free_vgpr 12
		.amdhsa_next_free_sgpr 22
		.amdhsa_reserve_vcc 1
		.amdhsa_reserve_flat_scratch 0
		.amdhsa_float_round_mode_32 0
		.amdhsa_float_round_mode_16_64 0
		.amdhsa_float_denorm_mode_32 3
		.amdhsa_float_denorm_mode_16_64 3
		.amdhsa_dx10_clamp 1
		.amdhsa_ieee_mode 1
		.amdhsa_fp16_overflow 0
		.amdhsa_exception_fp_ieee_invalid_op 0
		.amdhsa_exception_fp_denorm_src 0
		.amdhsa_exception_fp_ieee_div_zero 0
		.amdhsa_exception_fp_ieee_overflow 0
		.amdhsa_exception_fp_ieee_underflow 0
		.amdhsa_exception_fp_ieee_inexact 0
		.amdhsa_exception_int_div_zero 0
	.end_amdhsa_kernel
	.section	.text._ZN9rocsparseL20bsrxmvn_17_32_kernelILj18EfiifffEEvT2_20rocsparse_direction_NS_24const_host_device_scalarIT0_EES1_PKS1_PKT1_SA_S7_PKT3_PKT4_S5_PT5_21rocsparse_index_base_b,"axG",@progbits,_ZN9rocsparseL20bsrxmvn_17_32_kernelILj18EfiifffEEvT2_20rocsparse_direction_NS_24const_host_device_scalarIT0_EES1_PKS1_PKT1_SA_S7_PKT3_PKT4_S5_PT5_21rocsparse_index_base_b,comdat
.Lfunc_end1:
	.size	_ZN9rocsparseL20bsrxmvn_17_32_kernelILj18EfiifffEEvT2_20rocsparse_direction_NS_24const_host_device_scalarIT0_EES1_PKS1_PKT1_SA_S7_PKT3_PKT4_S5_PT5_21rocsparse_index_base_b, .Lfunc_end1-_ZN9rocsparseL20bsrxmvn_17_32_kernelILj18EfiifffEEvT2_20rocsparse_direction_NS_24const_host_device_scalarIT0_EES1_PKS1_PKT1_SA_S7_PKT3_PKT4_S5_PT5_21rocsparse_index_base_b
                                        ; -- End function
	.set _ZN9rocsparseL20bsrxmvn_17_32_kernelILj18EfiifffEEvT2_20rocsparse_direction_NS_24const_host_device_scalarIT0_EES1_PKS1_PKT1_SA_S7_PKT3_PKT4_S5_PT5_21rocsparse_index_base_b.num_vgpr, 12
	.set _ZN9rocsparseL20bsrxmvn_17_32_kernelILj18EfiifffEEvT2_20rocsparse_direction_NS_24const_host_device_scalarIT0_EES1_PKS1_PKT1_SA_S7_PKT3_PKT4_S5_PT5_21rocsparse_index_base_b.num_agpr, 0
	.set _ZN9rocsparseL20bsrxmvn_17_32_kernelILj18EfiifffEEvT2_20rocsparse_direction_NS_24const_host_device_scalarIT0_EES1_PKS1_PKT1_SA_S7_PKT3_PKT4_S5_PT5_21rocsparse_index_base_b.numbered_sgpr, 22
	.set _ZN9rocsparseL20bsrxmvn_17_32_kernelILj18EfiifffEEvT2_20rocsparse_direction_NS_24const_host_device_scalarIT0_EES1_PKS1_PKT1_SA_S7_PKT3_PKT4_S5_PT5_21rocsparse_index_base_b.num_named_barrier, 0
	.set _ZN9rocsparseL20bsrxmvn_17_32_kernelILj18EfiifffEEvT2_20rocsparse_direction_NS_24const_host_device_scalarIT0_EES1_PKS1_PKT1_SA_S7_PKT3_PKT4_S5_PT5_21rocsparse_index_base_b.private_seg_size, 0
	.set _ZN9rocsparseL20bsrxmvn_17_32_kernelILj18EfiifffEEvT2_20rocsparse_direction_NS_24const_host_device_scalarIT0_EES1_PKS1_PKT1_SA_S7_PKT3_PKT4_S5_PT5_21rocsparse_index_base_b.uses_vcc, 1
	.set _ZN9rocsparseL20bsrxmvn_17_32_kernelILj18EfiifffEEvT2_20rocsparse_direction_NS_24const_host_device_scalarIT0_EES1_PKS1_PKT1_SA_S7_PKT3_PKT4_S5_PT5_21rocsparse_index_base_b.uses_flat_scratch, 0
	.set _ZN9rocsparseL20bsrxmvn_17_32_kernelILj18EfiifffEEvT2_20rocsparse_direction_NS_24const_host_device_scalarIT0_EES1_PKS1_PKT1_SA_S7_PKT3_PKT4_S5_PT5_21rocsparse_index_base_b.has_dyn_sized_stack, 0
	.set _ZN9rocsparseL20bsrxmvn_17_32_kernelILj18EfiifffEEvT2_20rocsparse_direction_NS_24const_host_device_scalarIT0_EES1_PKS1_PKT1_SA_S7_PKT3_PKT4_S5_PT5_21rocsparse_index_base_b.has_recursion, 0
	.set _ZN9rocsparseL20bsrxmvn_17_32_kernelILj18EfiifffEEvT2_20rocsparse_direction_NS_24const_host_device_scalarIT0_EES1_PKS1_PKT1_SA_S7_PKT3_PKT4_S5_PT5_21rocsparse_index_base_b.has_indirect_call, 0
	.section	.AMDGPU.csdata,"",@progbits
; Kernel info:
; codeLenInByte = 1236
; TotalNumSgprs: 26
; NumVgprs: 12
; ScratchSize: 0
; MemoryBound: 0
; FloatMode: 240
; IeeeMode: 1
; LDSByteSize: 1296 bytes/workgroup (compile time only)
; SGPRBlocks: 3
; VGPRBlocks: 2
; NumSGPRsForWavesPerEU: 26
; NumVGPRsForWavesPerEU: 12
; Occupancy: 10
; WaveLimiterHint : 1
; COMPUTE_PGM_RSRC2:SCRATCH_EN: 0
; COMPUTE_PGM_RSRC2:USER_SGPR: 6
; COMPUTE_PGM_RSRC2:TRAP_HANDLER: 0
; COMPUTE_PGM_RSRC2:TGID_X_EN: 1
; COMPUTE_PGM_RSRC2:TGID_Y_EN: 0
; COMPUTE_PGM_RSRC2:TGID_Z_EN: 0
; COMPUTE_PGM_RSRC2:TIDIG_COMP_CNT: 0
	.section	.text._ZN9rocsparseL20bsrxmvn_17_32_kernelILj19EfiifffEEvT2_20rocsparse_direction_NS_24const_host_device_scalarIT0_EES1_PKS1_PKT1_SA_S7_PKT3_PKT4_S5_PT5_21rocsparse_index_base_b,"axG",@progbits,_ZN9rocsparseL20bsrxmvn_17_32_kernelILj19EfiifffEEvT2_20rocsparse_direction_NS_24const_host_device_scalarIT0_EES1_PKS1_PKT1_SA_S7_PKT3_PKT4_S5_PT5_21rocsparse_index_base_b,comdat
	.globl	_ZN9rocsparseL20bsrxmvn_17_32_kernelILj19EfiifffEEvT2_20rocsparse_direction_NS_24const_host_device_scalarIT0_EES1_PKS1_PKT1_SA_S7_PKT3_PKT4_S5_PT5_21rocsparse_index_base_b ; -- Begin function _ZN9rocsparseL20bsrxmvn_17_32_kernelILj19EfiifffEEvT2_20rocsparse_direction_NS_24const_host_device_scalarIT0_EES1_PKS1_PKT1_SA_S7_PKT3_PKT4_S5_PT5_21rocsparse_index_base_b
	.p2align	8
	.type	_ZN9rocsparseL20bsrxmvn_17_32_kernelILj19EfiifffEEvT2_20rocsparse_direction_NS_24const_host_device_scalarIT0_EES1_PKS1_PKT1_SA_S7_PKT3_PKT4_S5_PT5_21rocsparse_index_base_b,@function
_ZN9rocsparseL20bsrxmvn_17_32_kernelILj19EfiifffEEvT2_20rocsparse_direction_NS_24const_host_device_scalarIT0_EES1_PKS1_PKT1_SA_S7_PKT3_PKT4_S5_PT5_21rocsparse_index_base_b: ; @_ZN9rocsparseL20bsrxmvn_17_32_kernelILj19EfiifffEEvT2_20rocsparse_direction_NS_24const_host_device_scalarIT0_EES1_PKS1_PKT1_SA_S7_PKT3_PKT4_S5_PT5_21rocsparse_index_base_b
; %bb.0:
	s_load_dwordx2 s[14:15], s[4:5], 0x58
	s_load_dwordx2 s[10:11], s[4:5], 0x8
	;; [unrolled: 1-line block ×3, first 2 shown]
	s_waitcnt lgkmcnt(0)
	s_bitcmp1_b32 s15, 0
	s_cselect_b64 s[2:3], -1, 0
	s_xor_b64 s[0:1], s[2:3], -1
	s_and_b64 vcc, exec, s[2:3]
	s_cbranch_vccnz .LBB2_2
; %bb.1:
	s_load_dword s10, s[10:11], 0x0
.LBB2_2:
	s_andn2_b64 vcc, exec, s[0:1]
	s_cbranch_vccnz .LBB2_4
; %bb.3:
	s_load_dword s8, s[8:9], 0x0
.LBB2_4:
	s_waitcnt lgkmcnt(0)
	v_cmp_neq_f32_e64 s[0:1], s10, 0
	v_cmp_neq_f32_e64 s[2:3], s8, 1.0
	s_or_b64 s[0:1], s[0:1], s[2:3]
	s_andn2_b64 vcc, exec, s[0:1]
	s_cbranch_vccnz .LBB2_40
; %bb.5:
	s_load_dwordx4 s[0:3], s[4:5], 0x18
	s_load_dwordx2 s[18:19], s[4:5], 0x28
	s_waitcnt lgkmcnt(0)
	s_cmp_eq_u64 s[0:1], 0
	s_cbranch_scc1 .LBB2_7
; %bb.6:
	s_ashr_i32 s7, s6, 31
	s_lshl_b64 s[6:7], s[6:7], 2
	s_add_u32 s0, s0, s6
	s_addc_u32 s1, s1, s7
	s_load_dword s0, s[0:1], 0x0
	s_waitcnt lgkmcnt(0)
	s_sub_i32 s6, s0, s14
.LBB2_7:
	s_load_dword s0, s[4:5], 0x4
	s_load_dwordx2 s[12:13], s[4:5], 0x50
	v_mul_u32_u24_e32 v1, 0xd7a, v0
	v_mov_b32_e32 v2, 19
	v_mul_lo_u16_sdwa v3, v1, v2 dst_sel:DWORD dst_unused:UNUSED_PAD src0_sel:WORD_1 src1_sel:DWORD
	s_waitcnt lgkmcnt(0)
	s_cmp_eq_u32 s0, 1
	s_cselect_b64 vcc, -1, 0
	s_cmp_lg_u32 s0, 1
	s_cselect_b64 s[16:17], -1, 0
	s_ashr_i32 s7, s6, 31
	s_lshl_b64 s[0:1], s[6:7], 2
	s_add_u32 s2, s2, s0
	s_addc_u32 s3, s3, s1
	s_load_dword s7, s[2:3], 0x0
	s_add_u32 s2, s2, 4
	s_addc_u32 s3, s3, 0
	s_add_u32 s0, s18, s0
	s_addc_u32 s1, s19, s1
	s_cmp_eq_u64 s[18:19], 0
	s_cselect_b32 s1, s3, s1
	s_cselect_b32 s0, s2, s0
	s_load_dword s9, s[0:1], 0x0
	v_sub_u16_e32 v8, v0, v3
	v_mov_b32_e32 v7, 0
	v_lshlrev_b32_e32 v6, 2, v0
	s_waitcnt lgkmcnt(0)
	s_cmp_ge_i32 s7, s9
	s_cbranch_scc1 .LBB2_12
; %bb.8:
	s_load_dwordx4 s[0:3], s[4:5], 0x30
	s_load_dwordx2 s[18:19], s[4:5], 0x40
	v_mov_b32_e32 v3, 14
	v_mul_lo_u16_sdwa v3, v1, v3 dst_sel:DWORD dst_unused:UNUSED_PAD src0_sel:WORD_1 src1_sel:DWORD
	s_sub_i32 s5, s7, s14
	s_sub_i32 s4, s9, s14
	v_mul_lo_u16_sdwa v2, v3, v2 dst_sel:DWORD dst_unused:UNUSED_PAD src0_sel:BYTE_1 src1_sel:DWORD
	s_mul_i32 s9, s5, 0x5a4
	v_sub_u16_sdwa v1, v1, v2 dst_sel:DWORD dst_unused:UNUSED_PAD src0_sel:WORD_1 src1_sel:DWORD
	s_mul_hi_i32 s7, s5, 0x5a4
	s_waitcnt lgkmcnt(0)
	s_add_u32 s2, s2, s9
	v_and_b32_e32 v1, 0xff, v1
	s_addc_u32 s3, s3, s7
	v_cndmask_b32_e32 v1, v8, v1, vcc
	v_mov_b32_e32 v3, s3
	v_add_co_u32_e32 v2, vcc, s2, v6
	s_movk_i32 s2, 0xb6
	v_mov_b32_e32 v7, 0
	v_addc_co_u32_e32 v3, vcc, 0, v3, vcc
	v_mul_u32_u24_sdwa v9, v0, s2 dst_sel:DWORD dst_unused:UNUSED_PAD src0_sel:WORD_0 src1_sel:DWORD
	s_branch .LBB2_10
.LBB2_9:                                ;   in Loop: Header=BB2_10 Depth=1
	s_or_b64 exec, exec, s[2:3]
	s_add_i32 s5, s5, 1
	s_cmp_lt_i32 s5, s4
	s_cbranch_scc0 .LBB2_12
.LBB2_10:                               ; =>This Inner Loop Header: Depth=1
	v_add_u32_sdwa v4, v9, s5 dst_sel:DWORD dst_unused:UNUSED_PAD src0_sel:WORD_1 src1_sel:DWORD
	v_cmp_gt_i32_e32 vcc, s4, v4
	s_and_saveexec_b64 s[2:3], vcc
	s_cbranch_execz .LBB2_9
; %bb.11:                               ;   in Loop: Header=BB2_10 Depth=1
	v_ashrrev_i32_e32 v5, 31, v4
	v_lshlrev_b64 v[4:5], 2, v[4:5]
	v_mov_b32_e32 v10, s1
	v_add_co_u32_e32 v4, vcc, s0, v4
	v_addc_co_u32_e32 v5, vcc, v10, v5, vcc
	global_load_dword v4, v[4:5], off
	v_mov_b32_e32 v11, s19
	global_load_dword v10, v[2:3], off
	s_waitcnt vmcnt(1)
	v_subrev_u32_e32 v4, s14, v4
	v_mad_u64_u32 v[4:5], s[20:21], v4, 19, v[1:2]
	v_ashrrev_i32_e32 v5, 31, v4
	v_lshlrev_b64 v[4:5], 2, v[4:5]
	v_add_co_u32_e32 v4, vcc, s18, v4
	v_addc_co_u32_e32 v5, vcc, v11, v5, vcc
	global_load_dword v4, v[4:5], off
	v_add_co_u32_e32 v2, vcc, 0x5a4, v2
	v_addc_co_u32_e32 v3, vcc, 0, v3, vcc
	s_waitcnt vmcnt(0)
	v_fmac_f32_e32 v7, v10, v4
	s_branch .LBB2_9
.LBB2_12:
	s_and_b64 vcc, exec, s[16:17]
	ds_write_b32 v6, v7
	s_waitcnt lgkmcnt(0)
	s_barrier
	s_cbranch_vccz .LBB2_24
; %bb.13:
	v_cmp_gt_u16_e32 vcc, 3, v8
	s_and_saveexec_b64 s[0:1], vcc
	s_cbranch_execz .LBB2_15
; %bb.14:
	ds_read2_b32 v[1:2], v6 offset1:16
	s_waitcnt lgkmcnt(0)
	v_add_f32_e32 v1, v2, v1
	ds_write_b32 v6, v1
.LBB2_15:
	s_or_b64 exec, exec, s[0:1]
	v_cmp_gt_u16_e32 vcc, 8, v8
	s_waitcnt lgkmcnt(0)
	s_barrier
	s_and_saveexec_b64 s[0:1], vcc
	s_cbranch_execz .LBB2_17
; %bb.16:
	ds_read2_b32 v[1:2], v6 offset1:8
	s_waitcnt lgkmcnt(0)
	v_add_f32_e32 v1, v2, v1
	ds_write_b32 v6, v1
.LBB2_17:
	s_or_b64 exec, exec, s[0:1]
	v_cmp_gt_u16_e32 vcc, 4, v8
	s_waitcnt lgkmcnt(0)
	s_barrier
	s_and_saveexec_b64 s[0:1], vcc
	s_cbranch_execz .LBB2_19
; %bb.18:
	ds_read2_b32 v[1:2], v6 offset1:4
	s_waitcnt lgkmcnt(0)
	v_add_f32_e32 v1, v2, v1
	ds_write_b32 v6, v1
.LBB2_19:
	s_or_b64 exec, exec, s[0:1]
	v_cmp_gt_u16_e32 vcc, 2, v8
	s_waitcnt lgkmcnt(0)
	s_barrier
	s_and_saveexec_b64 s[0:1], vcc
	s_cbranch_execz .LBB2_21
; %bb.20:
	ds_read2_b32 v[1:2], v6 offset1:2
	s_waitcnt lgkmcnt(0)
	v_add_f32_e32 v1, v2, v1
	ds_write_b32 v6, v1
.LBB2_21:
	s_or_b64 exec, exec, s[0:1]
	v_cmp_gt_u32_e32 vcc, 19, v0
	v_mov_b32_e32 v1, v7
	s_waitcnt lgkmcnt(0)
	s_barrier
	s_and_saveexec_b64 s[0:1], vcc
	s_cbranch_execz .LBB2_23
; %bb.22:
	s_movk_i32 s2, 0x48
	v_mad_u32_u24 v1, v0, s2, v6
	ds_read2_b32 v[1:2], v1 offset1:1
	s_waitcnt lgkmcnt(0)
	v_add_f32_e32 v1, v1, v2
.LBB2_23:
	s_or_b64 exec, exec, s[0:1]
	s_branch .LBB2_36
.LBB2_24:
                                        ; implicit-def: $vgpr1
	s_cbranch_execz .LBB2_36
; %bb.25:
	v_cmp_gt_u32_e32 vcc, 57, v0
	s_and_saveexec_b64 s[0:1], vcc
	s_cbranch_execz .LBB2_27
; %bb.26:
	ds_read_b32 v1, v6 offset:1216
	ds_read_b32 v2, v6
	s_waitcnt lgkmcnt(0)
	v_add_f32_e32 v1, v1, v2
	ds_write_b32 v6, v1
.LBB2_27:
	s_or_b64 exec, exec, s[0:1]
	s_movk_i32 s0, 0x98
	v_cmp_gt_u32_e32 vcc, s0, v0
	s_waitcnt lgkmcnt(0)
	s_barrier
	s_and_saveexec_b64 s[0:1], vcc
	s_cbranch_execz .LBB2_29
; %bb.28:
	ds_read2_b32 v[1:2], v6 offset1:152
	s_waitcnt lgkmcnt(0)
	v_add_f32_e32 v1, v2, v1
	ds_write_b32 v6, v1
.LBB2_29:
	s_or_b64 exec, exec, s[0:1]
	s_movk_i32 s0, 0x4c
	v_cmp_gt_u32_e32 vcc, s0, v0
	s_waitcnt lgkmcnt(0)
	s_barrier
	s_and_saveexec_b64 s[0:1], vcc
	s_cbranch_execz .LBB2_31
; %bb.30:
	ds_read2_b32 v[1:2], v6 offset1:76
	s_waitcnt lgkmcnt(0)
	v_add_f32_e32 v1, v2, v1
	ds_write_b32 v6, v1
.LBB2_31:
	s_or_b64 exec, exec, s[0:1]
	v_cmp_gt_u32_e32 vcc, 38, v0
	s_waitcnt lgkmcnt(0)
	s_barrier
	s_and_saveexec_b64 s[0:1], vcc
	s_cbranch_execz .LBB2_33
; %bb.32:
	ds_read2_b32 v[1:2], v6 offset1:38
	s_waitcnt lgkmcnt(0)
	v_add_f32_e32 v1, v2, v1
	ds_write_b32 v6, v1
.LBB2_33:
	s_or_b64 exec, exec, s[0:1]
	v_cmp_gt_u32_e32 vcc, 19, v0
	s_waitcnt lgkmcnt(0)
	s_and_saveexec_b64 s[0:1], vcc
	s_cbranch_execz .LBB2_35
; %bb.34:
	ds_read2_b32 v[1:2], v6 offset1:19
	s_waitcnt lgkmcnt(0)
	v_add_f32_e32 v7, v1, v2
.LBB2_35:
	s_or_b64 exec, exec, s[0:1]
	v_mov_b32_e32 v1, v7
.LBB2_36:
	v_cmp_gt_u32_e32 vcc, 19, v0
	s_and_saveexec_b64 s[0:1], vcc
	s_cbranch_execz .LBB2_40
; %bb.37:
	v_cmp_eq_f32_e64 s[0:1], s8, 0
	s_and_b64 vcc, exec, s[0:1]
	v_mul_f32_e32 v1, s10, v1
	s_cbranch_vccz .LBB2_41
; %bb.38:
	v_mad_u64_u32 v[2:3], s[0:1], s6, 19, v[0:1]
	v_mov_b32_e32 v3, 0
	v_mov_b32_e32 v4, s13
	v_lshlrev_b64 v[2:3], 2, v[2:3]
	v_add_co_u32_e32 v2, vcc, s12, v2
	v_addc_co_u32_e32 v3, vcc, v4, v3, vcc
	global_store_dword v[2:3], v1, off
	s_cbranch_execnz .LBB2_40
.LBB2_39:
	v_mad_u64_u32 v[2:3], s[0:1], s6, 19, v[0:1]
	v_mov_b32_e32 v3, 0
	v_mov_b32_e32 v0, s13
	v_lshlrev_b64 v[2:3], 2, v[2:3]
	v_add_co_u32_e32 v2, vcc, s12, v2
	v_addc_co_u32_e32 v3, vcc, v0, v3, vcc
	global_load_dword v0, v[2:3], off
	s_waitcnt vmcnt(0)
	v_fmac_f32_e32 v1, s8, v0
	global_store_dword v[2:3], v1, off
.LBB2_40:
	s_endpgm
.LBB2_41:
	s_branch .LBB2_39
	.section	.rodata,"a",@progbits
	.p2align	6, 0x0
	.amdhsa_kernel _ZN9rocsparseL20bsrxmvn_17_32_kernelILj19EfiifffEEvT2_20rocsparse_direction_NS_24const_host_device_scalarIT0_EES1_PKS1_PKT1_SA_S7_PKT3_PKT4_S5_PT5_21rocsparse_index_base_b
		.amdhsa_group_segment_fixed_size 1444
		.amdhsa_private_segment_fixed_size 0
		.amdhsa_kernarg_size 96
		.amdhsa_user_sgpr_count 6
		.amdhsa_user_sgpr_private_segment_buffer 1
		.amdhsa_user_sgpr_dispatch_ptr 0
		.amdhsa_user_sgpr_queue_ptr 0
		.amdhsa_user_sgpr_kernarg_segment_ptr 1
		.amdhsa_user_sgpr_dispatch_id 0
		.amdhsa_user_sgpr_flat_scratch_init 0
		.amdhsa_user_sgpr_private_segment_size 0
		.amdhsa_uses_dynamic_stack 0
		.amdhsa_system_sgpr_private_segment_wavefront_offset 0
		.amdhsa_system_sgpr_workgroup_id_x 1
		.amdhsa_system_sgpr_workgroup_id_y 0
		.amdhsa_system_sgpr_workgroup_id_z 0
		.amdhsa_system_sgpr_workgroup_info 0
		.amdhsa_system_vgpr_workitem_id 0
		.amdhsa_next_free_vgpr 12
		.amdhsa_next_free_sgpr 22
		.amdhsa_reserve_vcc 1
		.amdhsa_reserve_flat_scratch 0
		.amdhsa_float_round_mode_32 0
		.amdhsa_float_round_mode_16_64 0
		.amdhsa_float_denorm_mode_32 3
		.amdhsa_float_denorm_mode_16_64 3
		.amdhsa_dx10_clamp 1
		.amdhsa_ieee_mode 1
		.amdhsa_fp16_overflow 0
		.amdhsa_exception_fp_ieee_invalid_op 0
		.amdhsa_exception_fp_denorm_src 0
		.amdhsa_exception_fp_ieee_div_zero 0
		.amdhsa_exception_fp_ieee_overflow 0
		.amdhsa_exception_fp_ieee_underflow 0
		.amdhsa_exception_fp_ieee_inexact 0
		.amdhsa_exception_int_div_zero 0
	.end_amdhsa_kernel
	.section	.text._ZN9rocsparseL20bsrxmvn_17_32_kernelILj19EfiifffEEvT2_20rocsparse_direction_NS_24const_host_device_scalarIT0_EES1_PKS1_PKT1_SA_S7_PKT3_PKT4_S5_PT5_21rocsparse_index_base_b,"axG",@progbits,_ZN9rocsparseL20bsrxmvn_17_32_kernelILj19EfiifffEEvT2_20rocsparse_direction_NS_24const_host_device_scalarIT0_EES1_PKS1_PKT1_SA_S7_PKT3_PKT4_S5_PT5_21rocsparse_index_base_b,comdat
.Lfunc_end2:
	.size	_ZN9rocsparseL20bsrxmvn_17_32_kernelILj19EfiifffEEvT2_20rocsparse_direction_NS_24const_host_device_scalarIT0_EES1_PKS1_PKT1_SA_S7_PKT3_PKT4_S5_PT5_21rocsparse_index_base_b, .Lfunc_end2-_ZN9rocsparseL20bsrxmvn_17_32_kernelILj19EfiifffEEvT2_20rocsparse_direction_NS_24const_host_device_scalarIT0_EES1_PKS1_PKT1_SA_S7_PKT3_PKT4_S5_PT5_21rocsparse_index_base_b
                                        ; -- End function
	.set _ZN9rocsparseL20bsrxmvn_17_32_kernelILj19EfiifffEEvT2_20rocsparse_direction_NS_24const_host_device_scalarIT0_EES1_PKS1_PKT1_SA_S7_PKT3_PKT4_S5_PT5_21rocsparse_index_base_b.num_vgpr, 12
	.set _ZN9rocsparseL20bsrxmvn_17_32_kernelILj19EfiifffEEvT2_20rocsparse_direction_NS_24const_host_device_scalarIT0_EES1_PKS1_PKT1_SA_S7_PKT3_PKT4_S5_PT5_21rocsparse_index_base_b.num_agpr, 0
	.set _ZN9rocsparseL20bsrxmvn_17_32_kernelILj19EfiifffEEvT2_20rocsparse_direction_NS_24const_host_device_scalarIT0_EES1_PKS1_PKT1_SA_S7_PKT3_PKT4_S5_PT5_21rocsparse_index_base_b.numbered_sgpr, 22
	.set _ZN9rocsparseL20bsrxmvn_17_32_kernelILj19EfiifffEEvT2_20rocsparse_direction_NS_24const_host_device_scalarIT0_EES1_PKS1_PKT1_SA_S7_PKT3_PKT4_S5_PT5_21rocsparse_index_base_b.num_named_barrier, 0
	.set _ZN9rocsparseL20bsrxmvn_17_32_kernelILj19EfiifffEEvT2_20rocsparse_direction_NS_24const_host_device_scalarIT0_EES1_PKS1_PKT1_SA_S7_PKT3_PKT4_S5_PT5_21rocsparse_index_base_b.private_seg_size, 0
	.set _ZN9rocsparseL20bsrxmvn_17_32_kernelILj19EfiifffEEvT2_20rocsparse_direction_NS_24const_host_device_scalarIT0_EES1_PKS1_PKT1_SA_S7_PKT3_PKT4_S5_PT5_21rocsparse_index_base_b.uses_vcc, 1
	.set _ZN9rocsparseL20bsrxmvn_17_32_kernelILj19EfiifffEEvT2_20rocsparse_direction_NS_24const_host_device_scalarIT0_EES1_PKS1_PKT1_SA_S7_PKT3_PKT4_S5_PT5_21rocsparse_index_base_b.uses_flat_scratch, 0
	.set _ZN9rocsparseL20bsrxmvn_17_32_kernelILj19EfiifffEEvT2_20rocsparse_direction_NS_24const_host_device_scalarIT0_EES1_PKS1_PKT1_SA_S7_PKT3_PKT4_S5_PT5_21rocsparse_index_base_b.has_dyn_sized_stack, 0
	.set _ZN9rocsparseL20bsrxmvn_17_32_kernelILj19EfiifffEEvT2_20rocsparse_direction_NS_24const_host_device_scalarIT0_EES1_PKS1_PKT1_SA_S7_PKT3_PKT4_S5_PT5_21rocsparse_index_base_b.has_recursion, 0
	.set _ZN9rocsparseL20bsrxmvn_17_32_kernelILj19EfiifffEEvT2_20rocsparse_direction_NS_24const_host_device_scalarIT0_EES1_PKS1_PKT1_SA_S7_PKT3_PKT4_S5_PT5_21rocsparse_index_base_b.has_indirect_call, 0
	.section	.AMDGPU.csdata,"",@progbits
; Kernel info:
; codeLenInByte = 1228
; TotalNumSgprs: 26
; NumVgprs: 12
; ScratchSize: 0
; MemoryBound: 0
; FloatMode: 240
; IeeeMode: 1
; LDSByteSize: 1444 bytes/workgroup (compile time only)
; SGPRBlocks: 3
; VGPRBlocks: 2
; NumSGPRsForWavesPerEU: 26
; NumVGPRsForWavesPerEU: 12
; Occupancy: 10
; WaveLimiterHint : 1
; COMPUTE_PGM_RSRC2:SCRATCH_EN: 0
; COMPUTE_PGM_RSRC2:USER_SGPR: 6
; COMPUTE_PGM_RSRC2:TRAP_HANDLER: 0
; COMPUTE_PGM_RSRC2:TGID_X_EN: 1
; COMPUTE_PGM_RSRC2:TGID_Y_EN: 0
; COMPUTE_PGM_RSRC2:TGID_Z_EN: 0
; COMPUTE_PGM_RSRC2:TIDIG_COMP_CNT: 0
	.section	.text._ZN9rocsparseL20bsrxmvn_17_32_kernelILj20EfiifffEEvT2_20rocsparse_direction_NS_24const_host_device_scalarIT0_EES1_PKS1_PKT1_SA_S7_PKT3_PKT4_S5_PT5_21rocsparse_index_base_b,"axG",@progbits,_ZN9rocsparseL20bsrxmvn_17_32_kernelILj20EfiifffEEvT2_20rocsparse_direction_NS_24const_host_device_scalarIT0_EES1_PKS1_PKT1_SA_S7_PKT3_PKT4_S5_PT5_21rocsparse_index_base_b,comdat
	.globl	_ZN9rocsparseL20bsrxmvn_17_32_kernelILj20EfiifffEEvT2_20rocsparse_direction_NS_24const_host_device_scalarIT0_EES1_PKS1_PKT1_SA_S7_PKT3_PKT4_S5_PT5_21rocsparse_index_base_b ; -- Begin function _ZN9rocsparseL20bsrxmvn_17_32_kernelILj20EfiifffEEvT2_20rocsparse_direction_NS_24const_host_device_scalarIT0_EES1_PKS1_PKT1_SA_S7_PKT3_PKT4_S5_PT5_21rocsparse_index_base_b
	.p2align	8
	.type	_ZN9rocsparseL20bsrxmvn_17_32_kernelILj20EfiifffEEvT2_20rocsparse_direction_NS_24const_host_device_scalarIT0_EES1_PKS1_PKT1_SA_S7_PKT3_PKT4_S5_PT5_21rocsparse_index_base_b,@function
_ZN9rocsparseL20bsrxmvn_17_32_kernelILj20EfiifffEEvT2_20rocsparse_direction_NS_24const_host_device_scalarIT0_EES1_PKS1_PKT1_SA_S7_PKT3_PKT4_S5_PT5_21rocsparse_index_base_b: ; @_ZN9rocsparseL20bsrxmvn_17_32_kernelILj20EfiifffEEvT2_20rocsparse_direction_NS_24const_host_device_scalarIT0_EES1_PKS1_PKT1_SA_S7_PKT3_PKT4_S5_PT5_21rocsparse_index_base_b
; %bb.0:
	s_load_dwordx2 s[14:15], s[4:5], 0x58
	s_load_dwordx2 s[10:11], s[4:5], 0x8
	;; [unrolled: 1-line block ×3, first 2 shown]
	s_waitcnt lgkmcnt(0)
	s_bitcmp1_b32 s15, 0
	s_cselect_b64 s[2:3], -1, 0
	s_xor_b64 s[0:1], s[2:3], -1
	s_and_b64 vcc, exec, s[2:3]
	s_cbranch_vccnz .LBB3_2
; %bb.1:
	s_load_dword s10, s[10:11], 0x0
.LBB3_2:
	s_andn2_b64 vcc, exec, s[0:1]
	s_cbranch_vccnz .LBB3_4
; %bb.3:
	s_load_dword s8, s[8:9], 0x0
.LBB3_4:
	s_waitcnt lgkmcnt(0)
	v_cmp_neq_f32_e64 s[0:1], s10, 0
	v_cmp_neq_f32_e64 s[2:3], s8, 1.0
	s_or_b64 s[0:1], s[0:1], s[2:3]
	s_andn2_b64 vcc, exec, s[0:1]
	s_cbranch_vccnz .LBB3_40
; %bb.5:
	s_load_dwordx4 s[0:3], s[4:5], 0x18
	s_load_dwordx2 s[18:19], s[4:5], 0x28
	s_waitcnt lgkmcnt(0)
	s_cmp_eq_u64 s[0:1], 0
	s_cbranch_scc1 .LBB3_7
; %bb.6:
	s_ashr_i32 s7, s6, 31
	s_lshl_b64 s[6:7], s[6:7], 2
	s_add_u32 s0, s0, s6
	s_addc_u32 s1, s1, s7
	s_load_dword s0, s[0:1], 0x0
	s_waitcnt lgkmcnt(0)
	s_sub_i32 s6, s0, s14
.LBB3_7:
	s_load_dword s0, s[4:5], 0x4
	s_load_dwordx2 s[12:13], s[4:5], 0x50
	v_mul_u32_u24_e32 v1, 0xccd, v0
	v_mov_b32_e32 v2, 20
	v_mul_lo_u16_sdwa v3, v1, v2 dst_sel:DWORD dst_unused:UNUSED_PAD src0_sel:WORD_1 src1_sel:DWORD
	s_waitcnt lgkmcnt(0)
	s_cmp_eq_u32 s0, 1
	s_cselect_b64 vcc, -1, 0
	s_cmp_lg_u32 s0, 1
	s_cselect_b64 s[16:17], -1, 0
	s_ashr_i32 s7, s6, 31
	s_lshl_b64 s[0:1], s[6:7], 2
	s_add_u32 s2, s2, s0
	s_addc_u32 s3, s3, s1
	s_load_dword s7, s[2:3], 0x0
	s_add_u32 s2, s2, 4
	s_addc_u32 s3, s3, 0
	s_add_u32 s0, s18, s0
	s_addc_u32 s1, s19, s1
	s_cmp_eq_u64 s[18:19], 0
	s_cselect_b32 s1, s3, s1
	s_cselect_b32 s0, s2, s0
	s_load_dword s9, s[0:1], 0x0
	v_sub_u16_e32 v8, v0, v3
	v_mov_b32_e32 v7, 0
	v_lshlrev_b32_e32 v6, 2, v0
	s_waitcnt lgkmcnt(0)
	s_cmp_ge_i32 s7, s9
	s_cbranch_scc1 .LBB3_12
; %bb.8:
	s_load_dwordx4 s[0:3], s[4:5], 0x30
	s_load_dwordx2 s[18:19], s[4:5], 0x40
	v_mov_b32_e32 v3, 13
	v_mul_lo_u16_sdwa v3, v1, v3 dst_sel:DWORD dst_unused:UNUSED_PAD src0_sel:WORD_1 src1_sel:DWORD
	s_sub_i32 s5, s7, s14
	s_sub_i32 s4, s9, s14
	v_mul_lo_u16_sdwa v2, v3, v2 dst_sel:DWORD dst_unused:UNUSED_PAD src0_sel:BYTE_1 src1_sel:DWORD
	s_mul_i32 s9, s5, 0x640
	v_sub_u16_sdwa v1, v1, v2 dst_sel:DWORD dst_unused:UNUSED_PAD src0_sel:WORD_1 src1_sel:DWORD
	s_mul_hi_i32 s7, s5, 0x640
	s_waitcnt lgkmcnt(0)
	s_add_u32 s2, s2, s9
	v_and_b32_e32 v1, 0xff, v1
	s_addc_u32 s3, s3, s7
	v_cndmask_b32_e32 v1, v8, v1, vcc
	v_mov_b32_e32 v3, s3
	v_add_co_u32_e32 v2, vcc, s2, v6
	s_movk_i32 s2, 0xa4
	v_mov_b32_e32 v7, 0
	v_addc_co_u32_e32 v3, vcc, 0, v3, vcc
	v_mul_u32_u24_sdwa v9, v0, s2 dst_sel:DWORD dst_unused:UNUSED_PAD src0_sel:WORD_0 src1_sel:DWORD
	s_branch .LBB3_10
.LBB3_9:                                ;   in Loop: Header=BB3_10 Depth=1
	s_or_b64 exec, exec, s[2:3]
	s_add_i32 s5, s5, 1
	s_cmp_lt_i32 s5, s4
	s_cbranch_scc0 .LBB3_12
.LBB3_10:                               ; =>This Inner Loop Header: Depth=1
	v_add_u32_sdwa v4, v9, s5 dst_sel:DWORD dst_unused:UNUSED_PAD src0_sel:WORD_1 src1_sel:DWORD
	v_cmp_gt_i32_e32 vcc, s4, v4
	s_and_saveexec_b64 s[2:3], vcc
	s_cbranch_execz .LBB3_9
; %bb.11:                               ;   in Loop: Header=BB3_10 Depth=1
	v_ashrrev_i32_e32 v5, 31, v4
	v_lshlrev_b64 v[4:5], 2, v[4:5]
	v_mov_b32_e32 v10, s1
	v_add_co_u32_e32 v4, vcc, s0, v4
	v_addc_co_u32_e32 v5, vcc, v10, v5, vcc
	global_load_dword v4, v[4:5], off
	v_mov_b32_e32 v11, s19
	global_load_dword v10, v[2:3], off
	s_waitcnt vmcnt(1)
	v_subrev_u32_e32 v4, s14, v4
	v_mad_u64_u32 v[4:5], s[20:21], v4, 20, v[1:2]
	v_ashrrev_i32_e32 v5, 31, v4
	v_lshlrev_b64 v[4:5], 2, v[4:5]
	v_add_co_u32_e32 v4, vcc, s18, v4
	v_addc_co_u32_e32 v5, vcc, v11, v5, vcc
	global_load_dword v4, v[4:5], off
	v_add_co_u32_e32 v2, vcc, 0x640, v2
	v_addc_co_u32_e32 v3, vcc, 0, v3, vcc
	s_waitcnt vmcnt(0)
	v_fmac_f32_e32 v7, v10, v4
	s_branch .LBB3_9
.LBB3_12:
	s_and_b64 vcc, exec, s[16:17]
	ds_write_b32 v6, v7
	s_waitcnt lgkmcnt(0)
	s_barrier
	s_cbranch_vccz .LBB3_24
; %bb.13:
	v_cmp_gt_u16_e32 vcc, 4, v8
	s_and_saveexec_b64 s[0:1], vcc
	s_cbranch_execz .LBB3_15
; %bb.14:
	ds_read2_b32 v[1:2], v6 offset1:16
	s_waitcnt lgkmcnt(0)
	v_add_f32_e32 v1, v2, v1
	ds_write_b32 v6, v1
.LBB3_15:
	s_or_b64 exec, exec, s[0:1]
	v_cmp_gt_u16_e64 s[0:1], 8, v8
	s_waitcnt lgkmcnt(0)
	s_barrier
	s_and_saveexec_b64 s[2:3], s[0:1]
	s_cbranch_execz .LBB3_17
; %bb.16:
	ds_read2_b32 v[1:2], v6 offset1:8
	s_waitcnt lgkmcnt(0)
	v_add_f32_e32 v1, v2, v1
	ds_write_b32 v6, v1
.LBB3_17:
	s_or_b64 exec, exec, s[2:3]
	s_waitcnt lgkmcnt(0)
	s_barrier
	s_and_saveexec_b64 s[0:1], vcc
	s_cbranch_execz .LBB3_19
; %bb.18:
	ds_read2_b32 v[1:2], v6 offset1:4
	s_waitcnt lgkmcnt(0)
	v_add_f32_e32 v1, v2, v1
	ds_write_b32 v6, v1
.LBB3_19:
	s_or_b64 exec, exec, s[0:1]
	v_cmp_gt_u16_e32 vcc, 2, v8
	s_waitcnt lgkmcnt(0)
	s_barrier
	s_and_saveexec_b64 s[0:1], vcc
	s_cbranch_execz .LBB3_21
; %bb.20:
	ds_read2_b32 v[1:2], v6 offset1:2
	s_waitcnt lgkmcnt(0)
	v_add_f32_e32 v1, v2, v1
	ds_write_b32 v6, v1
.LBB3_21:
	s_or_b64 exec, exec, s[0:1]
	v_cmp_gt_u32_e32 vcc, 20, v0
	v_mov_b32_e32 v1, v7
	s_waitcnt lgkmcnt(0)
	s_barrier
	s_and_saveexec_b64 s[0:1], vcc
	s_cbranch_execz .LBB3_23
; %bb.22:
	s_movk_i32 s2, 0x4c
	v_mad_u32_u24 v1, v0, s2, v6
	ds_read_b64 v[1:2], v1
	s_waitcnt lgkmcnt(0)
	v_add_f32_e32 v1, v1, v2
.LBB3_23:
	s_or_b64 exec, exec, s[0:1]
	s_branch .LBB3_36
.LBB3_24:
                                        ; implicit-def: $vgpr1
	s_cbranch_execz .LBB3_36
; %bb.25:
	s_movk_i32 s0, 0x50
	v_cmp_gt_u32_e32 vcc, s0, v0
	s_and_saveexec_b64 s[0:1], vcc
	s_cbranch_execz .LBB3_27
; %bb.26:
	ds_read2st64_b32 v[1:2], v6 offset1:5
	s_waitcnt lgkmcnt(0)
	v_add_f32_e32 v1, v2, v1
	ds_write_b32 v6, v1
.LBB3_27:
	s_or_b64 exec, exec, s[0:1]
	s_movk_i32 s0, 0xa0
	v_cmp_gt_u32_e64 s[0:1], s0, v0
	s_waitcnt lgkmcnt(0)
	s_barrier
	s_and_saveexec_b64 s[2:3], s[0:1]
	s_cbranch_execz .LBB3_29
; %bb.28:
	ds_read2_b32 v[1:2], v6 offset1:160
	s_waitcnt lgkmcnt(0)
	v_add_f32_e32 v1, v2, v1
	ds_write_b32 v6, v1
.LBB3_29:
	s_or_b64 exec, exec, s[2:3]
	s_waitcnt lgkmcnt(0)
	s_barrier
	s_and_saveexec_b64 s[0:1], vcc
	s_cbranch_execz .LBB3_31
; %bb.30:
	ds_read2_b32 v[1:2], v6 offset1:80
	s_waitcnt lgkmcnt(0)
	v_add_f32_e32 v1, v2, v1
	ds_write_b32 v6, v1
.LBB3_31:
	s_or_b64 exec, exec, s[0:1]
	v_cmp_gt_u32_e32 vcc, 40, v0
	s_waitcnt lgkmcnt(0)
	s_barrier
	s_and_saveexec_b64 s[0:1], vcc
	s_cbranch_execz .LBB3_33
; %bb.32:
	ds_read2_b32 v[1:2], v6 offset1:40
	s_waitcnt lgkmcnt(0)
	v_add_f32_e32 v1, v2, v1
	ds_write_b32 v6, v1
.LBB3_33:
	s_or_b64 exec, exec, s[0:1]
	v_cmp_gt_u32_e32 vcc, 20, v0
	s_waitcnt lgkmcnt(0)
	s_and_saveexec_b64 s[0:1], vcc
	s_cbranch_execz .LBB3_35
; %bb.34:
	ds_read2_b32 v[1:2], v6 offset1:20
	s_waitcnt lgkmcnt(0)
	v_add_f32_e32 v7, v1, v2
.LBB3_35:
	s_or_b64 exec, exec, s[0:1]
	v_mov_b32_e32 v1, v7
.LBB3_36:
	v_cmp_gt_u32_e32 vcc, 20, v0
	s_and_saveexec_b64 s[0:1], vcc
	s_cbranch_execz .LBB3_40
; %bb.37:
	v_cmp_eq_f32_e64 s[0:1], s8, 0
	s_and_b64 vcc, exec, s[0:1]
	v_mul_f32_e32 v1, s10, v1
	s_cbranch_vccz .LBB3_41
; %bb.38:
	v_mad_u64_u32 v[2:3], s[0:1], s6, 20, v[0:1]
	v_mov_b32_e32 v3, 0
	v_mov_b32_e32 v4, s13
	v_lshlrev_b64 v[2:3], 2, v[2:3]
	v_add_co_u32_e32 v2, vcc, s12, v2
	v_addc_co_u32_e32 v3, vcc, v4, v3, vcc
	global_store_dword v[2:3], v1, off
	s_cbranch_execnz .LBB3_40
.LBB3_39:
	v_mad_u64_u32 v[2:3], s[0:1], s6, 20, v[0:1]
	v_mov_b32_e32 v3, 0
	v_mov_b32_e32 v0, s13
	v_lshlrev_b64 v[2:3], 2, v[2:3]
	v_add_co_u32_e32 v2, vcc, s12, v2
	v_addc_co_u32_e32 v3, vcc, v0, v3, vcc
	global_load_dword v0, v[2:3], off
	s_waitcnt vmcnt(0)
	v_fmac_f32_e32 v1, s8, v0
	global_store_dword v[2:3], v1, off
.LBB3_40:
	s_endpgm
.LBB3_41:
	s_branch .LBB3_39
	.section	.rodata,"a",@progbits
	.p2align	6, 0x0
	.amdhsa_kernel _ZN9rocsparseL20bsrxmvn_17_32_kernelILj20EfiifffEEvT2_20rocsparse_direction_NS_24const_host_device_scalarIT0_EES1_PKS1_PKT1_SA_S7_PKT3_PKT4_S5_PT5_21rocsparse_index_base_b
		.amdhsa_group_segment_fixed_size 1600
		.amdhsa_private_segment_fixed_size 0
		.amdhsa_kernarg_size 96
		.amdhsa_user_sgpr_count 6
		.amdhsa_user_sgpr_private_segment_buffer 1
		.amdhsa_user_sgpr_dispatch_ptr 0
		.amdhsa_user_sgpr_queue_ptr 0
		.amdhsa_user_sgpr_kernarg_segment_ptr 1
		.amdhsa_user_sgpr_dispatch_id 0
		.amdhsa_user_sgpr_flat_scratch_init 0
		.amdhsa_user_sgpr_private_segment_size 0
		.amdhsa_uses_dynamic_stack 0
		.amdhsa_system_sgpr_private_segment_wavefront_offset 0
		.amdhsa_system_sgpr_workgroup_id_x 1
		.amdhsa_system_sgpr_workgroup_id_y 0
		.amdhsa_system_sgpr_workgroup_id_z 0
		.amdhsa_system_sgpr_workgroup_info 0
		.amdhsa_system_vgpr_workitem_id 0
		.amdhsa_next_free_vgpr 12
		.amdhsa_next_free_sgpr 22
		.amdhsa_reserve_vcc 1
		.amdhsa_reserve_flat_scratch 0
		.amdhsa_float_round_mode_32 0
		.amdhsa_float_round_mode_16_64 0
		.amdhsa_float_denorm_mode_32 3
		.amdhsa_float_denorm_mode_16_64 3
		.amdhsa_dx10_clamp 1
		.amdhsa_ieee_mode 1
		.amdhsa_fp16_overflow 0
		.amdhsa_exception_fp_ieee_invalid_op 0
		.amdhsa_exception_fp_denorm_src 0
		.amdhsa_exception_fp_ieee_div_zero 0
		.amdhsa_exception_fp_ieee_overflow 0
		.amdhsa_exception_fp_ieee_underflow 0
		.amdhsa_exception_fp_ieee_inexact 0
		.amdhsa_exception_int_div_zero 0
	.end_amdhsa_kernel
	.section	.text._ZN9rocsparseL20bsrxmvn_17_32_kernelILj20EfiifffEEvT2_20rocsparse_direction_NS_24const_host_device_scalarIT0_EES1_PKS1_PKT1_SA_S7_PKT3_PKT4_S5_PT5_21rocsparse_index_base_b,"axG",@progbits,_ZN9rocsparseL20bsrxmvn_17_32_kernelILj20EfiifffEEvT2_20rocsparse_direction_NS_24const_host_device_scalarIT0_EES1_PKS1_PKT1_SA_S7_PKT3_PKT4_S5_PT5_21rocsparse_index_base_b,comdat
.Lfunc_end3:
	.size	_ZN9rocsparseL20bsrxmvn_17_32_kernelILj20EfiifffEEvT2_20rocsparse_direction_NS_24const_host_device_scalarIT0_EES1_PKS1_PKT1_SA_S7_PKT3_PKT4_S5_PT5_21rocsparse_index_base_b, .Lfunc_end3-_ZN9rocsparseL20bsrxmvn_17_32_kernelILj20EfiifffEEvT2_20rocsparse_direction_NS_24const_host_device_scalarIT0_EES1_PKS1_PKT1_SA_S7_PKT3_PKT4_S5_PT5_21rocsparse_index_base_b
                                        ; -- End function
	.set _ZN9rocsparseL20bsrxmvn_17_32_kernelILj20EfiifffEEvT2_20rocsparse_direction_NS_24const_host_device_scalarIT0_EES1_PKS1_PKT1_SA_S7_PKT3_PKT4_S5_PT5_21rocsparse_index_base_b.num_vgpr, 12
	.set _ZN9rocsparseL20bsrxmvn_17_32_kernelILj20EfiifffEEvT2_20rocsparse_direction_NS_24const_host_device_scalarIT0_EES1_PKS1_PKT1_SA_S7_PKT3_PKT4_S5_PT5_21rocsparse_index_base_b.num_agpr, 0
	.set _ZN9rocsparseL20bsrxmvn_17_32_kernelILj20EfiifffEEvT2_20rocsparse_direction_NS_24const_host_device_scalarIT0_EES1_PKS1_PKT1_SA_S7_PKT3_PKT4_S5_PT5_21rocsparse_index_base_b.numbered_sgpr, 22
	.set _ZN9rocsparseL20bsrxmvn_17_32_kernelILj20EfiifffEEvT2_20rocsparse_direction_NS_24const_host_device_scalarIT0_EES1_PKS1_PKT1_SA_S7_PKT3_PKT4_S5_PT5_21rocsparse_index_base_b.num_named_barrier, 0
	.set _ZN9rocsparseL20bsrxmvn_17_32_kernelILj20EfiifffEEvT2_20rocsparse_direction_NS_24const_host_device_scalarIT0_EES1_PKS1_PKT1_SA_S7_PKT3_PKT4_S5_PT5_21rocsparse_index_base_b.private_seg_size, 0
	.set _ZN9rocsparseL20bsrxmvn_17_32_kernelILj20EfiifffEEvT2_20rocsparse_direction_NS_24const_host_device_scalarIT0_EES1_PKS1_PKT1_SA_S7_PKT3_PKT4_S5_PT5_21rocsparse_index_base_b.uses_vcc, 1
	.set _ZN9rocsparseL20bsrxmvn_17_32_kernelILj20EfiifffEEvT2_20rocsparse_direction_NS_24const_host_device_scalarIT0_EES1_PKS1_PKT1_SA_S7_PKT3_PKT4_S5_PT5_21rocsparse_index_base_b.uses_flat_scratch, 0
	.set _ZN9rocsparseL20bsrxmvn_17_32_kernelILj20EfiifffEEvT2_20rocsparse_direction_NS_24const_host_device_scalarIT0_EES1_PKS1_PKT1_SA_S7_PKT3_PKT4_S5_PT5_21rocsparse_index_base_b.has_dyn_sized_stack, 0
	.set _ZN9rocsparseL20bsrxmvn_17_32_kernelILj20EfiifffEEvT2_20rocsparse_direction_NS_24const_host_device_scalarIT0_EES1_PKS1_PKT1_SA_S7_PKT3_PKT4_S5_PT5_21rocsparse_index_base_b.has_recursion, 0
	.set _ZN9rocsparseL20bsrxmvn_17_32_kernelILj20EfiifffEEvT2_20rocsparse_direction_NS_24const_host_device_scalarIT0_EES1_PKS1_PKT1_SA_S7_PKT3_PKT4_S5_PT5_21rocsparse_index_base_b.has_indirect_call, 0
	.section	.AMDGPU.csdata,"",@progbits
; Kernel info:
; codeLenInByte = 1220
; TotalNumSgprs: 26
; NumVgprs: 12
; ScratchSize: 0
; MemoryBound: 0
; FloatMode: 240
; IeeeMode: 1
; LDSByteSize: 1600 bytes/workgroup (compile time only)
; SGPRBlocks: 3
; VGPRBlocks: 2
; NumSGPRsForWavesPerEU: 26
; NumVGPRsForWavesPerEU: 12
; Occupancy: 10
; WaveLimiterHint : 1
; COMPUTE_PGM_RSRC2:SCRATCH_EN: 0
; COMPUTE_PGM_RSRC2:USER_SGPR: 6
; COMPUTE_PGM_RSRC2:TRAP_HANDLER: 0
; COMPUTE_PGM_RSRC2:TGID_X_EN: 1
; COMPUTE_PGM_RSRC2:TGID_Y_EN: 0
; COMPUTE_PGM_RSRC2:TGID_Z_EN: 0
; COMPUTE_PGM_RSRC2:TIDIG_COMP_CNT: 0
	.section	.text._ZN9rocsparseL20bsrxmvn_17_32_kernelILj21EfiifffEEvT2_20rocsparse_direction_NS_24const_host_device_scalarIT0_EES1_PKS1_PKT1_SA_S7_PKT3_PKT4_S5_PT5_21rocsparse_index_base_b,"axG",@progbits,_ZN9rocsparseL20bsrxmvn_17_32_kernelILj21EfiifffEEvT2_20rocsparse_direction_NS_24const_host_device_scalarIT0_EES1_PKS1_PKT1_SA_S7_PKT3_PKT4_S5_PT5_21rocsparse_index_base_b,comdat
	.globl	_ZN9rocsparseL20bsrxmvn_17_32_kernelILj21EfiifffEEvT2_20rocsparse_direction_NS_24const_host_device_scalarIT0_EES1_PKS1_PKT1_SA_S7_PKT3_PKT4_S5_PT5_21rocsparse_index_base_b ; -- Begin function _ZN9rocsparseL20bsrxmvn_17_32_kernelILj21EfiifffEEvT2_20rocsparse_direction_NS_24const_host_device_scalarIT0_EES1_PKS1_PKT1_SA_S7_PKT3_PKT4_S5_PT5_21rocsparse_index_base_b
	.p2align	8
	.type	_ZN9rocsparseL20bsrxmvn_17_32_kernelILj21EfiifffEEvT2_20rocsparse_direction_NS_24const_host_device_scalarIT0_EES1_PKS1_PKT1_SA_S7_PKT3_PKT4_S5_PT5_21rocsparse_index_base_b,@function
_ZN9rocsparseL20bsrxmvn_17_32_kernelILj21EfiifffEEvT2_20rocsparse_direction_NS_24const_host_device_scalarIT0_EES1_PKS1_PKT1_SA_S7_PKT3_PKT4_S5_PT5_21rocsparse_index_base_b: ; @_ZN9rocsparseL20bsrxmvn_17_32_kernelILj21EfiifffEEvT2_20rocsparse_direction_NS_24const_host_device_scalarIT0_EES1_PKS1_PKT1_SA_S7_PKT3_PKT4_S5_PT5_21rocsparse_index_base_b
; %bb.0:
	s_load_dwordx2 s[14:15], s[4:5], 0x58
	s_load_dwordx2 s[10:11], s[4:5], 0x8
	;; [unrolled: 1-line block ×3, first 2 shown]
	s_waitcnt lgkmcnt(0)
	s_bitcmp1_b32 s15, 0
	s_cselect_b64 s[2:3], -1, 0
	s_xor_b64 s[0:1], s[2:3], -1
	s_and_b64 vcc, exec, s[2:3]
	s_cbranch_vccnz .LBB4_2
; %bb.1:
	s_load_dword s10, s[10:11], 0x0
.LBB4_2:
	s_andn2_b64 vcc, exec, s[0:1]
	s_cbranch_vccnz .LBB4_4
; %bb.3:
	s_load_dword s8, s[8:9], 0x0
.LBB4_4:
	s_waitcnt lgkmcnt(0)
	v_cmp_neq_f32_e64 s[0:1], s10, 0
	v_cmp_neq_f32_e64 s[2:3], s8, 1.0
	s_or_b64 s[0:1], s[0:1], s[2:3]
	s_andn2_b64 vcc, exec, s[0:1]
	s_cbranch_vccnz .LBB4_40
; %bb.5:
	s_load_dwordx4 s[0:3], s[4:5], 0x18
	s_load_dwordx2 s[18:19], s[4:5], 0x28
	s_waitcnt lgkmcnt(0)
	s_cmp_eq_u64 s[0:1], 0
	s_cbranch_scc1 .LBB4_7
; %bb.6:
	s_ashr_i32 s7, s6, 31
	s_lshl_b64 s[6:7], s[6:7], 2
	s_add_u32 s0, s0, s6
	s_addc_u32 s1, s1, s7
	s_load_dword s0, s[0:1], 0x0
	s_waitcnt lgkmcnt(0)
	s_sub_i32 s6, s0, s14
.LBB4_7:
	s_load_dword s0, s[4:5], 0x4
	s_load_dwordx2 s[12:13], s[4:5], 0x50
	v_mul_u32_u24_e32 v1, 0xc31, v0
	v_mov_b32_e32 v2, 21
	v_mul_lo_u16_sdwa v2, v1, v2 dst_sel:DWORD dst_unused:UNUSED_PAD src0_sel:WORD_1 src1_sel:DWORD
	s_waitcnt lgkmcnt(0)
	s_cmp_eq_u32 s0, 1
	s_cselect_b64 vcc, -1, 0
	s_cmp_lg_u32 s0, 1
	s_cselect_b64 s[16:17], -1, 0
	s_ashr_i32 s7, s6, 31
	s_lshl_b64 s[0:1], s[6:7], 2
	s_add_u32 s2, s2, s0
	s_addc_u32 s3, s3, s1
	s_load_dword s7, s[2:3], 0x0
	s_add_u32 s2, s2, 4
	s_addc_u32 s3, s3, 0
	s_add_u32 s0, s18, s0
	s_addc_u32 s1, s19, s1
	s_cmp_eq_u64 s[18:19], 0
	s_cselect_b32 s1, s3, s1
	s_cselect_b32 s0, s2, s0
	s_load_dword s9, s[0:1], 0x0
	v_sub_u16_e32 v8, v0, v2
	v_mov_b32_e32 v7, 0
	v_lshlrev_b32_e32 v6, 2, v0
	s_waitcnt lgkmcnt(0)
	s_cmp_ge_i32 s7, s9
	s_cbranch_scc1 .LBB4_12
; %bb.8:
	v_mov_b32_e32 v2, 25
	s_load_dwordx4 s[0:3], s[4:5], 0x30
	s_load_dwordx2 s[18:19], s[4:5], 0x40
	v_mul_lo_u16_sdwa v2, v1, v2 dst_sel:DWORD dst_unused:UNUSED_PAD src0_sel:WORD_1 src1_sel:DWORD
	v_lshrrev_b16_e32 v2, 9, v2
	v_mul_lo_u16_e32 v2, 21, v2
	s_sub_i32 s5, s7, s14
	s_sub_i32 s4, s9, s14
	v_sub_u16_sdwa v1, v1, v2 dst_sel:DWORD dst_unused:UNUSED_PAD src0_sel:WORD_1 src1_sel:DWORD
	s_mul_i32 s9, s5, 0x6e4
	v_and_b32_e32 v1, 0xff, v1
	s_mul_hi_i32 s7, s5, 0x6e4
	s_waitcnt lgkmcnt(0)
	s_add_u32 s2, s2, s9
	v_cndmask_b32_e32 v1, v8, v1, vcc
	s_addc_u32 s3, s3, s7
	v_add_co_u32_e32 v2, vcc, s2, v6
	s_movk_i32 s2, 0x253
	v_mov_b32_e32 v3, s3
	v_mul_u32_u24_sdwa v4, v0, s2 dst_sel:DWORD dst_unused:UNUSED_PAD src0_sel:WORD_0 src1_sel:DWORD
	v_mov_b32_e32 v7, 0
	v_addc_co_u32_e32 v3, vcc, 0, v3, vcc
	v_lshrrev_b32_e32 v9, 18, v4
	s_branch .LBB4_10
.LBB4_9:                                ;   in Loop: Header=BB4_10 Depth=1
	s_or_b64 exec, exec, s[2:3]
	s_add_i32 s5, s5, 1
	s_cmp_lt_i32 s5, s4
	s_cbranch_scc0 .LBB4_12
.LBB4_10:                               ; =>This Inner Loop Header: Depth=1
	v_add_u32_e32 v4, s5, v9
	v_cmp_gt_i32_e32 vcc, s4, v4
	s_and_saveexec_b64 s[2:3], vcc
	s_cbranch_execz .LBB4_9
; %bb.11:                               ;   in Loop: Header=BB4_10 Depth=1
	v_ashrrev_i32_e32 v5, 31, v4
	v_lshlrev_b64 v[4:5], 2, v[4:5]
	v_mov_b32_e32 v10, s1
	v_add_co_u32_e32 v4, vcc, s0, v4
	v_addc_co_u32_e32 v5, vcc, v10, v5, vcc
	global_load_dword v4, v[4:5], off
	v_mov_b32_e32 v11, s19
	global_load_dword v10, v[2:3], off
	s_waitcnt vmcnt(1)
	v_subrev_u32_e32 v4, s14, v4
	v_mad_u64_u32 v[4:5], s[20:21], v4, 21, v[1:2]
	v_ashrrev_i32_e32 v5, 31, v4
	v_lshlrev_b64 v[4:5], 2, v[4:5]
	v_add_co_u32_e32 v4, vcc, s18, v4
	v_addc_co_u32_e32 v5, vcc, v11, v5, vcc
	global_load_dword v4, v[4:5], off
	v_add_co_u32_e32 v2, vcc, 0x6e4, v2
	v_addc_co_u32_e32 v3, vcc, 0, v3, vcc
	s_waitcnt vmcnt(0)
	v_fmac_f32_e32 v7, v10, v4
	s_branch .LBB4_9
.LBB4_12:
	s_and_b64 vcc, exec, s[16:17]
	ds_write_b32 v6, v7
	s_waitcnt lgkmcnt(0)
	s_barrier
	s_cbranch_vccz .LBB4_24
; %bb.13:
	v_cmp_gt_u16_e32 vcc, 5, v8
	s_and_saveexec_b64 s[0:1], vcc
	s_cbranch_execz .LBB4_15
; %bb.14:
	ds_read2_b32 v[1:2], v6 offset1:16
	s_waitcnt lgkmcnt(0)
	v_add_f32_e32 v1, v2, v1
	ds_write_b32 v6, v1
.LBB4_15:
	s_or_b64 exec, exec, s[0:1]
	v_cmp_gt_u16_e32 vcc, 8, v8
	s_waitcnt lgkmcnt(0)
	s_barrier
	s_and_saveexec_b64 s[0:1], vcc
	s_cbranch_execz .LBB4_17
; %bb.16:
	ds_read2_b32 v[1:2], v6 offset1:8
	s_waitcnt lgkmcnt(0)
	v_add_f32_e32 v1, v2, v1
	ds_write_b32 v6, v1
.LBB4_17:
	s_or_b64 exec, exec, s[0:1]
	v_cmp_gt_u16_e32 vcc, 4, v8
	s_waitcnt lgkmcnt(0)
	s_barrier
	;; [unrolled: 12-line block ×3, first 2 shown]
	s_and_saveexec_b64 s[0:1], vcc
	s_cbranch_execz .LBB4_21
; %bb.20:
	ds_read2_b32 v[1:2], v6 offset1:2
	s_waitcnt lgkmcnt(0)
	v_add_f32_e32 v1, v2, v1
	ds_write_b32 v6, v1
.LBB4_21:
	s_or_b64 exec, exec, s[0:1]
	v_cmp_gt_u32_e32 vcc, 21, v0
	v_mov_b32_e32 v1, v7
	s_waitcnt lgkmcnt(0)
	s_barrier
	s_and_saveexec_b64 s[0:1], vcc
	s_cbranch_execz .LBB4_23
; %bb.22:
	s_movk_i32 s2, 0x50
	v_mad_u32_u24 v1, v0, s2, v6
	ds_read2_b32 v[1:2], v1 offset1:1
	s_waitcnt lgkmcnt(0)
	v_add_f32_e32 v1, v1, v2
.LBB4_23:
	s_or_b64 exec, exec, s[0:1]
	s_branch .LBB4_36
.LBB4_24:
                                        ; implicit-def: $vgpr1
	s_cbranch_execz .LBB4_36
; %bb.25:
	s_movk_i32 s0, 0x69
	v_cmp_gt_u32_e32 vcc, s0, v0
	s_and_saveexec_b64 s[0:1], vcc
	s_cbranch_execz .LBB4_27
; %bb.26:
	ds_read_b32 v1, v6 offset:1344
	ds_read_b32 v2, v6
	s_waitcnt lgkmcnt(0)
	v_add_f32_e32 v1, v1, v2
	ds_write_b32 v6, v1
.LBB4_27:
	s_or_b64 exec, exec, s[0:1]
	s_movk_i32 s0, 0xa8
	v_cmp_gt_u32_e32 vcc, s0, v0
	s_waitcnt lgkmcnt(0)
	s_barrier
	s_and_saveexec_b64 s[0:1], vcc
	s_cbranch_execz .LBB4_29
; %bb.28:
	ds_read2_b32 v[1:2], v6 offset1:168
	s_waitcnt lgkmcnt(0)
	v_add_f32_e32 v1, v2, v1
	ds_write_b32 v6, v1
.LBB4_29:
	s_or_b64 exec, exec, s[0:1]
	s_movk_i32 s0, 0x54
	v_cmp_gt_u32_e32 vcc, s0, v0
	s_waitcnt lgkmcnt(0)
	s_barrier
	s_and_saveexec_b64 s[0:1], vcc
	s_cbranch_execz .LBB4_31
; %bb.30:
	ds_read2_b32 v[1:2], v6 offset1:84
	s_waitcnt lgkmcnt(0)
	v_add_f32_e32 v1, v2, v1
	ds_write_b32 v6, v1
.LBB4_31:
	s_or_b64 exec, exec, s[0:1]
	v_cmp_gt_u32_e32 vcc, 42, v0
	s_waitcnt lgkmcnt(0)
	s_barrier
	s_and_saveexec_b64 s[0:1], vcc
	s_cbranch_execz .LBB4_33
; %bb.32:
	ds_read2_b32 v[1:2], v6 offset1:42
	s_waitcnt lgkmcnt(0)
	v_add_f32_e32 v1, v2, v1
	ds_write_b32 v6, v1
.LBB4_33:
	s_or_b64 exec, exec, s[0:1]
	v_cmp_gt_u32_e32 vcc, 21, v0
	s_waitcnt lgkmcnt(0)
	s_and_saveexec_b64 s[0:1], vcc
	s_cbranch_execz .LBB4_35
; %bb.34:
	ds_read2_b32 v[1:2], v6 offset1:21
	s_waitcnt lgkmcnt(0)
	v_add_f32_e32 v7, v1, v2
.LBB4_35:
	s_or_b64 exec, exec, s[0:1]
	v_mov_b32_e32 v1, v7
.LBB4_36:
	v_cmp_gt_u32_e32 vcc, 21, v0
	s_and_saveexec_b64 s[0:1], vcc
	s_cbranch_execz .LBB4_40
; %bb.37:
	v_cmp_eq_f32_e64 s[0:1], s8, 0
	s_and_b64 vcc, exec, s[0:1]
	v_mul_f32_e32 v1, s10, v1
	s_cbranch_vccz .LBB4_41
; %bb.38:
	v_mad_u64_u32 v[2:3], s[0:1], s6, 21, v[0:1]
	v_mov_b32_e32 v3, 0
	v_mov_b32_e32 v4, s13
	v_lshlrev_b64 v[2:3], 2, v[2:3]
	v_add_co_u32_e32 v2, vcc, s12, v2
	v_addc_co_u32_e32 v3, vcc, v4, v3, vcc
	global_store_dword v[2:3], v1, off
	s_cbranch_execnz .LBB4_40
.LBB4_39:
	v_mad_u64_u32 v[2:3], s[0:1], s6, 21, v[0:1]
	v_mov_b32_e32 v3, 0
	v_mov_b32_e32 v0, s13
	v_lshlrev_b64 v[2:3], 2, v[2:3]
	v_add_co_u32_e32 v2, vcc, s12, v2
	v_addc_co_u32_e32 v3, vcc, v0, v3, vcc
	global_load_dword v0, v[2:3], off
	s_waitcnt vmcnt(0)
	v_fmac_f32_e32 v1, s8, v0
	global_store_dword v[2:3], v1, off
.LBB4_40:
	s_endpgm
.LBB4_41:
	s_branch .LBB4_39
	.section	.rodata,"a",@progbits
	.p2align	6, 0x0
	.amdhsa_kernel _ZN9rocsparseL20bsrxmvn_17_32_kernelILj21EfiifffEEvT2_20rocsparse_direction_NS_24const_host_device_scalarIT0_EES1_PKS1_PKT1_SA_S7_PKT3_PKT4_S5_PT5_21rocsparse_index_base_b
		.amdhsa_group_segment_fixed_size 1764
		.amdhsa_private_segment_fixed_size 0
		.amdhsa_kernarg_size 96
		.amdhsa_user_sgpr_count 6
		.amdhsa_user_sgpr_private_segment_buffer 1
		.amdhsa_user_sgpr_dispatch_ptr 0
		.amdhsa_user_sgpr_queue_ptr 0
		.amdhsa_user_sgpr_kernarg_segment_ptr 1
		.amdhsa_user_sgpr_dispatch_id 0
		.amdhsa_user_sgpr_flat_scratch_init 0
		.amdhsa_user_sgpr_private_segment_size 0
		.amdhsa_uses_dynamic_stack 0
		.amdhsa_system_sgpr_private_segment_wavefront_offset 0
		.amdhsa_system_sgpr_workgroup_id_x 1
		.amdhsa_system_sgpr_workgroup_id_y 0
		.amdhsa_system_sgpr_workgroup_id_z 0
		.amdhsa_system_sgpr_workgroup_info 0
		.amdhsa_system_vgpr_workitem_id 0
		.amdhsa_next_free_vgpr 12
		.amdhsa_next_free_sgpr 22
		.amdhsa_reserve_vcc 1
		.amdhsa_reserve_flat_scratch 0
		.amdhsa_float_round_mode_32 0
		.amdhsa_float_round_mode_16_64 0
		.amdhsa_float_denorm_mode_32 3
		.amdhsa_float_denorm_mode_16_64 3
		.amdhsa_dx10_clamp 1
		.amdhsa_ieee_mode 1
		.amdhsa_fp16_overflow 0
		.amdhsa_exception_fp_ieee_invalid_op 0
		.amdhsa_exception_fp_denorm_src 0
		.amdhsa_exception_fp_ieee_div_zero 0
		.amdhsa_exception_fp_ieee_overflow 0
		.amdhsa_exception_fp_ieee_underflow 0
		.amdhsa_exception_fp_ieee_inexact 0
		.amdhsa_exception_int_div_zero 0
	.end_amdhsa_kernel
	.section	.text._ZN9rocsparseL20bsrxmvn_17_32_kernelILj21EfiifffEEvT2_20rocsparse_direction_NS_24const_host_device_scalarIT0_EES1_PKS1_PKT1_SA_S7_PKT3_PKT4_S5_PT5_21rocsparse_index_base_b,"axG",@progbits,_ZN9rocsparseL20bsrxmvn_17_32_kernelILj21EfiifffEEvT2_20rocsparse_direction_NS_24const_host_device_scalarIT0_EES1_PKS1_PKT1_SA_S7_PKT3_PKT4_S5_PT5_21rocsparse_index_base_b,comdat
.Lfunc_end4:
	.size	_ZN9rocsparseL20bsrxmvn_17_32_kernelILj21EfiifffEEvT2_20rocsparse_direction_NS_24const_host_device_scalarIT0_EES1_PKS1_PKT1_SA_S7_PKT3_PKT4_S5_PT5_21rocsparse_index_base_b, .Lfunc_end4-_ZN9rocsparseL20bsrxmvn_17_32_kernelILj21EfiifffEEvT2_20rocsparse_direction_NS_24const_host_device_scalarIT0_EES1_PKS1_PKT1_SA_S7_PKT3_PKT4_S5_PT5_21rocsparse_index_base_b
                                        ; -- End function
	.set _ZN9rocsparseL20bsrxmvn_17_32_kernelILj21EfiifffEEvT2_20rocsparse_direction_NS_24const_host_device_scalarIT0_EES1_PKS1_PKT1_SA_S7_PKT3_PKT4_S5_PT5_21rocsparse_index_base_b.num_vgpr, 12
	.set _ZN9rocsparseL20bsrxmvn_17_32_kernelILj21EfiifffEEvT2_20rocsparse_direction_NS_24const_host_device_scalarIT0_EES1_PKS1_PKT1_SA_S7_PKT3_PKT4_S5_PT5_21rocsparse_index_base_b.num_agpr, 0
	.set _ZN9rocsparseL20bsrxmvn_17_32_kernelILj21EfiifffEEvT2_20rocsparse_direction_NS_24const_host_device_scalarIT0_EES1_PKS1_PKT1_SA_S7_PKT3_PKT4_S5_PT5_21rocsparse_index_base_b.numbered_sgpr, 22
	.set _ZN9rocsparseL20bsrxmvn_17_32_kernelILj21EfiifffEEvT2_20rocsparse_direction_NS_24const_host_device_scalarIT0_EES1_PKS1_PKT1_SA_S7_PKT3_PKT4_S5_PT5_21rocsparse_index_base_b.num_named_barrier, 0
	.set _ZN9rocsparseL20bsrxmvn_17_32_kernelILj21EfiifffEEvT2_20rocsparse_direction_NS_24const_host_device_scalarIT0_EES1_PKS1_PKT1_SA_S7_PKT3_PKT4_S5_PT5_21rocsparse_index_base_b.private_seg_size, 0
	.set _ZN9rocsparseL20bsrxmvn_17_32_kernelILj21EfiifffEEvT2_20rocsparse_direction_NS_24const_host_device_scalarIT0_EES1_PKS1_PKT1_SA_S7_PKT3_PKT4_S5_PT5_21rocsparse_index_base_b.uses_vcc, 1
	.set _ZN9rocsparseL20bsrxmvn_17_32_kernelILj21EfiifffEEvT2_20rocsparse_direction_NS_24const_host_device_scalarIT0_EES1_PKS1_PKT1_SA_S7_PKT3_PKT4_S5_PT5_21rocsparse_index_base_b.uses_flat_scratch, 0
	.set _ZN9rocsparseL20bsrxmvn_17_32_kernelILj21EfiifffEEvT2_20rocsparse_direction_NS_24const_host_device_scalarIT0_EES1_PKS1_PKT1_SA_S7_PKT3_PKT4_S5_PT5_21rocsparse_index_base_b.has_dyn_sized_stack, 0
	.set _ZN9rocsparseL20bsrxmvn_17_32_kernelILj21EfiifffEEvT2_20rocsparse_direction_NS_24const_host_device_scalarIT0_EES1_PKS1_PKT1_SA_S7_PKT3_PKT4_S5_PT5_21rocsparse_index_base_b.has_recursion, 0
	.set _ZN9rocsparseL20bsrxmvn_17_32_kernelILj21EfiifffEEvT2_20rocsparse_direction_NS_24const_host_device_scalarIT0_EES1_PKS1_PKT1_SA_S7_PKT3_PKT4_S5_PT5_21rocsparse_index_base_b.has_indirect_call, 0
	.section	.AMDGPU.csdata,"",@progbits
; Kernel info:
; codeLenInByte = 1232
; TotalNumSgprs: 26
; NumVgprs: 12
; ScratchSize: 0
; MemoryBound: 0
; FloatMode: 240
; IeeeMode: 1
; LDSByteSize: 1764 bytes/workgroup (compile time only)
; SGPRBlocks: 3
; VGPRBlocks: 2
; NumSGPRsForWavesPerEU: 26
; NumVGPRsForWavesPerEU: 12
; Occupancy: 10
; WaveLimiterHint : 1
; COMPUTE_PGM_RSRC2:SCRATCH_EN: 0
; COMPUTE_PGM_RSRC2:USER_SGPR: 6
; COMPUTE_PGM_RSRC2:TRAP_HANDLER: 0
; COMPUTE_PGM_RSRC2:TGID_X_EN: 1
; COMPUTE_PGM_RSRC2:TGID_Y_EN: 0
; COMPUTE_PGM_RSRC2:TGID_Z_EN: 0
; COMPUTE_PGM_RSRC2:TIDIG_COMP_CNT: 0
	.section	.text._ZN9rocsparseL20bsrxmvn_17_32_kernelILj22EfiifffEEvT2_20rocsparse_direction_NS_24const_host_device_scalarIT0_EES1_PKS1_PKT1_SA_S7_PKT3_PKT4_S5_PT5_21rocsparse_index_base_b,"axG",@progbits,_ZN9rocsparseL20bsrxmvn_17_32_kernelILj22EfiifffEEvT2_20rocsparse_direction_NS_24const_host_device_scalarIT0_EES1_PKS1_PKT1_SA_S7_PKT3_PKT4_S5_PT5_21rocsparse_index_base_b,comdat
	.globl	_ZN9rocsparseL20bsrxmvn_17_32_kernelILj22EfiifffEEvT2_20rocsparse_direction_NS_24const_host_device_scalarIT0_EES1_PKS1_PKT1_SA_S7_PKT3_PKT4_S5_PT5_21rocsparse_index_base_b ; -- Begin function _ZN9rocsparseL20bsrxmvn_17_32_kernelILj22EfiifffEEvT2_20rocsparse_direction_NS_24const_host_device_scalarIT0_EES1_PKS1_PKT1_SA_S7_PKT3_PKT4_S5_PT5_21rocsparse_index_base_b
	.p2align	8
	.type	_ZN9rocsparseL20bsrxmvn_17_32_kernelILj22EfiifffEEvT2_20rocsparse_direction_NS_24const_host_device_scalarIT0_EES1_PKS1_PKT1_SA_S7_PKT3_PKT4_S5_PT5_21rocsparse_index_base_b,@function
_ZN9rocsparseL20bsrxmvn_17_32_kernelILj22EfiifffEEvT2_20rocsparse_direction_NS_24const_host_device_scalarIT0_EES1_PKS1_PKT1_SA_S7_PKT3_PKT4_S5_PT5_21rocsparse_index_base_b: ; @_ZN9rocsparseL20bsrxmvn_17_32_kernelILj22EfiifffEEvT2_20rocsparse_direction_NS_24const_host_device_scalarIT0_EES1_PKS1_PKT1_SA_S7_PKT3_PKT4_S5_PT5_21rocsparse_index_base_b
; %bb.0:
	s_load_dwordx2 s[14:15], s[4:5], 0x58
	s_load_dwordx2 s[10:11], s[4:5], 0x8
	;; [unrolled: 1-line block ×3, first 2 shown]
	s_waitcnt lgkmcnt(0)
	s_bitcmp1_b32 s15, 0
	s_cselect_b64 s[2:3], -1, 0
	s_xor_b64 s[0:1], s[2:3], -1
	s_and_b64 vcc, exec, s[2:3]
	s_cbranch_vccnz .LBB5_2
; %bb.1:
	s_load_dword s10, s[10:11], 0x0
.LBB5_2:
	s_andn2_b64 vcc, exec, s[0:1]
	s_cbranch_vccnz .LBB5_4
; %bb.3:
	s_load_dword s8, s[8:9], 0x0
.LBB5_4:
	s_waitcnt lgkmcnt(0)
	v_cmp_neq_f32_e64 s[0:1], s10, 0
	v_cmp_neq_f32_e64 s[2:3], s8, 1.0
	s_or_b64 s[0:1], s[0:1], s[2:3]
	s_andn2_b64 vcc, exec, s[0:1]
	s_cbranch_vccnz .LBB5_40
; %bb.5:
	s_load_dwordx4 s[0:3], s[4:5], 0x18
	s_load_dwordx2 s[18:19], s[4:5], 0x28
	s_waitcnt lgkmcnt(0)
	s_cmp_eq_u64 s[0:1], 0
	s_cbranch_scc1 .LBB5_7
; %bb.6:
	s_ashr_i32 s7, s6, 31
	s_lshl_b64 s[6:7], s[6:7], 2
	s_add_u32 s0, s0, s6
	s_addc_u32 s1, s1, s7
	s_load_dword s0, s[0:1], 0x0
	s_waitcnt lgkmcnt(0)
	s_sub_i32 s6, s0, s14
.LBB5_7:
	s_load_dword s0, s[4:5], 0x4
	s_load_dwordx2 s[12:13], s[4:5], 0x50
	v_mul_u32_u24_e32 v1, 0xba3, v0
	v_mov_b32_e32 v2, 22
	v_mul_lo_u16_sdwa v3, v1, v2 dst_sel:DWORD dst_unused:UNUSED_PAD src0_sel:WORD_1 src1_sel:DWORD
	s_waitcnt lgkmcnt(0)
	s_cmp_eq_u32 s0, 1
	s_cselect_b64 vcc, -1, 0
	s_cmp_lg_u32 s0, 1
	s_cselect_b64 s[16:17], -1, 0
	s_ashr_i32 s7, s6, 31
	s_lshl_b64 s[0:1], s[6:7], 2
	s_add_u32 s2, s2, s0
	s_addc_u32 s3, s3, s1
	s_load_dword s7, s[2:3], 0x0
	s_add_u32 s2, s2, 4
	s_addc_u32 s3, s3, 0
	s_add_u32 s0, s18, s0
	s_addc_u32 s1, s19, s1
	s_cmp_eq_u64 s[18:19], 0
	s_cselect_b32 s1, s3, s1
	s_cselect_b32 s0, s2, s0
	s_load_dword s9, s[0:1], 0x0
	v_sub_u16_e32 v8, v0, v3
	v_mov_b32_e32 v7, 0
	v_lshlrev_b32_e32 v6, 2, v0
	s_waitcnt lgkmcnt(0)
	s_cmp_ge_i32 s7, s9
	s_cbranch_scc1 .LBB5_12
; %bb.8:
	s_load_dwordx4 s[0:3], s[4:5], 0x30
	s_load_dwordx2 s[18:19], s[4:5], 0x40
	v_mov_b32_e32 v3, 12
	v_mul_lo_u16_sdwa v3, v1, v3 dst_sel:DWORD dst_unused:UNUSED_PAD src0_sel:WORD_1 src1_sel:DWORD
	v_mul_lo_u16_sdwa v2, v3, v2 dst_sel:DWORD dst_unused:UNUSED_PAD src0_sel:BYTE_1 src1_sel:DWORD
	s_sub_i32 s5, s7, s14
	s_sub_i32 s4, s9, s14
	v_sub_u16_sdwa v1, v1, v2 dst_sel:DWORD dst_unused:UNUSED_PAD src0_sel:WORD_1 src1_sel:DWORD
	s_mul_i32 s9, s5, 0x790
	v_and_b32_e32 v1, 0xff, v1
	s_mul_hi_i32 s7, s5, 0x790
	s_waitcnt lgkmcnt(0)
	s_add_u32 s2, s2, s9
	v_cndmask_b32_e32 v1, v8, v1, vcc
	s_addc_u32 s3, s3, s7
	v_add_co_u32_e32 v2, vcc, s2, v6
	s_movk_i32 s2, 0x10f
	v_mov_b32_e32 v3, s3
	v_mul_u32_u24_sdwa v4, v0, s2 dst_sel:DWORD dst_unused:UNUSED_PAD src0_sel:WORD_0 src1_sel:DWORD
	v_mov_b32_e32 v7, 0
	v_addc_co_u32_e32 v3, vcc, 0, v3, vcc
	v_lshrrev_b32_e32 v9, 17, v4
	s_branch .LBB5_10
.LBB5_9:                                ;   in Loop: Header=BB5_10 Depth=1
	s_or_b64 exec, exec, s[2:3]
	s_add_i32 s5, s5, 1
	s_cmp_lt_i32 s5, s4
	s_cbranch_scc0 .LBB5_12
.LBB5_10:                               ; =>This Inner Loop Header: Depth=1
	v_add_u32_e32 v4, s5, v9
	v_cmp_gt_i32_e32 vcc, s4, v4
	s_and_saveexec_b64 s[2:3], vcc
	s_cbranch_execz .LBB5_9
; %bb.11:                               ;   in Loop: Header=BB5_10 Depth=1
	v_ashrrev_i32_e32 v5, 31, v4
	v_lshlrev_b64 v[4:5], 2, v[4:5]
	v_mov_b32_e32 v10, s1
	v_add_co_u32_e32 v4, vcc, s0, v4
	v_addc_co_u32_e32 v5, vcc, v10, v5, vcc
	global_load_dword v4, v[4:5], off
	v_mov_b32_e32 v11, s19
	global_load_dword v10, v[2:3], off
	s_waitcnt vmcnt(1)
	v_subrev_u32_e32 v4, s14, v4
	v_mad_u64_u32 v[4:5], s[20:21], v4, 22, v[1:2]
	v_ashrrev_i32_e32 v5, 31, v4
	v_lshlrev_b64 v[4:5], 2, v[4:5]
	v_add_co_u32_e32 v4, vcc, s18, v4
	v_addc_co_u32_e32 v5, vcc, v11, v5, vcc
	global_load_dword v4, v[4:5], off
	v_add_co_u32_e32 v2, vcc, 0x790, v2
	v_addc_co_u32_e32 v3, vcc, 0, v3, vcc
	s_waitcnt vmcnt(0)
	v_fmac_f32_e32 v7, v10, v4
	s_branch .LBB5_9
.LBB5_12:
	s_and_b64 vcc, exec, s[16:17]
	ds_write_b32 v6, v7
	s_waitcnt lgkmcnt(0)
	s_barrier
	s_cbranch_vccz .LBB5_24
; %bb.13:
	v_cmp_gt_u16_e32 vcc, 6, v8
	s_and_saveexec_b64 s[0:1], vcc
	s_cbranch_execz .LBB5_15
; %bb.14:
	ds_read2_b32 v[1:2], v6 offset1:16
	s_waitcnt lgkmcnt(0)
	v_add_f32_e32 v1, v2, v1
	ds_write_b32 v6, v1
.LBB5_15:
	s_or_b64 exec, exec, s[0:1]
	v_cmp_gt_u16_e32 vcc, 8, v8
	s_waitcnt lgkmcnt(0)
	s_barrier
	s_and_saveexec_b64 s[0:1], vcc
	s_cbranch_execz .LBB5_17
; %bb.16:
	ds_read2_b32 v[1:2], v6 offset1:8
	s_waitcnt lgkmcnt(0)
	v_add_f32_e32 v1, v2, v1
	ds_write_b32 v6, v1
.LBB5_17:
	s_or_b64 exec, exec, s[0:1]
	v_cmp_gt_u16_e32 vcc, 4, v8
	s_waitcnt lgkmcnt(0)
	s_barrier
	;; [unrolled: 12-line block ×3, first 2 shown]
	s_and_saveexec_b64 s[0:1], vcc
	s_cbranch_execz .LBB5_21
; %bb.20:
	ds_read2_b32 v[1:2], v6 offset1:2
	s_waitcnt lgkmcnt(0)
	v_add_f32_e32 v1, v2, v1
	ds_write_b32 v6, v1
.LBB5_21:
	s_or_b64 exec, exec, s[0:1]
	v_cmp_gt_u32_e32 vcc, 22, v0
	v_mov_b32_e32 v1, v7
	s_waitcnt lgkmcnt(0)
	s_barrier
	s_and_saveexec_b64 s[0:1], vcc
	s_cbranch_execz .LBB5_23
; %bb.22:
	s_movk_i32 s2, 0x54
	v_mad_u32_u24 v1, v0, s2, v6
	ds_read_b64 v[1:2], v1
	s_waitcnt lgkmcnt(0)
	v_add_f32_e32 v1, v1, v2
.LBB5_23:
	s_or_b64 exec, exec, s[0:1]
	s_branch .LBB5_36
.LBB5_24:
                                        ; implicit-def: $vgpr1
	s_cbranch_execz .LBB5_36
; %bb.25:
	s_movk_i32 s0, 0x84
	v_cmp_gt_u32_e32 vcc, s0, v0
	s_and_saveexec_b64 s[0:1], vcc
	s_cbranch_execz .LBB5_27
; %bb.26:
	ds_read_b32 v1, v6 offset:1408
	ds_read_b32 v2, v6
	s_waitcnt lgkmcnt(0)
	v_add_f32_e32 v1, v1, v2
	ds_write_b32 v6, v1
.LBB5_27:
	s_or_b64 exec, exec, s[0:1]
	s_movk_i32 s0, 0xb0
	v_cmp_gt_u32_e32 vcc, s0, v0
	s_waitcnt lgkmcnt(0)
	s_barrier
	s_and_saveexec_b64 s[0:1], vcc
	s_cbranch_execz .LBB5_29
; %bb.28:
	ds_read2_b32 v[1:2], v6 offset1:176
	s_waitcnt lgkmcnt(0)
	v_add_f32_e32 v1, v2, v1
	ds_write_b32 v6, v1
.LBB5_29:
	s_or_b64 exec, exec, s[0:1]
	s_movk_i32 s0, 0x58
	v_cmp_gt_u32_e32 vcc, s0, v0
	s_waitcnt lgkmcnt(0)
	s_barrier
	s_and_saveexec_b64 s[0:1], vcc
	s_cbranch_execz .LBB5_31
; %bb.30:
	ds_read2_b32 v[1:2], v6 offset1:88
	s_waitcnt lgkmcnt(0)
	v_add_f32_e32 v1, v2, v1
	ds_write_b32 v6, v1
.LBB5_31:
	s_or_b64 exec, exec, s[0:1]
	v_cmp_gt_u32_e32 vcc, 44, v0
	s_waitcnt lgkmcnt(0)
	s_barrier
	s_and_saveexec_b64 s[0:1], vcc
	s_cbranch_execz .LBB5_33
; %bb.32:
	ds_read2_b32 v[1:2], v6 offset1:44
	s_waitcnt lgkmcnt(0)
	v_add_f32_e32 v1, v2, v1
	ds_write_b32 v6, v1
.LBB5_33:
	s_or_b64 exec, exec, s[0:1]
	v_cmp_gt_u32_e32 vcc, 22, v0
	s_waitcnt lgkmcnt(0)
	s_and_saveexec_b64 s[0:1], vcc
	s_cbranch_execz .LBB5_35
; %bb.34:
	ds_read2_b32 v[1:2], v6 offset1:22
	s_waitcnt lgkmcnt(0)
	v_add_f32_e32 v7, v1, v2
.LBB5_35:
	s_or_b64 exec, exec, s[0:1]
	v_mov_b32_e32 v1, v7
.LBB5_36:
	v_cmp_gt_u32_e32 vcc, 22, v0
	s_and_saveexec_b64 s[0:1], vcc
	s_cbranch_execz .LBB5_40
; %bb.37:
	v_cmp_eq_f32_e64 s[0:1], s8, 0
	s_and_b64 vcc, exec, s[0:1]
	v_mul_f32_e32 v1, s10, v1
	s_cbranch_vccz .LBB5_41
; %bb.38:
	v_mad_u64_u32 v[2:3], s[0:1], s6, 22, v[0:1]
	v_mov_b32_e32 v3, 0
	v_mov_b32_e32 v4, s13
	v_lshlrev_b64 v[2:3], 2, v[2:3]
	v_add_co_u32_e32 v2, vcc, s12, v2
	v_addc_co_u32_e32 v3, vcc, v4, v3, vcc
	global_store_dword v[2:3], v1, off
	s_cbranch_execnz .LBB5_40
.LBB5_39:
	v_mad_u64_u32 v[2:3], s[0:1], s6, 22, v[0:1]
	v_mov_b32_e32 v3, 0
	v_mov_b32_e32 v0, s13
	v_lshlrev_b64 v[2:3], 2, v[2:3]
	v_add_co_u32_e32 v2, vcc, s12, v2
	v_addc_co_u32_e32 v3, vcc, v0, v3, vcc
	global_load_dword v0, v[2:3], off
	s_waitcnt vmcnt(0)
	v_fmac_f32_e32 v1, s8, v0
	global_store_dword v[2:3], v1, off
.LBB5_40:
	s_endpgm
.LBB5_41:
	s_branch .LBB5_39
	.section	.rodata,"a",@progbits
	.p2align	6, 0x0
	.amdhsa_kernel _ZN9rocsparseL20bsrxmvn_17_32_kernelILj22EfiifffEEvT2_20rocsparse_direction_NS_24const_host_device_scalarIT0_EES1_PKS1_PKT1_SA_S7_PKT3_PKT4_S5_PT5_21rocsparse_index_base_b
		.amdhsa_group_segment_fixed_size 1936
		.amdhsa_private_segment_fixed_size 0
		.amdhsa_kernarg_size 96
		.amdhsa_user_sgpr_count 6
		.amdhsa_user_sgpr_private_segment_buffer 1
		.amdhsa_user_sgpr_dispatch_ptr 0
		.amdhsa_user_sgpr_queue_ptr 0
		.amdhsa_user_sgpr_kernarg_segment_ptr 1
		.amdhsa_user_sgpr_dispatch_id 0
		.amdhsa_user_sgpr_flat_scratch_init 0
		.amdhsa_user_sgpr_private_segment_size 0
		.amdhsa_uses_dynamic_stack 0
		.amdhsa_system_sgpr_private_segment_wavefront_offset 0
		.amdhsa_system_sgpr_workgroup_id_x 1
		.amdhsa_system_sgpr_workgroup_id_y 0
		.amdhsa_system_sgpr_workgroup_id_z 0
		.amdhsa_system_sgpr_workgroup_info 0
		.amdhsa_system_vgpr_workitem_id 0
		.amdhsa_next_free_vgpr 12
		.amdhsa_next_free_sgpr 22
		.amdhsa_reserve_vcc 1
		.amdhsa_reserve_flat_scratch 0
		.amdhsa_float_round_mode_32 0
		.amdhsa_float_round_mode_16_64 0
		.amdhsa_float_denorm_mode_32 3
		.amdhsa_float_denorm_mode_16_64 3
		.amdhsa_dx10_clamp 1
		.amdhsa_ieee_mode 1
		.amdhsa_fp16_overflow 0
		.amdhsa_exception_fp_ieee_invalid_op 0
		.amdhsa_exception_fp_denorm_src 0
		.amdhsa_exception_fp_ieee_div_zero 0
		.amdhsa_exception_fp_ieee_overflow 0
		.amdhsa_exception_fp_ieee_underflow 0
		.amdhsa_exception_fp_ieee_inexact 0
		.amdhsa_exception_int_div_zero 0
	.end_amdhsa_kernel
	.section	.text._ZN9rocsparseL20bsrxmvn_17_32_kernelILj22EfiifffEEvT2_20rocsparse_direction_NS_24const_host_device_scalarIT0_EES1_PKS1_PKT1_SA_S7_PKT3_PKT4_S5_PT5_21rocsparse_index_base_b,"axG",@progbits,_ZN9rocsparseL20bsrxmvn_17_32_kernelILj22EfiifffEEvT2_20rocsparse_direction_NS_24const_host_device_scalarIT0_EES1_PKS1_PKT1_SA_S7_PKT3_PKT4_S5_PT5_21rocsparse_index_base_b,comdat
.Lfunc_end5:
	.size	_ZN9rocsparseL20bsrxmvn_17_32_kernelILj22EfiifffEEvT2_20rocsparse_direction_NS_24const_host_device_scalarIT0_EES1_PKS1_PKT1_SA_S7_PKT3_PKT4_S5_PT5_21rocsparse_index_base_b, .Lfunc_end5-_ZN9rocsparseL20bsrxmvn_17_32_kernelILj22EfiifffEEvT2_20rocsparse_direction_NS_24const_host_device_scalarIT0_EES1_PKS1_PKT1_SA_S7_PKT3_PKT4_S5_PT5_21rocsparse_index_base_b
                                        ; -- End function
	.set _ZN9rocsparseL20bsrxmvn_17_32_kernelILj22EfiifffEEvT2_20rocsparse_direction_NS_24const_host_device_scalarIT0_EES1_PKS1_PKT1_SA_S7_PKT3_PKT4_S5_PT5_21rocsparse_index_base_b.num_vgpr, 12
	.set _ZN9rocsparseL20bsrxmvn_17_32_kernelILj22EfiifffEEvT2_20rocsparse_direction_NS_24const_host_device_scalarIT0_EES1_PKS1_PKT1_SA_S7_PKT3_PKT4_S5_PT5_21rocsparse_index_base_b.num_agpr, 0
	.set _ZN9rocsparseL20bsrxmvn_17_32_kernelILj22EfiifffEEvT2_20rocsparse_direction_NS_24const_host_device_scalarIT0_EES1_PKS1_PKT1_SA_S7_PKT3_PKT4_S5_PT5_21rocsparse_index_base_b.numbered_sgpr, 22
	.set _ZN9rocsparseL20bsrxmvn_17_32_kernelILj22EfiifffEEvT2_20rocsparse_direction_NS_24const_host_device_scalarIT0_EES1_PKS1_PKT1_SA_S7_PKT3_PKT4_S5_PT5_21rocsparse_index_base_b.num_named_barrier, 0
	.set _ZN9rocsparseL20bsrxmvn_17_32_kernelILj22EfiifffEEvT2_20rocsparse_direction_NS_24const_host_device_scalarIT0_EES1_PKS1_PKT1_SA_S7_PKT3_PKT4_S5_PT5_21rocsparse_index_base_b.private_seg_size, 0
	.set _ZN9rocsparseL20bsrxmvn_17_32_kernelILj22EfiifffEEvT2_20rocsparse_direction_NS_24const_host_device_scalarIT0_EES1_PKS1_PKT1_SA_S7_PKT3_PKT4_S5_PT5_21rocsparse_index_base_b.uses_vcc, 1
	.set _ZN9rocsparseL20bsrxmvn_17_32_kernelILj22EfiifffEEvT2_20rocsparse_direction_NS_24const_host_device_scalarIT0_EES1_PKS1_PKT1_SA_S7_PKT3_PKT4_S5_PT5_21rocsparse_index_base_b.uses_flat_scratch, 0
	.set _ZN9rocsparseL20bsrxmvn_17_32_kernelILj22EfiifffEEvT2_20rocsparse_direction_NS_24const_host_device_scalarIT0_EES1_PKS1_PKT1_SA_S7_PKT3_PKT4_S5_PT5_21rocsparse_index_base_b.has_dyn_sized_stack, 0
	.set _ZN9rocsparseL20bsrxmvn_17_32_kernelILj22EfiifffEEvT2_20rocsparse_direction_NS_24const_host_device_scalarIT0_EES1_PKS1_PKT1_SA_S7_PKT3_PKT4_S5_PT5_21rocsparse_index_base_b.has_recursion, 0
	.set _ZN9rocsparseL20bsrxmvn_17_32_kernelILj22EfiifffEEvT2_20rocsparse_direction_NS_24const_host_device_scalarIT0_EES1_PKS1_PKT1_SA_S7_PKT3_PKT4_S5_PT5_21rocsparse_index_base_b.has_indirect_call, 0
	.section	.AMDGPU.csdata,"",@progbits
; Kernel info:
; codeLenInByte = 1232
; TotalNumSgprs: 26
; NumVgprs: 12
; ScratchSize: 0
; MemoryBound: 0
; FloatMode: 240
; IeeeMode: 1
; LDSByteSize: 1936 bytes/workgroup (compile time only)
; SGPRBlocks: 3
; VGPRBlocks: 2
; NumSGPRsForWavesPerEU: 26
; NumVGPRsForWavesPerEU: 12
; Occupancy: 10
; WaveLimiterHint : 1
; COMPUTE_PGM_RSRC2:SCRATCH_EN: 0
; COMPUTE_PGM_RSRC2:USER_SGPR: 6
; COMPUTE_PGM_RSRC2:TRAP_HANDLER: 0
; COMPUTE_PGM_RSRC2:TGID_X_EN: 1
; COMPUTE_PGM_RSRC2:TGID_Y_EN: 0
; COMPUTE_PGM_RSRC2:TGID_Z_EN: 0
; COMPUTE_PGM_RSRC2:TIDIG_COMP_CNT: 0
	.section	.text._ZN9rocsparseL20bsrxmvn_17_32_kernelILj23EfiifffEEvT2_20rocsparse_direction_NS_24const_host_device_scalarIT0_EES1_PKS1_PKT1_SA_S7_PKT3_PKT4_S5_PT5_21rocsparse_index_base_b,"axG",@progbits,_ZN9rocsparseL20bsrxmvn_17_32_kernelILj23EfiifffEEvT2_20rocsparse_direction_NS_24const_host_device_scalarIT0_EES1_PKS1_PKT1_SA_S7_PKT3_PKT4_S5_PT5_21rocsparse_index_base_b,comdat
	.globl	_ZN9rocsparseL20bsrxmvn_17_32_kernelILj23EfiifffEEvT2_20rocsparse_direction_NS_24const_host_device_scalarIT0_EES1_PKS1_PKT1_SA_S7_PKT3_PKT4_S5_PT5_21rocsparse_index_base_b ; -- Begin function _ZN9rocsparseL20bsrxmvn_17_32_kernelILj23EfiifffEEvT2_20rocsparse_direction_NS_24const_host_device_scalarIT0_EES1_PKS1_PKT1_SA_S7_PKT3_PKT4_S5_PT5_21rocsparse_index_base_b
	.p2align	8
	.type	_ZN9rocsparseL20bsrxmvn_17_32_kernelILj23EfiifffEEvT2_20rocsparse_direction_NS_24const_host_device_scalarIT0_EES1_PKS1_PKT1_SA_S7_PKT3_PKT4_S5_PT5_21rocsparse_index_base_b,@function
_ZN9rocsparseL20bsrxmvn_17_32_kernelILj23EfiifffEEvT2_20rocsparse_direction_NS_24const_host_device_scalarIT0_EES1_PKS1_PKT1_SA_S7_PKT3_PKT4_S5_PT5_21rocsparse_index_base_b: ; @_ZN9rocsparseL20bsrxmvn_17_32_kernelILj23EfiifffEEvT2_20rocsparse_direction_NS_24const_host_device_scalarIT0_EES1_PKS1_PKT1_SA_S7_PKT3_PKT4_S5_PT5_21rocsparse_index_base_b
; %bb.0:
	s_load_dwordx2 s[18:19], s[4:5], 0x58
	s_load_dwordx2 s[14:15], s[4:5], 0x8
	;; [unrolled: 1-line block ×3, first 2 shown]
	s_waitcnt lgkmcnt(0)
	s_bitcmp1_b32 s19, 0
	s_cselect_b64 s[2:3], -1, 0
	s_xor_b64 s[0:1], s[2:3], -1
	s_and_b64 vcc, exec, s[2:3]
	s_cbranch_vccnz .LBB6_2
; %bb.1:
	s_load_dword s14, s[14:15], 0x0
.LBB6_2:
	s_andn2_b64 vcc, exec, s[0:1]
	s_cbranch_vccnz .LBB6_4
; %bb.3:
	s_load_dword s12, s[12:13], 0x0
.LBB6_4:
	s_waitcnt lgkmcnt(0)
	v_cmp_neq_f32_e64 s[0:1], s14, 0
	v_cmp_neq_f32_e64 s[2:3], s12, 1.0
	s_or_b64 s[0:1], s[0:1], s[2:3]
	s_andn2_b64 vcc, exec, s[0:1]
	s_cbranch_vccnz .LBB6_40
; %bb.5:
	s_load_dwordx4 s[0:3], s[4:5], 0x18
	s_load_dwordx2 s[8:9], s[4:5], 0x28
	s_waitcnt lgkmcnt(0)
	s_cmp_eq_u64 s[0:1], 0
	s_cbranch_scc1 .LBB6_7
; %bb.6:
	s_ashr_i32 s7, s6, 31
	s_lshl_b64 s[6:7], s[6:7], 2
	s_add_u32 s0, s0, s6
	s_addc_u32 s1, s1, s7
	s_load_dword s0, s[0:1], 0x0
	s_waitcnt lgkmcnt(0)
	s_sub_i32 s6, s0, s18
.LBB6_7:
	s_load_dword s0, s[4:5], 0x4
	s_load_dwordx2 s[16:17], s[4:5], 0x50
	v_mul_u32_u24_e32 v1, 0xb22, v0
	v_mov_b32_e32 v2, 23
	v_mul_lo_u16_sdwa v2, v1, v2 dst_sel:DWORD dst_unused:UNUSED_PAD src0_sel:WORD_1 src1_sel:DWORD
	s_waitcnt lgkmcnt(0)
	s_cmp_eq_u32 s0, 1
	s_cselect_b64 vcc, -1, 0
	s_cmp_lg_u32 s0, 1
	s_cselect_b64 s[20:21], -1, 0
	s_ashr_i32 s7, s6, 31
	s_lshl_b64 s[0:1], s[6:7], 2
	s_add_u32 s2, s2, s0
	s_addc_u32 s3, s3, s1
	s_load_dword s7, s[2:3], 0x0
	s_add_u32 s2, s2, 4
	s_addc_u32 s3, s3, 0
	s_add_u32 s0, s8, s0
	s_addc_u32 s1, s9, s1
	s_cmp_eq_u64 s[8:9], 0
	s_cselect_b32 s1, s3, s1
	s_cselect_b32 s0, s2, s0
	s_load_dword s0, s[0:1], 0x0
	v_sub_u16_e32 v8, v0, v2
	v_mov_b32_e32 v7, 0
	v_lshlrev_b32_e32 v6, 2, v0
	s_waitcnt lgkmcnt(0)
	s_cmp_ge_i32 s7, s0
	s_cbranch_scc1 .LBB6_12
; %bb.8:
	s_load_dwordx4 s[8:11], s[4:5], 0x30
	s_load_dwordx2 s[2:3], s[4:5], 0x40
	s_sub_i32 s4, s0, s18
	s_mov_b32 s0, 0xffff
	s_movk_i32 s1, 0x211
	v_and_b32_sdwa v1, s0, v1 dst_sel:DWORD dst_unused:UNUSED_PAD src0_sel:DWORD src1_sel:WORD_1
	v_subrev_u32_e32 v2, 23, v1
	v_cmp_gt_u32_e64 s[0:1], s1, v0
	s_sub_i32 s5, s7, s18
	v_cndmask_b32_e64 v1, v2, v1, s[0:1]
	s_mul_i32 s1, s5, 0x844
	s_mul_hi_i32 s0, s5, 0x844
	s_waitcnt lgkmcnt(0)
	s_add_u32 s1, s10, s1
	s_addc_u32 s0, s11, s0
	v_cndmask_b32_e32 v1, v8, v1, vcc
	v_mov_b32_e32 v3, s0
	v_add_co_u32_e32 v2, vcc, s1, v6
	v_addc_co_u32_e32 v3, vcc, 0, v3, vcc
	s_movk_i32 s0, 0x210
	v_cmp_lt_u32_e32 vcc, s0, v0
	v_mov_b32_e32 v7, 0
	v_cndmask_b32_e64 v9, 0, 1, vcc
	s_branch .LBB6_10
.LBB6_9:                                ;   in Loop: Header=BB6_10 Depth=1
	s_or_b64 exec, exec, s[0:1]
	s_add_i32 s5, s5, 1
	s_cmp_lt_i32 s5, s4
	s_cbranch_scc0 .LBB6_12
.LBB6_10:                               ; =>This Inner Loop Header: Depth=1
	v_add_u32_e32 v4, s5, v9
	v_cmp_gt_i32_e32 vcc, s4, v4
	s_and_saveexec_b64 s[0:1], vcc
	s_cbranch_execz .LBB6_9
; %bb.11:                               ;   in Loop: Header=BB6_10 Depth=1
	v_ashrrev_i32_e32 v5, 31, v4
	v_lshlrev_b64 v[4:5], 2, v[4:5]
	v_mov_b32_e32 v10, s9
	v_add_co_u32_e32 v4, vcc, s8, v4
	v_addc_co_u32_e32 v5, vcc, v10, v5, vcc
	global_load_dword v4, v[4:5], off
	v_mov_b32_e32 v11, s3
	global_load_dword v10, v[2:3], off
	s_waitcnt vmcnt(1)
	v_subrev_u32_e32 v4, s18, v4
	v_mad_u64_u32 v[4:5], s[10:11], v4, 23, v[1:2]
	v_ashrrev_i32_e32 v5, 31, v4
	v_lshlrev_b64 v[4:5], 2, v[4:5]
	v_add_co_u32_e32 v4, vcc, s2, v4
	v_addc_co_u32_e32 v5, vcc, v11, v5, vcc
	global_load_dword v4, v[4:5], off
	v_add_co_u32_e32 v2, vcc, 0x844, v2
	v_addc_co_u32_e32 v3, vcc, 0, v3, vcc
	s_waitcnt vmcnt(0)
	v_fmac_f32_e32 v7, v10, v4
	s_branch .LBB6_9
.LBB6_12:
	s_and_b64 vcc, exec, s[20:21]
	ds_write_b32 v6, v7
	s_waitcnt lgkmcnt(0)
	s_barrier
	s_cbranch_vccz .LBB6_24
; %bb.13:
	v_cmp_gt_u16_e32 vcc, 7, v8
	s_and_saveexec_b64 s[0:1], vcc
	s_cbranch_execz .LBB6_15
; %bb.14:
	ds_read2_b32 v[1:2], v6 offset1:16
	s_waitcnt lgkmcnt(0)
	v_add_f32_e32 v1, v2, v1
	ds_write_b32 v6, v1
.LBB6_15:
	s_or_b64 exec, exec, s[0:1]
	v_cmp_gt_u16_e32 vcc, 8, v8
	s_waitcnt lgkmcnt(0)
	s_barrier
	s_and_saveexec_b64 s[0:1], vcc
	s_cbranch_execz .LBB6_17
; %bb.16:
	ds_read2_b32 v[1:2], v6 offset1:8
	s_waitcnt lgkmcnt(0)
	v_add_f32_e32 v1, v2, v1
	ds_write_b32 v6, v1
.LBB6_17:
	s_or_b64 exec, exec, s[0:1]
	v_cmp_gt_u16_e32 vcc, 4, v8
	s_waitcnt lgkmcnt(0)
	s_barrier
	;; [unrolled: 12-line block ×3, first 2 shown]
	s_and_saveexec_b64 s[0:1], vcc
	s_cbranch_execz .LBB6_21
; %bb.20:
	ds_read2_b32 v[1:2], v6 offset1:2
	s_waitcnt lgkmcnt(0)
	v_add_f32_e32 v1, v2, v1
	ds_write_b32 v6, v1
.LBB6_21:
	s_or_b64 exec, exec, s[0:1]
	v_cmp_gt_u32_e32 vcc, 23, v0
	v_mov_b32_e32 v1, v7
	s_waitcnt lgkmcnt(0)
	s_barrier
	s_and_saveexec_b64 s[0:1], vcc
	s_cbranch_execz .LBB6_23
; %bb.22:
	s_movk_i32 s2, 0x58
	v_mad_u32_u24 v1, v0, s2, v6
	ds_read2_b32 v[1:2], v1 offset1:1
	s_waitcnt lgkmcnt(0)
	v_add_f32_e32 v1, v1, v2
.LBB6_23:
	s_or_b64 exec, exec, s[0:1]
	s_branch .LBB6_36
.LBB6_24:
                                        ; implicit-def: $vgpr1
	s_cbranch_execz .LBB6_36
; %bb.25:
	s_movk_i32 s0, 0xa1
	v_cmp_gt_u32_e32 vcc, s0, v0
	s_and_saveexec_b64 s[0:1], vcc
	s_cbranch_execz .LBB6_27
; %bb.26:
	ds_read_b32 v1, v6 offset:1472
	ds_read_b32 v2, v6
	s_waitcnt lgkmcnt(0)
	v_add_f32_e32 v1, v1, v2
	ds_write_b32 v6, v1
.LBB6_27:
	s_or_b64 exec, exec, s[0:1]
	s_movk_i32 s0, 0xb8
	v_cmp_gt_u32_e32 vcc, s0, v0
	s_waitcnt lgkmcnt(0)
	s_barrier
	s_and_saveexec_b64 s[0:1], vcc
	s_cbranch_execz .LBB6_29
; %bb.28:
	ds_read2_b32 v[1:2], v6 offset1:184
	s_waitcnt lgkmcnt(0)
	v_add_f32_e32 v1, v2, v1
	ds_write_b32 v6, v1
.LBB6_29:
	s_or_b64 exec, exec, s[0:1]
	s_movk_i32 s0, 0x5c
	v_cmp_gt_u32_e32 vcc, s0, v0
	s_waitcnt lgkmcnt(0)
	s_barrier
	s_and_saveexec_b64 s[0:1], vcc
	s_cbranch_execz .LBB6_31
; %bb.30:
	ds_read2_b32 v[1:2], v6 offset1:92
	s_waitcnt lgkmcnt(0)
	v_add_f32_e32 v1, v2, v1
	ds_write_b32 v6, v1
.LBB6_31:
	s_or_b64 exec, exec, s[0:1]
	v_cmp_gt_u32_e32 vcc, 46, v0
	s_waitcnt lgkmcnt(0)
	s_barrier
	s_and_saveexec_b64 s[0:1], vcc
	s_cbranch_execz .LBB6_33
; %bb.32:
	ds_read2_b32 v[1:2], v6 offset1:46
	s_waitcnt lgkmcnt(0)
	v_add_f32_e32 v1, v2, v1
	ds_write_b32 v6, v1
.LBB6_33:
	s_or_b64 exec, exec, s[0:1]
	v_cmp_gt_u32_e32 vcc, 23, v0
	s_waitcnt lgkmcnt(0)
	s_and_saveexec_b64 s[0:1], vcc
	s_cbranch_execz .LBB6_35
; %bb.34:
	ds_read2_b32 v[1:2], v6 offset1:23
	s_waitcnt lgkmcnt(0)
	v_add_f32_e32 v7, v1, v2
.LBB6_35:
	s_or_b64 exec, exec, s[0:1]
	v_mov_b32_e32 v1, v7
.LBB6_36:
	v_cmp_gt_u32_e32 vcc, 23, v0
	s_and_saveexec_b64 s[0:1], vcc
	s_cbranch_execz .LBB6_40
; %bb.37:
	v_cmp_eq_f32_e64 s[0:1], s12, 0
	s_and_b64 vcc, exec, s[0:1]
	v_mul_f32_e32 v1, s14, v1
	s_cbranch_vccz .LBB6_41
; %bb.38:
	v_mad_u64_u32 v[2:3], s[0:1], s6, 23, v[0:1]
	v_mov_b32_e32 v3, 0
	v_mov_b32_e32 v4, s17
	v_lshlrev_b64 v[2:3], 2, v[2:3]
	v_add_co_u32_e32 v2, vcc, s16, v2
	v_addc_co_u32_e32 v3, vcc, v4, v3, vcc
	global_store_dword v[2:3], v1, off
	s_cbranch_execnz .LBB6_40
.LBB6_39:
	v_mad_u64_u32 v[2:3], s[0:1], s6, 23, v[0:1]
	v_mov_b32_e32 v3, 0
	v_mov_b32_e32 v0, s17
	v_lshlrev_b64 v[2:3], 2, v[2:3]
	v_add_co_u32_e32 v2, vcc, s16, v2
	v_addc_co_u32_e32 v3, vcc, v0, v3, vcc
	global_load_dword v0, v[2:3], off
	s_waitcnt vmcnt(0)
	v_fmac_f32_e32 v1, s12, v0
	global_store_dword v[2:3], v1, off
.LBB6_40:
	s_endpgm
.LBB6_41:
	s_branch .LBB6_39
	.section	.rodata,"a",@progbits
	.p2align	6, 0x0
	.amdhsa_kernel _ZN9rocsparseL20bsrxmvn_17_32_kernelILj23EfiifffEEvT2_20rocsparse_direction_NS_24const_host_device_scalarIT0_EES1_PKS1_PKT1_SA_S7_PKT3_PKT4_S5_PT5_21rocsparse_index_base_b
		.amdhsa_group_segment_fixed_size 2116
		.amdhsa_private_segment_fixed_size 0
		.amdhsa_kernarg_size 96
		.amdhsa_user_sgpr_count 6
		.amdhsa_user_sgpr_private_segment_buffer 1
		.amdhsa_user_sgpr_dispatch_ptr 0
		.amdhsa_user_sgpr_queue_ptr 0
		.amdhsa_user_sgpr_kernarg_segment_ptr 1
		.amdhsa_user_sgpr_dispatch_id 0
		.amdhsa_user_sgpr_flat_scratch_init 0
		.amdhsa_user_sgpr_private_segment_size 0
		.amdhsa_uses_dynamic_stack 0
		.amdhsa_system_sgpr_private_segment_wavefront_offset 0
		.amdhsa_system_sgpr_workgroup_id_x 1
		.amdhsa_system_sgpr_workgroup_id_y 0
		.amdhsa_system_sgpr_workgroup_id_z 0
		.amdhsa_system_sgpr_workgroup_info 0
		.amdhsa_system_vgpr_workitem_id 0
		.amdhsa_next_free_vgpr 25
		.amdhsa_next_free_sgpr 61
		.amdhsa_reserve_vcc 1
		.amdhsa_reserve_flat_scratch 0
		.amdhsa_float_round_mode_32 0
		.amdhsa_float_round_mode_16_64 0
		.amdhsa_float_denorm_mode_32 3
		.amdhsa_float_denorm_mode_16_64 3
		.amdhsa_dx10_clamp 1
		.amdhsa_ieee_mode 1
		.amdhsa_fp16_overflow 0
		.amdhsa_exception_fp_ieee_invalid_op 0
		.amdhsa_exception_fp_denorm_src 0
		.amdhsa_exception_fp_ieee_div_zero 0
		.amdhsa_exception_fp_ieee_overflow 0
		.amdhsa_exception_fp_ieee_underflow 0
		.amdhsa_exception_fp_ieee_inexact 0
		.amdhsa_exception_int_div_zero 0
	.end_amdhsa_kernel
	.section	.text._ZN9rocsparseL20bsrxmvn_17_32_kernelILj23EfiifffEEvT2_20rocsparse_direction_NS_24const_host_device_scalarIT0_EES1_PKS1_PKT1_SA_S7_PKT3_PKT4_S5_PT5_21rocsparse_index_base_b,"axG",@progbits,_ZN9rocsparseL20bsrxmvn_17_32_kernelILj23EfiifffEEvT2_20rocsparse_direction_NS_24const_host_device_scalarIT0_EES1_PKS1_PKT1_SA_S7_PKT3_PKT4_S5_PT5_21rocsparse_index_base_b,comdat
.Lfunc_end6:
	.size	_ZN9rocsparseL20bsrxmvn_17_32_kernelILj23EfiifffEEvT2_20rocsparse_direction_NS_24const_host_device_scalarIT0_EES1_PKS1_PKT1_SA_S7_PKT3_PKT4_S5_PT5_21rocsparse_index_base_b, .Lfunc_end6-_ZN9rocsparseL20bsrxmvn_17_32_kernelILj23EfiifffEEvT2_20rocsparse_direction_NS_24const_host_device_scalarIT0_EES1_PKS1_PKT1_SA_S7_PKT3_PKT4_S5_PT5_21rocsparse_index_base_b
                                        ; -- End function
	.set _ZN9rocsparseL20bsrxmvn_17_32_kernelILj23EfiifffEEvT2_20rocsparse_direction_NS_24const_host_device_scalarIT0_EES1_PKS1_PKT1_SA_S7_PKT3_PKT4_S5_PT5_21rocsparse_index_base_b.num_vgpr, 12
	.set _ZN9rocsparseL20bsrxmvn_17_32_kernelILj23EfiifffEEvT2_20rocsparse_direction_NS_24const_host_device_scalarIT0_EES1_PKS1_PKT1_SA_S7_PKT3_PKT4_S5_PT5_21rocsparse_index_base_b.num_agpr, 0
	.set _ZN9rocsparseL20bsrxmvn_17_32_kernelILj23EfiifffEEvT2_20rocsparse_direction_NS_24const_host_device_scalarIT0_EES1_PKS1_PKT1_SA_S7_PKT3_PKT4_S5_PT5_21rocsparse_index_base_b.numbered_sgpr, 22
	.set _ZN9rocsparseL20bsrxmvn_17_32_kernelILj23EfiifffEEvT2_20rocsparse_direction_NS_24const_host_device_scalarIT0_EES1_PKS1_PKT1_SA_S7_PKT3_PKT4_S5_PT5_21rocsparse_index_base_b.num_named_barrier, 0
	.set _ZN9rocsparseL20bsrxmvn_17_32_kernelILj23EfiifffEEvT2_20rocsparse_direction_NS_24const_host_device_scalarIT0_EES1_PKS1_PKT1_SA_S7_PKT3_PKT4_S5_PT5_21rocsparse_index_base_b.private_seg_size, 0
	.set _ZN9rocsparseL20bsrxmvn_17_32_kernelILj23EfiifffEEvT2_20rocsparse_direction_NS_24const_host_device_scalarIT0_EES1_PKS1_PKT1_SA_S7_PKT3_PKT4_S5_PT5_21rocsparse_index_base_b.uses_vcc, 1
	.set _ZN9rocsparseL20bsrxmvn_17_32_kernelILj23EfiifffEEvT2_20rocsparse_direction_NS_24const_host_device_scalarIT0_EES1_PKS1_PKT1_SA_S7_PKT3_PKT4_S5_PT5_21rocsparse_index_base_b.uses_flat_scratch, 0
	.set _ZN9rocsparseL20bsrxmvn_17_32_kernelILj23EfiifffEEvT2_20rocsparse_direction_NS_24const_host_device_scalarIT0_EES1_PKS1_PKT1_SA_S7_PKT3_PKT4_S5_PT5_21rocsparse_index_base_b.has_dyn_sized_stack, 0
	.set _ZN9rocsparseL20bsrxmvn_17_32_kernelILj23EfiifffEEvT2_20rocsparse_direction_NS_24const_host_device_scalarIT0_EES1_PKS1_PKT1_SA_S7_PKT3_PKT4_S5_PT5_21rocsparse_index_base_b.has_recursion, 0
	.set _ZN9rocsparseL20bsrxmvn_17_32_kernelILj23EfiifffEEvT2_20rocsparse_direction_NS_24const_host_device_scalarIT0_EES1_PKS1_PKT1_SA_S7_PKT3_PKT4_S5_PT5_21rocsparse_index_base_b.has_indirect_call, 0
	.section	.AMDGPU.csdata,"",@progbits
; Kernel info:
; codeLenInByte = 1236
; TotalNumSgprs: 26
; NumVgprs: 12
; ScratchSize: 0
; MemoryBound: 0
; FloatMode: 240
; IeeeMode: 1
; LDSByteSize: 2116 bytes/workgroup (compile time only)
; SGPRBlocks: 8
; VGPRBlocks: 6
; NumSGPRsForWavesPerEU: 65
; NumVGPRsForWavesPerEU: 25
; Occupancy: 9
; WaveLimiterHint : 1
; COMPUTE_PGM_RSRC2:SCRATCH_EN: 0
; COMPUTE_PGM_RSRC2:USER_SGPR: 6
; COMPUTE_PGM_RSRC2:TRAP_HANDLER: 0
; COMPUTE_PGM_RSRC2:TGID_X_EN: 1
; COMPUTE_PGM_RSRC2:TGID_Y_EN: 0
; COMPUTE_PGM_RSRC2:TGID_Z_EN: 0
; COMPUTE_PGM_RSRC2:TIDIG_COMP_CNT: 0
	.section	.text._ZN9rocsparseL20bsrxmvn_17_32_kernelILj24EfiifffEEvT2_20rocsparse_direction_NS_24const_host_device_scalarIT0_EES1_PKS1_PKT1_SA_S7_PKT3_PKT4_S5_PT5_21rocsparse_index_base_b,"axG",@progbits,_ZN9rocsparseL20bsrxmvn_17_32_kernelILj24EfiifffEEvT2_20rocsparse_direction_NS_24const_host_device_scalarIT0_EES1_PKS1_PKT1_SA_S7_PKT3_PKT4_S5_PT5_21rocsparse_index_base_b,comdat
	.globl	_ZN9rocsparseL20bsrxmvn_17_32_kernelILj24EfiifffEEvT2_20rocsparse_direction_NS_24const_host_device_scalarIT0_EES1_PKS1_PKT1_SA_S7_PKT3_PKT4_S5_PT5_21rocsparse_index_base_b ; -- Begin function _ZN9rocsparseL20bsrxmvn_17_32_kernelILj24EfiifffEEvT2_20rocsparse_direction_NS_24const_host_device_scalarIT0_EES1_PKS1_PKT1_SA_S7_PKT3_PKT4_S5_PT5_21rocsparse_index_base_b
	.p2align	8
	.type	_ZN9rocsparseL20bsrxmvn_17_32_kernelILj24EfiifffEEvT2_20rocsparse_direction_NS_24const_host_device_scalarIT0_EES1_PKS1_PKT1_SA_S7_PKT3_PKT4_S5_PT5_21rocsparse_index_base_b,@function
_ZN9rocsparseL20bsrxmvn_17_32_kernelILj24EfiifffEEvT2_20rocsparse_direction_NS_24const_host_device_scalarIT0_EES1_PKS1_PKT1_SA_S7_PKT3_PKT4_S5_PT5_21rocsparse_index_base_b: ; @_ZN9rocsparseL20bsrxmvn_17_32_kernelILj24EfiifffEEvT2_20rocsparse_direction_NS_24const_host_device_scalarIT0_EES1_PKS1_PKT1_SA_S7_PKT3_PKT4_S5_PT5_21rocsparse_index_base_b
; %bb.0:
	s_load_dwordx2 s[18:19], s[4:5], 0x58
	s_load_dwordx2 s[14:15], s[4:5], 0x8
	s_load_dwordx2 s[12:13], s[4:5], 0x48
	s_waitcnt lgkmcnt(0)
	s_bitcmp1_b32 s19, 0
	s_cselect_b64 s[2:3], -1, 0
	s_xor_b64 s[0:1], s[2:3], -1
	s_and_b64 vcc, exec, s[2:3]
	s_cbranch_vccnz .LBB7_2
; %bb.1:
	s_load_dword s14, s[14:15], 0x0
.LBB7_2:
	s_andn2_b64 vcc, exec, s[0:1]
	s_cbranch_vccnz .LBB7_4
; %bb.3:
	s_load_dword s12, s[12:13], 0x0
.LBB7_4:
	s_waitcnt lgkmcnt(0)
	v_cmp_neq_f32_e64 s[0:1], s14, 0
	v_cmp_neq_f32_e64 s[2:3], s12, 1.0
	s_or_b64 s[0:1], s[0:1], s[2:3]
	s_andn2_b64 vcc, exec, s[0:1]
	s_cbranch_vccnz .LBB7_40
; %bb.5:
	s_load_dwordx4 s[0:3], s[4:5], 0x18
	s_load_dwordx2 s[8:9], s[4:5], 0x28
	s_waitcnt lgkmcnt(0)
	s_cmp_eq_u64 s[0:1], 0
	s_cbranch_scc1 .LBB7_7
; %bb.6:
	s_ashr_i32 s7, s6, 31
	s_lshl_b64 s[6:7], s[6:7], 2
	s_add_u32 s0, s0, s6
	s_addc_u32 s1, s1, s7
	s_load_dword s0, s[0:1], 0x0
	s_waitcnt lgkmcnt(0)
	s_sub_i32 s6, s0, s18
.LBB7_7:
	s_load_dword s0, s[4:5], 0x4
	s_load_dwordx2 s[16:17], s[4:5], 0x50
	v_mul_u32_u24_e32 v1, 0xaab, v0
	v_mov_b32_e32 v2, 24
	v_mul_lo_u16_sdwa v2, v1, v2 dst_sel:DWORD dst_unused:UNUSED_PAD src0_sel:WORD_1 src1_sel:DWORD
	s_waitcnt lgkmcnt(0)
	s_cmp_eq_u32 s0, 1
	s_cselect_b64 vcc, -1, 0
	s_cmp_lg_u32 s0, 1
	s_cselect_b64 s[20:21], -1, 0
	s_ashr_i32 s7, s6, 31
	s_lshl_b64 s[0:1], s[6:7], 2
	s_add_u32 s2, s2, s0
	s_addc_u32 s3, s3, s1
	s_load_dword s7, s[2:3], 0x0
	s_add_u32 s2, s2, 4
	s_addc_u32 s3, s3, 0
	s_add_u32 s0, s8, s0
	s_addc_u32 s1, s9, s1
	s_cmp_eq_u64 s[8:9], 0
	s_cselect_b32 s1, s3, s1
	s_cselect_b32 s0, s2, s0
	s_load_dword s0, s[0:1], 0x0
	v_sub_u16_e32 v8, v0, v2
	v_mov_b32_e32 v7, 0
	v_lshlrev_b32_e32 v6, 2, v0
	s_waitcnt lgkmcnt(0)
	s_cmp_ge_i32 s7, s0
	s_cbranch_scc1 .LBB7_12
; %bb.8:
	s_load_dwordx4 s[8:11], s[4:5], 0x30
	s_load_dwordx2 s[2:3], s[4:5], 0x40
	s_sub_i32 s4, s0, s18
	s_mov_b32 s0, 0xffff
	s_movk_i32 s1, 0x240
	v_and_b32_sdwa v1, s0, v1 dst_sel:DWORD dst_unused:UNUSED_PAD src0_sel:DWORD src1_sel:WORD_1
	v_subrev_u32_e32 v2, 24, v1
	v_cmp_gt_u32_e64 s[0:1], s1, v0
	s_sub_i32 s5, s7, s18
	v_cndmask_b32_e64 v1, v2, v1, s[0:1]
	s_mul_i32 s1, s5, 0x900
	s_mul_hi_i32 s0, s5, 0x900
	s_waitcnt lgkmcnt(0)
	s_add_u32 s1, s10, s1
	s_addc_u32 s0, s11, s0
	v_cndmask_b32_e32 v1, v8, v1, vcc
	v_mov_b32_e32 v3, s0
	v_add_co_u32_e32 v2, vcc, s1, v6
	v_addc_co_u32_e32 v3, vcc, 0, v3, vcc
	s_movk_i32 s0, 0x23f
	v_cmp_lt_u32_e32 vcc, s0, v0
	v_mov_b32_e32 v7, 0
	v_cndmask_b32_e64 v9, 0, 1, vcc
	s_branch .LBB7_10
.LBB7_9:                                ;   in Loop: Header=BB7_10 Depth=1
	s_or_b64 exec, exec, s[0:1]
	s_add_i32 s5, s5, 1
	s_cmp_lt_i32 s5, s4
	s_cbranch_scc0 .LBB7_12
.LBB7_10:                               ; =>This Inner Loop Header: Depth=1
	v_add_u32_e32 v4, s5, v9
	v_cmp_gt_i32_e32 vcc, s4, v4
	s_and_saveexec_b64 s[0:1], vcc
	s_cbranch_execz .LBB7_9
; %bb.11:                               ;   in Loop: Header=BB7_10 Depth=1
	v_ashrrev_i32_e32 v5, 31, v4
	v_lshlrev_b64 v[4:5], 2, v[4:5]
	v_mov_b32_e32 v10, s9
	v_add_co_u32_e32 v4, vcc, s8, v4
	v_addc_co_u32_e32 v5, vcc, v10, v5, vcc
	global_load_dword v4, v[4:5], off
	v_mov_b32_e32 v11, s3
	global_load_dword v10, v[2:3], off
	s_waitcnt vmcnt(1)
	v_subrev_u32_e32 v4, s18, v4
	v_mad_u64_u32 v[4:5], s[10:11], v4, 24, v[1:2]
	v_ashrrev_i32_e32 v5, 31, v4
	v_lshlrev_b64 v[4:5], 2, v[4:5]
	v_add_co_u32_e32 v4, vcc, s2, v4
	v_addc_co_u32_e32 v5, vcc, v11, v5, vcc
	global_load_dword v4, v[4:5], off
	v_add_co_u32_e32 v2, vcc, 0x900, v2
	v_addc_co_u32_e32 v3, vcc, 0, v3, vcc
	s_waitcnt vmcnt(0)
	v_fmac_f32_e32 v7, v10, v4
	s_branch .LBB7_9
.LBB7_12:
	s_and_b64 vcc, exec, s[20:21]
	ds_write_b32 v6, v7
	s_waitcnt lgkmcnt(0)
	s_barrier
	s_cbranch_vccz .LBB7_24
; %bb.13:
	v_cmp_gt_u16_e32 vcc, 8, v8
	s_and_saveexec_b64 s[0:1], vcc
	s_cbranch_execz .LBB7_15
; %bb.14:
	ds_read2_b32 v[1:2], v6 offset1:16
	s_waitcnt lgkmcnt(0)
	v_add_f32_e32 v1, v2, v1
	ds_write_b32 v6, v1
.LBB7_15:
	s_or_b64 exec, exec, s[0:1]
	s_waitcnt lgkmcnt(0)
	s_barrier
	s_and_saveexec_b64 s[0:1], vcc
	s_cbranch_execz .LBB7_17
; %bb.16:
	ds_read2_b32 v[1:2], v6 offset1:8
	s_waitcnt lgkmcnt(0)
	v_add_f32_e32 v1, v2, v1
	ds_write_b32 v6, v1
.LBB7_17:
	s_or_b64 exec, exec, s[0:1]
	v_cmp_gt_u16_e32 vcc, 4, v8
	s_waitcnt lgkmcnt(0)
	s_barrier
	s_and_saveexec_b64 s[0:1], vcc
	s_cbranch_execz .LBB7_19
; %bb.18:
	ds_read2_b32 v[1:2], v6 offset1:4
	s_waitcnt lgkmcnt(0)
	v_add_f32_e32 v1, v2, v1
	ds_write_b32 v6, v1
.LBB7_19:
	s_or_b64 exec, exec, s[0:1]
	v_cmp_gt_u16_e32 vcc, 2, v8
	s_waitcnt lgkmcnt(0)
	s_barrier
	s_and_saveexec_b64 s[0:1], vcc
	s_cbranch_execz .LBB7_21
; %bb.20:
	ds_read2_b32 v[1:2], v6 offset1:2
	s_waitcnt lgkmcnt(0)
	v_add_f32_e32 v1, v2, v1
	ds_write_b32 v6, v1
.LBB7_21:
	s_or_b64 exec, exec, s[0:1]
	v_cmp_gt_u32_e32 vcc, 24, v0
	v_mov_b32_e32 v1, v7
	s_waitcnt lgkmcnt(0)
	s_barrier
	s_and_saveexec_b64 s[0:1], vcc
	s_cbranch_execz .LBB7_23
; %bb.22:
	s_movk_i32 s2, 0x5c
	v_mad_u32_u24 v1, v0, s2, v6
	ds_read_b64 v[1:2], v1
	s_waitcnt lgkmcnt(0)
	v_add_f32_e32 v1, v1, v2
.LBB7_23:
	s_or_b64 exec, exec, s[0:1]
	s_branch .LBB7_36
.LBB7_24:
                                        ; implicit-def: $vgpr1
	s_cbranch_execz .LBB7_36
; %bb.25:
	s_movk_i32 s0, 0xc0
	v_cmp_gt_u32_e32 vcc, s0, v0
	s_and_saveexec_b64 s[0:1], vcc
	s_cbranch_execz .LBB7_27
; %bb.26:
	ds_read2st64_b32 v[1:2], v6 offset1:6
	s_waitcnt lgkmcnt(0)
	v_add_f32_e32 v1, v2, v1
	ds_write_b32 v6, v1
.LBB7_27:
	s_or_b64 exec, exec, s[0:1]
	s_waitcnt lgkmcnt(0)
	s_barrier
	s_and_saveexec_b64 s[0:1], vcc
	s_cbranch_execz .LBB7_29
; %bb.28:
	ds_read2st64_b32 v[1:2], v6 offset1:3
	s_waitcnt lgkmcnt(0)
	v_add_f32_e32 v1, v2, v1
	ds_write_b32 v6, v1
.LBB7_29:
	s_or_b64 exec, exec, s[0:1]
	s_movk_i32 s0, 0x60
	v_cmp_gt_u32_e32 vcc, s0, v0
	s_waitcnt lgkmcnt(0)
	s_barrier
	s_and_saveexec_b64 s[0:1], vcc
	s_cbranch_execz .LBB7_31
; %bb.30:
	ds_read2_b32 v[1:2], v6 offset1:96
	s_waitcnt lgkmcnt(0)
	v_add_f32_e32 v1, v2, v1
	ds_write_b32 v6, v1
.LBB7_31:
	s_or_b64 exec, exec, s[0:1]
	v_cmp_gt_u32_e32 vcc, 48, v0
	s_waitcnt lgkmcnt(0)
	s_barrier
	s_and_saveexec_b64 s[0:1], vcc
	s_cbranch_execz .LBB7_33
; %bb.32:
	ds_read2_b32 v[1:2], v6 offset1:48
	s_waitcnt lgkmcnt(0)
	v_add_f32_e32 v1, v2, v1
	ds_write_b32 v6, v1
.LBB7_33:
	s_or_b64 exec, exec, s[0:1]
	v_cmp_gt_u32_e32 vcc, 24, v0
	s_waitcnt lgkmcnt(0)
	s_and_saveexec_b64 s[0:1], vcc
	s_cbranch_execz .LBB7_35
; %bb.34:
	ds_read2_b32 v[1:2], v6 offset1:24
	s_waitcnt lgkmcnt(0)
	v_add_f32_e32 v7, v1, v2
.LBB7_35:
	s_or_b64 exec, exec, s[0:1]
	v_mov_b32_e32 v1, v7
.LBB7_36:
	v_cmp_gt_u32_e32 vcc, 24, v0
	s_and_saveexec_b64 s[0:1], vcc
	s_cbranch_execz .LBB7_40
; %bb.37:
	v_cmp_eq_f32_e64 s[0:1], s12, 0
	s_and_b64 vcc, exec, s[0:1]
	v_mul_f32_e32 v1, s14, v1
	s_cbranch_vccz .LBB7_41
; %bb.38:
	v_mad_u64_u32 v[2:3], s[0:1], s6, 24, v[0:1]
	v_mov_b32_e32 v3, 0
	v_mov_b32_e32 v4, s17
	v_lshlrev_b64 v[2:3], 2, v[2:3]
	v_add_co_u32_e32 v2, vcc, s16, v2
	v_addc_co_u32_e32 v3, vcc, v4, v3, vcc
	global_store_dword v[2:3], v1, off
	s_cbranch_execnz .LBB7_40
.LBB7_39:
	v_mad_u64_u32 v[2:3], s[0:1], s6, 24, v[0:1]
	v_mov_b32_e32 v3, 0
	v_mov_b32_e32 v0, s17
	v_lshlrev_b64 v[2:3], 2, v[2:3]
	v_add_co_u32_e32 v2, vcc, s16, v2
	v_addc_co_u32_e32 v3, vcc, v0, v3, vcc
	global_load_dword v0, v[2:3], off
	s_waitcnt vmcnt(0)
	v_fmac_f32_e32 v1, s12, v0
	global_store_dword v[2:3], v1, off
.LBB7_40:
	s_endpgm
.LBB7_41:
	s_branch .LBB7_39
	.section	.rodata,"a",@progbits
	.p2align	6, 0x0
	.amdhsa_kernel _ZN9rocsparseL20bsrxmvn_17_32_kernelILj24EfiifffEEvT2_20rocsparse_direction_NS_24const_host_device_scalarIT0_EES1_PKS1_PKT1_SA_S7_PKT3_PKT4_S5_PT5_21rocsparse_index_base_b
		.amdhsa_group_segment_fixed_size 2304
		.amdhsa_private_segment_fixed_size 0
		.amdhsa_kernarg_size 96
		.amdhsa_user_sgpr_count 6
		.amdhsa_user_sgpr_private_segment_buffer 1
		.amdhsa_user_sgpr_dispatch_ptr 0
		.amdhsa_user_sgpr_queue_ptr 0
		.amdhsa_user_sgpr_kernarg_segment_ptr 1
		.amdhsa_user_sgpr_dispatch_id 0
		.amdhsa_user_sgpr_flat_scratch_init 0
		.amdhsa_user_sgpr_private_segment_size 0
		.amdhsa_uses_dynamic_stack 0
		.amdhsa_system_sgpr_private_segment_wavefront_offset 0
		.amdhsa_system_sgpr_workgroup_id_x 1
		.amdhsa_system_sgpr_workgroup_id_y 0
		.amdhsa_system_sgpr_workgroup_id_z 0
		.amdhsa_system_sgpr_workgroup_info 0
		.amdhsa_system_vgpr_workitem_id 0
		.amdhsa_next_free_vgpr 25
		.amdhsa_next_free_sgpr 61
		.amdhsa_reserve_vcc 1
		.amdhsa_reserve_flat_scratch 0
		.amdhsa_float_round_mode_32 0
		.amdhsa_float_round_mode_16_64 0
		.amdhsa_float_denorm_mode_32 3
		.amdhsa_float_denorm_mode_16_64 3
		.amdhsa_dx10_clamp 1
		.amdhsa_ieee_mode 1
		.amdhsa_fp16_overflow 0
		.amdhsa_exception_fp_ieee_invalid_op 0
		.amdhsa_exception_fp_denorm_src 0
		.amdhsa_exception_fp_ieee_div_zero 0
		.amdhsa_exception_fp_ieee_overflow 0
		.amdhsa_exception_fp_ieee_underflow 0
		.amdhsa_exception_fp_ieee_inexact 0
		.amdhsa_exception_int_div_zero 0
	.end_amdhsa_kernel
	.section	.text._ZN9rocsparseL20bsrxmvn_17_32_kernelILj24EfiifffEEvT2_20rocsparse_direction_NS_24const_host_device_scalarIT0_EES1_PKS1_PKT1_SA_S7_PKT3_PKT4_S5_PT5_21rocsparse_index_base_b,"axG",@progbits,_ZN9rocsparseL20bsrxmvn_17_32_kernelILj24EfiifffEEvT2_20rocsparse_direction_NS_24const_host_device_scalarIT0_EES1_PKS1_PKT1_SA_S7_PKT3_PKT4_S5_PT5_21rocsparse_index_base_b,comdat
.Lfunc_end7:
	.size	_ZN9rocsparseL20bsrxmvn_17_32_kernelILj24EfiifffEEvT2_20rocsparse_direction_NS_24const_host_device_scalarIT0_EES1_PKS1_PKT1_SA_S7_PKT3_PKT4_S5_PT5_21rocsparse_index_base_b, .Lfunc_end7-_ZN9rocsparseL20bsrxmvn_17_32_kernelILj24EfiifffEEvT2_20rocsparse_direction_NS_24const_host_device_scalarIT0_EES1_PKS1_PKT1_SA_S7_PKT3_PKT4_S5_PT5_21rocsparse_index_base_b
                                        ; -- End function
	.set _ZN9rocsparseL20bsrxmvn_17_32_kernelILj24EfiifffEEvT2_20rocsparse_direction_NS_24const_host_device_scalarIT0_EES1_PKS1_PKT1_SA_S7_PKT3_PKT4_S5_PT5_21rocsparse_index_base_b.num_vgpr, 12
	.set _ZN9rocsparseL20bsrxmvn_17_32_kernelILj24EfiifffEEvT2_20rocsparse_direction_NS_24const_host_device_scalarIT0_EES1_PKS1_PKT1_SA_S7_PKT3_PKT4_S5_PT5_21rocsparse_index_base_b.num_agpr, 0
	.set _ZN9rocsparseL20bsrxmvn_17_32_kernelILj24EfiifffEEvT2_20rocsparse_direction_NS_24const_host_device_scalarIT0_EES1_PKS1_PKT1_SA_S7_PKT3_PKT4_S5_PT5_21rocsparse_index_base_b.numbered_sgpr, 22
	.set _ZN9rocsparseL20bsrxmvn_17_32_kernelILj24EfiifffEEvT2_20rocsparse_direction_NS_24const_host_device_scalarIT0_EES1_PKS1_PKT1_SA_S7_PKT3_PKT4_S5_PT5_21rocsparse_index_base_b.num_named_barrier, 0
	.set _ZN9rocsparseL20bsrxmvn_17_32_kernelILj24EfiifffEEvT2_20rocsparse_direction_NS_24const_host_device_scalarIT0_EES1_PKS1_PKT1_SA_S7_PKT3_PKT4_S5_PT5_21rocsparse_index_base_b.private_seg_size, 0
	.set _ZN9rocsparseL20bsrxmvn_17_32_kernelILj24EfiifffEEvT2_20rocsparse_direction_NS_24const_host_device_scalarIT0_EES1_PKS1_PKT1_SA_S7_PKT3_PKT4_S5_PT5_21rocsparse_index_base_b.uses_vcc, 1
	.set _ZN9rocsparseL20bsrxmvn_17_32_kernelILj24EfiifffEEvT2_20rocsparse_direction_NS_24const_host_device_scalarIT0_EES1_PKS1_PKT1_SA_S7_PKT3_PKT4_S5_PT5_21rocsparse_index_base_b.uses_flat_scratch, 0
	.set _ZN9rocsparseL20bsrxmvn_17_32_kernelILj24EfiifffEEvT2_20rocsparse_direction_NS_24const_host_device_scalarIT0_EES1_PKS1_PKT1_SA_S7_PKT3_PKT4_S5_PT5_21rocsparse_index_base_b.has_dyn_sized_stack, 0
	.set _ZN9rocsparseL20bsrxmvn_17_32_kernelILj24EfiifffEEvT2_20rocsparse_direction_NS_24const_host_device_scalarIT0_EES1_PKS1_PKT1_SA_S7_PKT3_PKT4_S5_PT5_21rocsparse_index_base_b.has_recursion, 0
	.set _ZN9rocsparseL20bsrxmvn_17_32_kernelILj24EfiifffEEvT2_20rocsparse_direction_NS_24const_host_device_scalarIT0_EES1_PKS1_PKT1_SA_S7_PKT3_PKT4_S5_PT5_21rocsparse_index_base_b.has_indirect_call, 0
	.section	.AMDGPU.csdata,"",@progbits
; Kernel info:
; codeLenInByte = 1216
; TotalNumSgprs: 26
; NumVgprs: 12
; ScratchSize: 0
; MemoryBound: 0
; FloatMode: 240
; IeeeMode: 1
; LDSByteSize: 2304 bytes/workgroup (compile time only)
; SGPRBlocks: 8
; VGPRBlocks: 6
; NumSGPRsForWavesPerEU: 65
; NumVGPRsForWavesPerEU: 25
; Occupancy: 9
; WaveLimiterHint : 1
; COMPUTE_PGM_RSRC2:SCRATCH_EN: 0
; COMPUTE_PGM_RSRC2:USER_SGPR: 6
; COMPUTE_PGM_RSRC2:TRAP_HANDLER: 0
; COMPUTE_PGM_RSRC2:TGID_X_EN: 1
; COMPUTE_PGM_RSRC2:TGID_Y_EN: 0
; COMPUTE_PGM_RSRC2:TGID_Z_EN: 0
; COMPUTE_PGM_RSRC2:TIDIG_COMP_CNT: 0
	.section	.text._ZN9rocsparseL20bsrxmvn_17_32_kernelILj25EfiifffEEvT2_20rocsparse_direction_NS_24const_host_device_scalarIT0_EES1_PKS1_PKT1_SA_S7_PKT3_PKT4_S5_PT5_21rocsparse_index_base_b,"axG",@progbits,_ZN9rocsparseL20bsrxmvn_17_32_kernelILj25EfiifffEEvT2_20rocsparse_direction_NS_24const_host_device_scalarIT0_EES1_PKS1_PKT1_SA_S7_PKT3_PKT4_S5_PT5_21rocsparse_index_base_b,comdat
	.globl	_ZN9rocsparseL20bsrxmvn_17_32_kernelILj25EfiifffEEvT2_20rocsparse_direction_NS_24const_host_device_scalarIT0_EES1_PKS1_PKT1_SA_S7_PKT3_PKT4_S5_PT5_21rocsparse_index_base_b ; -- Begin function _ZN9rocsparseL20bsrxmvn_17_32_kernelILj25EfiifffEEvT2_20rocsparse_direction_NS_24const_host_device_scalarIT0_EES1_PKS1_PKT1_SA_S7_PKT3_PKT4_S5_PT5_21rocsparse_index_base_b
	.p2align	8
	.type	_ZN9rocsparseL20bsrxmvn_17_32_kernelILj25EfiifffEEvT2_20rocsparse_direction_NS_24const_host_device_scalarIT0_EES1_PKS1_PKT1_SA_S7_PKT3_PKT4_S5_PT5_21rocsparse_index_base_b,@function
_ZN9rocsparseL20bsrxmvn_17_32_kernelILj25EfiifffEEvT2_20rocsparse_direction_NS_24const_host_device_scalarIT0_EES1_PKS1_PKT1_SA_S7_PKT3_PKT4_S5_PT5_21rocsparse_index_base_b: ; @_ZN9rocsparseL20bsrxmvn_17_32_kernelILj25EfiifffEEvT2_20rocsparse_direction_NS_24const_host_device_scalarIT0_EES1_PKS1_PKT1_SA_S7_PKT3_PKT4_S5_PT5_21rocsparse_index_base_b
; %bb.0:
	s_load_dwordx2 s[18:19], s[4:5], 0x58
	s_load_dwordx2 s[14:15], s[4:5], 0x8
	;; [unrolled: 1-line block ×3, first 2 shown]
	s_waitcnt lgkmcnt(0)
	s_bitcmp1_b32 s19, 0
	s_cselect_b64 s[2:3], -1, 0
	s_xor_b64 s[0:1], s[2:3], -1
	s_and_b64 vcc, exec, s[2:3]
	s_cbranch_vccnz .LBB8_2
; %bb.1:
	s_load_dword s14, s[14:15], 0x0
.LBB8_2:
	s_andn2_b64 vcc, exec, s[0:1]
	s_cbranch_vccnz .LBB8_4
; %bb.3:
	s_load_dword s12, s[12:13], 0x0
.LBB8_4:
	s_waitcnt lgkmcnt(0)
	v_cmp_neq_f32_e64 s[0:1], s14, 0
	v_cmp_neq_f32_e64 s[2:3], s12, 1.0
	s_or_b64 s[0:1], s[0:1], s[2:3]
	s_andn2_b64 vcc, exec, s[0:1]
	s_cbranch_vccnz .LBB8_40
; %bb.5:
	s_load_dwordx4 s[0:3], s[4:5], 0x18
	s_load_dwordx2 s[8:9], s[4:5], 0x28
	s_waitcnt lgkmcnt(0)
	s_cmp_eq_u64 s[0:1], 0
	s_cbranch_scc1 .LBB8_7
; %bb.6:
	s_ashr_i32 s7, s6, 31
	s_lshl_b64 s[6:7], s[6:7], 2
	s_add_u32 s0, s0, s6
	s_addc_u32 s1, s1, s7
	s_load_dword s0, s[0:1], 0x0
	s_waitcnt lgkmcnt(0)
	s_sub_i32 s6, s0, s18
.LBB8_7:
	s_load_dword s0, s[4:5], 0x4
	s_load_dwordx2 s[16:17], s[4:5], 0x50
	v_mul_u32_u24_e32 v1, 0xa3e, v0
	v_mov_b32_e32 v2, 25
	v_mul_lo_u16_sdwa v2, v1, v2 dst_sel:DWORD dst_unused:UNUSED_PAD src0_sel:WORD_1 src1_sel:DWORD
	s_waitcnt lgkmcnt(0)
	s_cmp_eq_u32 s0, 1
	s_cselect_b64 vcc, -1, 0
	s_cmp_lg_u32 s0, 1
	s_cselect_b64 s[20:21], -1, 0
	s_ashr_i32 s7, s6, 31
	s_lshl_b64 s[0:1], s[6:7], 2
	s_add_u32 s2, s2, s0
	s_addc_u32 s3, s3, s1
	s_load_dword s7, s[2:3], 0x0
	s_add_u32 s2, s2, 4
	s_addc_u32 s3, s3, 0
	s_add_u32 s0, s8, s0
	s_addc_u32 s1, s9, s1
	s_cmp_eq_u64 s[8:9], 0
	s_cselect_b32 s1, s3, s1
	s_cselect_b32 s0, s2, s0
	s_load_dword s0, s[0:1], 0x0
	v_sub_u16_e32 v8, v0, v2
	v_mov_b32_e32 v7, 0
	v_lshlrev_b32_e32 v6, 2, v0
	s_waitcnt lgkmcnt(0)
	s_cmp_ge_i32 s7, s0
	s_cbranch_scc1 .LBB8_12
; %bb.8:
	s_load_dwordx4 s[8:11], s[4:5], 0x30
	s_load_dwordx2 s[2:3], s[4:5], 0x40
	s_sub_i32 s4, s0, s18
	s_mov_b32 s0, 0xffff
	s_movk_i32 s1, 0x271
	v_and_b32_sdwa v1, s0, v1 dst_sel:DWORD dst_unused:UNUSED_PAD src0_sel:DWORD src1_sel:WORD_1
	v_subrev_u32_e32 v2, 25, v1
	v_cmp_gt_u32_e64 s[0:1], s1, v0
	s_sub_i32 s5, s7, s18
	v_cndmask_b32_e64 v1, v2, v1, s[0:1]
	s_mul_i32 s1, s5, 0x9c4
	s_mul_hi_i32 s0, s5, 0x9c4
	s_waitcnt lgkmcnt(0)
	s_add_u32 s1, s10, s1
	s_addc_u32 s0, s11, s0
	v_cndmask_b32_e32 v1, v8, v1, vcc
	v_mov_b32_e32 v3, s0
	v_add_co_u32_e32 v2, vcc, s1, v6
	v_addc_co_u32_e32 v3, vcc, 0, v3, vcc
	s_movk_i32 s0, 0x270
	v_cmp_lt_u32_e32 vcc, s0, v0
	v_mov_b32_e32 v7, 0
	v_cndmask_b32_e64 v9, 0, 1, vcc
	s_branch .LBB8_10
.LBB8_9:                                ;   in Loop: Header=BB8_10 Depth=1
	s_or_b64 exec, exec, s[0:1]
	s_add_i32 s5, s5, 1
	s_cmp_lt_i32 s5, s4
	s_cbranch_scc0 .LBB8_12
.LBB8_10:                               ; =>This Inner Loop Header: Depth=1
	v_add_u32_e32 v4, s5, v9
	v_cmp_gt_i32_e32 vcc, s4, v4
	s_and_saveexec_b64 s[0:1], vcc
	s_cbranch_execz .LBB8_9
; %bb.11:                               ;   in Loop: Header=BB8_10 Depth=1
	v_ashrrev_i32_e32 v5, 31, v4
	v_lshlrev_b64 v[4:5], 2, v[4:5]
	v_mov_b32_e32 v10, s9
	v_add_co_u32_e32 v4, vcc, s8, v4
	v_addc_co_u32_e32 v5, vcc, v10, v5, vcc
	global_load_dword v4, v[4:5], off
	v_mov_b32_e32 v11, s3
	global_load_dword v10, v[2:3], off
	s_waitcnt vmcnt(1)
	v_subrev_u32_e32 v4, s18, v4
	v_mad_u64_u32 v[4:5], s[10:11], v4, 25, v[1:2]
	v_ashrrev_i32_e32 v5, 31, v4
	v_lshlrev_b64 v[4:5], 2, v[4:5]
	v_add_co_u32_e32 v4, vcc, s2, v4
	v_addc_co_u32_e32 v5, vcc, v11, v5, vcc
	global_load_dword v4, v[4:5], off
	v_add_co_u32_e32 v2, vcc, 0x9c4, v2
	v_addc_co_u32_e32 v3, vcc, 0, v3, vcc
	s_waitcnt vmcnt(0)
	v_fmac_f32_e32 v7, v10, v4
	s_branch .LBB8_9
.LBB8_12:
	s_and_b64 vcc, exec, s[20:21]
	ds_write_b32 v6, v7
	s_waitcnt lgkmcnt(0)
	s_barrier
	s_cbranch_vccz .LBB8_24
; %bb.13:
	v_cmp_gt_u16_e32 vcc, 9, v8
	s_and_saveexec_b64 s[0:1], vcc
	s_cbranch_execz .LBB8_15
; %bb.14:
	ds_read2_b32 v[1:2], v6 offset1:16
	s_waitcnt lgkmcnt(0)
	v_add_f32_e32 v1, v2, v1
	ds_write_b32 v6, v1
.LBB8_15:
	s_or_b64 exec, exec, s[0:1]
	v_cmp_gt_u16_e32 vcc, 8, v8
	s_waitcnt lgkmcnt(0)
	s_barrier
	s_and_saveexec_b64 s[0:1], vcc
	s_cbranch_execz .LBB8_17
; %bb.16:
	ds_read2_b32 v[1:2], v6 offset1:8
	s_waitcnt lgkmcnt(0)
	v_add_f32_e32 v1, v2, v1
	ds_write_b32 v6, v1
.LBB8_17:
	s_or_b64 exec, exec, s[0:1]
	v_cmp_gt_u16_e32 vcc, 4, v8
	s_waitcnt lgkmcnt(0)
	s_barrier
	;; [unrolled: 12-line block ×3, first 2 shown]
	s_and_saveexec_b64 s[0:1], vcc
	s_cbranch_execz .LBB8_21
; %bb.20:
	ds_read2_b32 v[1:2], v6 offset1:2
	s_waitcnt lgkmcnt(0)
	v_add_f32_e32 v1, v2, v1
	ds_write_b32 v6, v1
.LBB8_21:
	s_or_b64 exec, exec, s[0:1]
	v_cmp_gt_u32_e32 vcc, 25, v0
	v_mov_b32_e32 v1, v7
	s_waitcnt lgkmcnt(0)
	s_barrier
	s_and_saveexec_b64 s[0:1], vcc
	s_cbranch_execz .LBB8_23
; %bb.22:
	s_movk_i32 s2, 0x60
	v_mad_u32_u24 v1, v0, s2, v6
	ds_read2_b32 v[1:2], v1 offset1:1
	s_waitcnt lgkmcnt(0)
	v_add_f32_e32 v1, v1, v2
.LBB8_23:
	s_or_b64 exec, exec, s[0:1]
	s_branch .LBB8_36
.LBB8_24:
                                        ; implicit-def: $vgpr1
	s_cbranch_execz .LBB8_36
; %bb.25:
	s_movk_i32 s0, 0xe1
	v_cmp_gt_u32_e32 vcc, s0, v0
	s_and_saveexec_b64 s[0:1], vcc
	s_cbranch_execz .LBB8_27
; %bb.26:
	ds_read_b32 v1, v6 offset:1600
	ds_read_b32 v2, v6
	s_waitcnt lgkmcnt(0)
	v_add_f32_e32 v1, v1, v2
	ds_write_b32 v6, v1
.LBB8_27:
	s_or_b64 exec, exec, s[0:1]
	s_movk_i32 s0, 0xc8
	v_cmp_gt_u32_e32 vcc, s0, v0
	s_waitcnt lgkmcnt(0)
	s_barrier
	s_and_saveexec_b64 s[0:1], vcc
	s_cbranch_execz .LBB8_29
; %bb.28:
	ds_read2_b32 v[1:2], v6 offset1:200
	s_waitcnt lgkmcnt(0)
	v_add_f32_e32 v1, v2, v1
	ds_write_b32 v6, v1
.LBB8_29:
	s_or_b64 exec, exec, s[0:1]
	s_movk_i32 s0, 0x64
	v_cmp_gt_u32_e32 vcc, s0, v0
	s_waitcnt lgkmcnt(0)
	s_barrier
	s_and_saveexec_b64 s[0:1], vcc
	s_cbranch_execz .LBB8_31
; %bb.30:
	ds_read2_b32 v[1:2], v6 offset1:100
	s_waitcnt lgkmcnt(0)
	v_add_f32_e32 v1, v2, v1
	ds_write_b32 v6, v1
.LBB8_31:
	s_or_b64 exec, exec, s[0:1]
	v_cmp_gt_u32_e32 vcc, 50, v0
	s_waitcnt lgkmcnt(0)
	s_barrier
	s_and_saveexec_b64 s[0:1], vcc
	s_cbranch_execz .LBB8_33
; %bb.32:
	ds_read2_b32 v[1:2], v6 offset1:50
	s_waitcnt lgkmcnt(0)
	v_add_f32_e32 v1, v2, v1
	ds_write_b32 v6, v1
.LBB8_33:
	s_or_b64 exec, exec, s[0:1]
	v_cmp_gt_u32_e32 vcc, 25, v0
	s_waitcnt lgkmcnt(0)
	s_and_saveexec_b64 s[0:1], vcc
	s_cbranch_execz .LBB8_35
; %bb.34:
	ds_read2_b32 v[1:2], v6 offset1:25
	s_waitcnt lgkmcnt(0)
	v_add_f32_e32 v7, v1, v2
.LBB8_35:
	s_or_b64 exec, exec, s[0:1]
	v_mov_b32_e32 v1, v7
.LBB8_36:
	v_cmp_gt_u32_e32 vcc, 25, v0
	s_and_saveexec_b64 s[0:1], vcc
	s_cbranch_execz .LBB8_40
; %bb.37:
	v_cmp_eq_f32_e64 s[0:1], s12, 0
	s_and_b64 vcc, exec, s[0:1]
	v_mul_f32_e32 v1, s14, v1
	s_cbranch_vccz .LBB8_41
; %bb.38:
	v_mad_u64_u32 v[2:3], s[0:1], s6, 25, v[0:1]
	v_mov_b32_e32 v3, 0
	v_mov_b32_e32 v4, s17
	v_lshlrev_b64 v[2:3], 2, v[2:3]
	v_add_co_u32_e32 v2, vcc, s16, v2
	v_addc_co_u32_e32 v3, vcc, v4, v3, vcc
	global_store_dword v[2:3], v1, off
	s_cbranch_execnz .LBB8_40
.LBB8_39:
	v_mad_u64_u32 v[2:3], s[0:1], s6, 25, v[0:1]
	v_mov_b32_e32 v3, 0
	v_mov_b32_e32 v0, s17
	v_lshlrev_b64 v[2:3], 2, v[2:3]
	v_add_co_u32_e32 v2, vcc, s16, v2
	v_addc_co_u32_e32 v3, vcc, v0, v3, vcc
	global_load_dword v0, v[2:3], off
	s_waitcnt vmcnt(0)
	v_fmac_f32_e32 v1, s12, v0
	global_store_dword v[2:3], v1, off
.LBB8_40:
	s_endpgm
.LBB8_41:
	s_branch .LBB8_39
	.section	.rodata,"a",@progbits
	.p2align	6, 0x0
	.amdhsa_kernel _ZN9rocsparseL20bsrxmvn_17_32_kernelILj25EfiifffEEvT2_20rocsparse_direction_NS_24const_host_device_scalarIT0_EES1_PKS1_PKT1_SA_S7_PKT3_PKT4_S5_PT5_21rocsparse_index_base_b
		.amdhsa_group_segment_fixed_size 2500
		.amdhsa_private_segment_fixed_size 0
		.amdhsa_kernarg_size 96
		.amdhsa_user_sgpr_count 6
		.amdhsa_user_sgpr_private_segment_buffer 1
		.amdhsa_user_sgpr_dispatch_ptr 0
		.amdhsa_user_sgpr_queue_ptr 0
		.amdhsa_user_sgpr_kernarg_segment_ptr 1
		.amdhsa_user_sgpr_dispatch_id 0
		.amdhsa_user_sgpr_flat_scratch_init 0
		.amdhsa_user_sgpr_private_segment_size 0
		.amdhsa_uses_dynamic_stack 0
		.amdhsa_system_sgpr_private_segment_wavefront_offset 0
		.amdhsa_system_sgpr_workgroup_id_x 1
		.amdhsa_system_sgpr_workgroup_id_y 0
		.amdhsa_system_sgpr_workgroup_id_z 0
		.amdhsa_system_sgpr_workgroup_info 0
		.amdhsa_system_vgpr_workitem_id 0
		.amdhsa_next_free_vgpr 12
		.amdhsa_next_free_sgpr 22
		.amdhsa_reserve_vcc 1
		.amdhsa_reserve_flat_scratch 0
		.amdhsa_float_round_mode_32 0
		.amdhsa_float_round_mode_16_64 0
		.amdhsa_float_denorm_mode_32 3
		.amdhsa_float_denorm_mode_16_64 3
		.amdhsa_dx10_clamp 1
		.amdhsa_ieee_mode 1
		.amdhsa_fp16_overflow 0
		.amdhsa_exception_fp_ieee_invalid_op 0
		.amdhsa_exception_fp_denorm_src 0
		.amdhsa_exception_fp_ieee_div_zero 0
		.amdhsa_exception_fp_ieee_overflow 0
		.amdhsa_exception_fp_ieee_underflow 0
		.amdhsa_exception_fp_ieee_inexact 0
		.amdhsa_exception_int_div_zero 0
	.end_amdhsa_kernel
	.section	.text._ZN9rocsparseL20bsrxmvn_17_32_kernelILj25EfiifffEEvT2_20rocsparse_direction_NS_24const_host_device_scalarIT0_EES1_PKS1_PKT1_SA_S7_PKT3_PKT4_S5_PT5_21rocsparse_index_base_b,"axG",@progbits,_ZN9rocsparseL20bsrxmvn_17_32_kernelILj25EfiifffEEvT2_20rocsparse_direction_NS_24const_host_device_scalarIT0_EES1_PKS1_PKT1_SA_S7_PKT3_PKT4_S5_PT5_21rocsparse_index_base_b,comdat
.Lfunc_end8:
	.size	_ZN9rocsparseL20bsrxmvn_17_32_kernelILj25EfiifffEEvT2_20rocsparse_direction_NS_24const_host_device_scalarIT0_EES1_PKS1_PKT1_SA_S7_PKT3_PKT4_S5_PT5_21rocsparse_index_base_b, .Lfunc_end8-_ZN9rocsparseL20bsrxmvn_17_32_kernelILj25EfiifffEEvT2_20rocsparse_direction_NS_24const_host_device_scalarIT0_EES1_PKS1_PKT1_SA_S7_PKT3_PKT4_S5_PT5_21rocsparse_index_base_b
                                        ; -- End function
	.set _ZN9rocsparseL20bsrxmvn_17_32_kernelILj25EfiifffEEvT2_20rocsparse_direction_NS_24const_host_device_scalarIT0_EES1_PKS1_PKT1_SA_S7_PKT3_PKT4_S5_PT5_21rocsparse_index_base_b.num_vgpr, 12
	.set _ZN9rocsparseL20bsrxmvn_17_32_kernelILj25EfiifffEEvT2_20rocsparse_direction_NS_24const_host_device_scalarIT0_EES1_PKS1_PKT1_SA_S7_PKT3_PKT4_S5_PT5_21rocsparse_index_base_b.num_agpr, 0
	.set _ZN9rocsparseL20bsrxmvn_17_32_kernelILj25EfiifffEEvT2_20rocsparse_direction_NS_24const_host_device_scalarIT0_EES1_PKS1_PKT1_SA_S7_PKT3_PKT4_S5_PT5_21rocsparse_index_base_b.numbered_sgpr, 22
	.set _ZN9rocsparseL20bsrxmvn_17_32_kernelILj25EfiifffEEvT2_20rocsparse_direction_NS_24const_host_device_scalarIT0_EES1_PKS1_PKT1_SA_S7_PKT3_PKT4_S5_PT5_21rocsparse_index_base_b.num_named_barrier, 0
	.set _ZN9rocsparseL20bsrxmvn_17_32_kernelILj25EfiifffEEvT2_20rocsparse_direction_NS_24const_host_device_scalarIT0_EES1_PKS1_PKT1_SA_S7_PKT3_PKT4_S5_PT5_21rocsparse_index_base_b.private_seg_size, 0
	.set _ZN9rocsparseL20bsrxmvn_17_32_kernelILj25EfiifffEEvT2_20rocsparse_direction_NS_24const_host_device_scalarIT0_EES1_PKS1_PKT1_SA_S7_PKT3_PKT4_S5_PT5_21rocsparse_index_base_b.uses_vcc, 1
	.set _ZN9rocsparseL20bsrxmvn_17_32_kernelILj25EfiifffEEvT2_20rocsparse_direction_NS_24const_host_device_scalarIT0_EES1_PKS1_PKT1_SA_S7_PKT3_PKT4_S5_PT5_21rocsparse_index_base_b.uses_flat_scratch, 0
	.set _ZN9rocsparseL20bsrxmvn_17_32_kernelILj25EfiifffEEvT2_20rocsparse_direction_NS_24const_host_device_scalarIT0_EES1_PKS1_PKT1_SA_S7_PKT3_PKT4_S5_PT5_21rocsparse_index_base_b.has_dyn_sized_stack, 0
	.set _ZN9rocsparseL20bsrxmvn_17_32_kernelILj25EfiifffEEvT2_20rocsparse_direction_NS_24const_host_device_scalarIT0_EES1_PKS1_PKT1_SA_S7_PKT3_PKT4_S5_PT5_21rocsparse_index_base_b.has_recursion, 0
	.set _ZN9rocsparseL20bsrxmvn_17_32_kernelILj25EfiifffEEvT2_20rocsparse_direction_NS_24const_host_device_scalarIT0_EES1_PKS1_PKT1_SA_S7_PKT3_PKT4_S5_PT5_21rocsparse_index_base_b.has_indirect_call, 0
	.section	.AMDGPU.csdata,"",@progbits
; Kernel info:
; codeLenInByte = 1236
; TotalNumSgprs: 26
; NumVgprs: 12
; ScratchSize: 0
; MemoryBound: 0
; FloatMode: 240
; IeeeMode: 1
; LDSByteSize: 2500 bytes/workgroup (compile time only)
; SGPRBlocks: 3
; VGPRBlocks: 2
; NumSGPRsForWavesPerEU: 26
; NumVGPRsForWavesPerEU: 12
; Occupancy: 10
; WaveLimiterHint : 1
; COMPUTE_PGM_RSRC2:SCRATCH_EN: 0
; COMPUTE_PGM_RSRC2:USER_SGPR: 6
; COMPUTE_PGM_RSRC2:TRAP_HANDLER: 0
; COMPUTE_PGM_RSRC2:TGID_X_EN: 1
; COMPUTE_PGM_RSRC2:TGID_Y_EN: 0
; COMPUTE_PGM_RSRC2:TGID_Z_EN: 0
; COMPUTE_PGM_RSRC2:TIDIG_COMP_CNT: 0
	.section	.text._ZN9rocsparseL20bsrxmvn_17_32_kernelILj26EfiifffEEvT2_20rocsparse_direction_NS_24const_host_device_scalarIT0_EES1_PKS1_PKT1_SA_S7_PKT3_PKT4_S5_PT5_21rocsparse_index_base_b,"axG",@progbits,_ZN9rocsparseL20bsrxmvn_17_32_kernelILj26EfiifffEEvT2_20rocsparse_direction_NS_24const_host_device_scalarIT0_EES1_PKS1_PKT1_SA_S7_PKT3_PKT4_S5_PT5_21rocsparse_index_base_b,comdat
	.globl	_ZN9rocsparseL20bsrxmvn_17_32_kernelILj26EfiifffEEvT2_20rocsparse_direction_NS_24const_host_device_scalarIT0_EES1_PKS1_PKT1_SA_S7_PKT3_PKT4_S5_PT5_21rocsparse_index_base_b ; -- Begin function _ZN9rocsparseL20bsrxmvn_17_32_kernelILj26EfiifffEEvT2_20rocsparse_direction_NS_24const_host_device_scalarIT0_EES1_PKS1_PKT1_SA_S7_PKT3_PKT4_S5_PT5_21rocsparse_index_base_b
	.p2align	8
	.type	_ZN9rocsparseL20bsrxmvn_17_32_kernelILj26EfiifffEEvT2_20rocsparse_direction_NS_24const_host_device_scalarIT0_EES1_PKS1_PKT1_SA_S7_PKT3_PKT4_S5_PT5_21rocsparse_index_base_b,@function
_ZN9rocsparseL20bsrxmvn_17_32_kernelILj26EfiifffEEvT2_20rocsparse_direction_NS_24const_host_device_scalarIT0_EES1_PKS1_PKT1_SA_S7_PKT3_PKT4_S5_PT5_21rocsparse_index_base_b: ; @_ZN9rocsparseL20bsrxmvn_17_32_kernelILj26EfiifffEEvT2_20rocsparse_direction_NS_24const_host_device_scalarIT0_EES1_PKS1_PKT1_SA_S7_PKT3_PKT4_S5_PT5_21rocsparse_index_base_b
; %bb.0:
	s_load_dwordx2 s[18:19], s[4:5], 0x58
	s_load_dwordx2 s[14:15], s[4:5], 0x8
	;; [unrolled: 1-line block ×3, first 2 shown]
	s_waitcnt lgkmcnt(0)
	s_bitcmp1_b32 s19, 0
	s_cselect_b64 s[2:3], -1, 0
	s_xor_b64 s[0:1], s[2:3], -1
	s_and_b64 vcc, exec, s[2:3]
	s_cbranch_vccnz .LBB9_2
; %bb.1:
	s_load_dword s14, s[14:15], 0x0
.LBB9_2:
	s_andn2_b64 vcc, exec, s[0:1]
	s_cbranch_vccnz .LBB9_4
; %bb.3:
	s_load_dword s12, s[12:13], 0x0
.LBB9_4:
	s_waitcnt lgkmcnt(0)
	v_cmp_neq_f32_e64 s[0:1], s14, 0
	v_cmp_neq_f32_e64 s[2:3], s12, 1.0
	s_or_b64 s[0:1], s[0:1], s[2:3]
	s_andn2_b64 vcc, exec, s[0:1]
	s_cbranch_vccnz .LBB9_40
; %bb.5:
	s_load_dwordx4 s[0:3], s[4:5], 0x18
	s_load_dwordx2 s[8:9], s[4:5], 0x28
	s_waitcnt lgkmcnt(0)
	s_cmp_eq_u64 s[0:1], 0
	s_cbranch_scc1 .LBB9_7
; %bb.6:
	s_ashr_i32 s7, s6, 31
	s_lshl_b64 s[6:7], s[6:7], 2
	s_add_u32 s0, s0, s6
	s_addc_u32 s1, s1, s7
	s_load_dword s0, s[0:1], 0x0
	s_waitcnt lgkmcnt(0)
	s_sub_i32 s6, s0, s18
.LBB9_7:
	s_load_dword s0, s[4:5], 0x4
	s_load_dwordx2 s[16:17], s[4:5], 0x50
	v_mul_u32_u24_e32 v1, 0x9d9, v0
	v_mov_b32_e32 v2, 26
	v_mul_lo_u16_sdwa v2, v1, v2 dst_sel:DWORD dst_unused:UNUSED_PAD src0_sel:WORD_1 src1_sel:DWORD
	s_waitcnt lgkmcnt(0)
	s_cmp_eq_u32 s0, 1
	s_cselect_b64 vcc, -1, 0
	s_cmp_lg_u32 s0, 1
	s_cselect_b64 s[20:21], -1, 0
	s_ashr_i32 s7, s6, 31
	s_lshl_b64 s[0:1], s[6:7], 2
	s_add_u32 s2, s2, s0
	s_addc_u32 s3, s3, s1
	s_load_dword s7, s[2:3], 0x0
	s_add_u32 s2, s2, 4
	s_addc_u32 s3, s3, 0
	s_add_u32 s0, s8, s0
	s_addc_u32 s1, s9, s1
	s_cmp_eq_u64 s[8:9], 0
	s_cselect_b32 s1, s3, s1
	s_cselect_b32 s0, s2, s0
	s_load_dword s0, s[0:1], 0x0
	v_sub_u16_e32 v8, v0, v2
	v_mov_b32_e32 v7, 0
	v_lshlrev_b32_e32 v6, 2, v0
	s_waitcnt lgkmcnt(0)
	s_cmp_ge_i32 s7, s0
	s_cbranch_scc1 .LBB9_12
; %bb.8:
	s_load_dwordx4 s[8:11], s[4:5], 0x30
	s_load_dwordx2 s[2:3], s[4:5], 0x40
	s_sub_i32 s4, s0, s18
	s_mov_b32 s0, 0xffff
	s_movk_i32 s1, 0x2a4
	v_and_b32_sdwa v1, s0, v1 dst_sel:DWORD dst_unused:UNUSED_PAD src0_sel:DWORD src1_sel:WORD_1
	v_subrev_u32_e32 v2, 26, v1
	v_cmp_gt_u32_e64 s[0:1], s1, v0
	s_sub_i32 s5, s7, s18
	v_cndmask_b32_e64 v1, v2, v1, s[0:1]
	s_mul_i32 s1, s5, 0xa90
	s_mul_hi_i32 s0, s5, 0xa90
	s_waitcnt lgkmcnt(0)
	s_add_u32 s1, s10, s1
	s_addc_u32 s0, s11, s0
	v_cndmask_b32_e32 v1, v8, v1, vcc
	v_mov_b32_e32 v3, s0
	v_add_co_u32_e32 v2, vcc, s1, v6
	v_addc_co_u32_e32 v3, vcc, 0, v3, vcc
	s_movk_i32 s0, 0x2a3
	v_cmp_lt_u32_e32 vcc, s0, v0
	v_mov_b32_e32 v7, 0
	v_cndmask_b32_e64 v9, 0, 1, vcc
	s_branch .LBB9_10
.LBB9_9:                                ;   in Loop: Header=BB9_10 Depth=1
	s_or_b64 exec, exec, s[0:1]
	s_add_i32 s5, s5, 1
	s_cmp_lt_i32 s5, s4
	s_cbranch_scc0 .LBB9_12
.LBB9_10:                               ; =>This Inner Loop Header: Depth=1
	v_add_u32_e32 v4, s5, v9
	v_cmp_gt_i32_e32 vcc, s4, v4
	s_and_saveexec_b64 s[0:1], vcc
	s_cbranch_execz .LBB9_9
; %bb.11:                               ;   in Loop: Header=BB9_10 Depth=1
	v_ashrrev_i32_e32 v5, 31, v4
	v_lshlrev_b64 v[4:5], 2, v[4:5]
	v_mov_b32_e32 v10, s9
	v_add_co_u32_e32 v4, vcc, s8, v4
	v_addc_co_u32_e32 v5, vcc, v10, v5, vcc
	global_load_dword v4, v[4:5], off
	v_mov_b32_e32 v11, s3
	global_load_dword v10, v[2:3], off
	s_waitcnt vmcnt(1)
	v_subrev_u32_e32 v4, s18, v4
	v_mad_u64_u32 v[4:5], s[10:11], v4, 26, v[1:2]
	v_ashrrev_i32_e32 v5, 31, v4
	v_lshlrev_b64 v[4:5], 2, v[4:5]
	v_add_co_u32_e32 v4, vcc, s2, v4
	v_addc_co_u32_e32 v5, vcc, v11, v5, vcc
	global_load_dword v4, v[4:5], off
	v_add_co_u32_e32 v2, vcc, 0xa90, v2
	v_addc_co_u32_e32 v3, vcc, 0, v3, vcc
	s_waitcnt vmcnt(0)
	v_fmac_f32_e32 v7, v10, v4
	s_branch .LBB9_9
.LBB9_12:
	s_and_b64 vcc, exec, s[20:21]
	ds_write_b32 v6, v7
	s_waitcnt lgkmcnt(0)
	s_barrier
	s_cbranch_vccz .LBB9_24
; %bb.13:
	v_cmp_gt_u16_e32 vcc, 10, v8
	s_and_saveexec_b64 s[0:1], vcc
	s_cbranch_execz .LBB9_15
; %bb.14:
	ds_read2_b32 v[1:2], v6 offset1:16
	s_waitcnt lgkmcnt(0)
	v_add_f32_e32 v1, v2, v1
	ds_write_b32 v6, v1
.LBB9_15:
	s_or_b64 exec, exec, s[0:1]
	v_cmp_gt_u16_e32 vcc, 8, v8
	s_waitcnt lgkmcnt(0)
	s_barrier
	s_and_saveexec_b64 s[0:1], vcc
	s_cbranch_execz .LBB9_17
; %bb.16:
	ds_read2_b32 v[1:2], v6 offset1:8
	s_waitcnt lgkmcnt(0)
	v_add_f32_e32 v1, v2, v1
	ds_write_b32 v6, v1
.LBB9_17:
	s_or_b64 exec, exec, s[0:1]
	v_cmp_gt_u16_e32 vcc, 4, v8
	s_waitcnt lgkmcnt(0)
	s_barrier
	;; [unrolled: 12-line block ×3, first 2 shown]
	s_and_saveexec_b64 s[0:1], vcc
	s_cbranch_execz .LBB9_21
; %bb.20:
	ds_read2_b32 v[1:2], v6 offset1:2
	s_waitcnt lgkmcnt(0)
	v_add_f32_e32 v1, v2, v1
	ds_write_b32 v6, v1
.LBB9_21:
	s_or_b64 exec, exec, s[0:1]
	v_cmp_gt_u32_e32 vcc, 26, v0
	v_mov_b32_e32 v1, v7
	s_waitcnt lgkmcnt(0)
	s_barrier
	s_and_saveexec_b64 s[0:1], vcc
	s_cbranch_execz .LBB9_23
; %bb.22:
	s_movk_i32 s2, 0x64
	v_mad_u32_u24 v1, v0, s2, v6
	ds_read_b64 v[1:2], v1
	s_waitcnt lgkmcnt(0)
	v_add_f32_e32 v1, v1, v2
.LBB9_23:
	s_or_b64 exec, exec, s[0:1]
	s_branch .LBB9_36
.LBB9_24:
                                        ; implicit-def: $vgpr1
	s_cbranch_execz .LBB9_36
; %bb.25:
	s_movk_i32 s0, 0x104
	v_cmp_gt_u32_e32 vcc, s0, v0
	s_and_saveexec_b64 s[0:1], vcc
	s_cbranch_execz .LBB9_27
; %bb.26:
	ds_read_b32 v1, v6 offset:1664
	ds_read_b32 v2, v6
	s_waitcnt lgkmcnt(0)
	v_add_f32_e32 v1, v1, v2
	ds_write_b32 v6, v1
.LBB9_27:
	s_or_b64 exec, exec, s[0:1]
	s_movk_i32 s0, 0xd0
	v_cmp_gt_u32_e32 vcc, s0, v0
	s_waitcnt lgkmcnt(0)
	s_barrier
	s_and_saveexec_b64 s[0:1], vcc
	s_cbranch_execz .LBB9_29
; %bb.28:
	ds_read2_b32 v[1:2], v6 offset1:208
	s_waitcnt lgkmcnt(0)
	v_add_f32_e32 v1, v2, v1
	ds_write_b32 v6, v1
.LBB9_29:
	s_or_b64 exec, exec, s[0:1]
	s_movk_i32 s0, 0x68
	v_cmp_gt_u32_e32 vcc, s0, v0
	s_waitcnt lgkmcnt(0)
	s_barrier
	s_and_saveexec_b64 s[0:1], vcc
	s_cbranch_execz .LBB9_31
; %bb.30:
	ds_read2_b32 v[1:2], v6 offset1:104
	s_waitcnt lgkmcnt(0)
	v_add_f32_e32 v1, v2, v1
	ds_write_b32 v6, v1
.LBB9_31:
	s_or_b64 exec, exec, s[0:1]
	v_cmp_gt_u32_e32 vcc, 52, v0
	s_waitcnt lgkmcnt(0)
	s_barrier
	s_and_saveexec_b64 s[0:1], vcc
	s_cbranch_execz .LBB9_33
; %bb.32:
	ds_read2_b32 v[1:2], v6 offset1:52
	s_waitcnt lgkmcnt(0)
	v_add_f32_e32 v1, v2, v1
	ds_write_b32 v6, v1
.LBB9_33:
	s_or_b64 exec, exec, s[0:1]
	v_cmp_gt_u32_e32 vcc, 26, v0
	s_waitcnt lgkmcnt(0)
	s_and_saveexec_b64 s[0:1], vcc
	s_cbranch_execz .LBB9_35
; %bb.34:
	ds_read2_b32 v[1:2], v6 offset1:26
	s_waitcnt lgkmcnt(0)
	v_add_f32_e32 v7, v1, v2
.LBB9_35:
	s_or_b64 exec, exec, s[0:1]
	v_mov_b32_e32 v1, v7
.LBB9_36:
	v_cmp_gt_u32_e32 vcc, 26, v0
	s_and_saveexec_b64 s[0:1], vcc
	s_cbranch_execz .LBB9_40
; %bb.37:
	v_cmp_eq_f32_e64 s[0:1], s12, 0
	s_and_b64 vcc, exec, s[0:1]
	v_mul_f32_e32 v1, s14, v1
	s_cbranch_vccz .LBB9_41
; %bb.38:
	v_mad_u64_u32 v[2:3], s[0:1], s6, 26, v[0:1]
	v_mov_b32_e32 v3, 0
	v_mov_b32_e32 v4, s17
	v_lshlrev_b64 v[2:3], 2, v[2:3]
	v_add_co_u32_e32 v2, vcc, s16, v2
	v_addc_co_u32_e32 v3, vcc, v4, v3, vcc
	global_store_dword v[2:3], v1, off
	s_cbranch_execnz .LBB9_40
.LBB9_39:
	v_mad_u64_u32 v[2:3], s[0:1], s6, 26, v[0:1]
	v_mov_b32_e32 v3, 0
	v_mov_b32_e32 v0, s17
	v_lshlrev_b64 v[2:3], 2, v[2:3]
	v_add_co_u32_e32 v2, vcc, s16, v2
	v_addc_co_u32_e32 v3, vcc, v0, v3, vcc
	global_load_dword v0, v[2:3], off
	s_waitcnt vmcnt(0)
	v_fmac_f32_e32 v1, s12, v0
	global_store_dword v[2:3], v1, off
.LBB9_40:
	s_endpgm
.LBB9_41:
	s_branch .LBB9_39
	.section	.rodata,"a",@progbits
	.p2align	6, 0x0
	.amdhsa_kernel _ZN9rocsparseL20bsrxmvn_17_32_kernelILj26EfiifffEEvT2_20rocsparse_direction_NS_24const_host_device_scalarIT0_EES1_PKS1_PKT1_SA_S7_PKT3_PKT4_S5_PT5_21rocsparse_index_base_b
		.amdhsa_group_segment_fixed_size 2704
		.amdhsa_private_segment_fixed_size 0
		.amdhsa_kernarg_size 96
		.amdhsa_user_sgpr_count 6
		.amdhsa_user_sgpr_private_segment_buffer 1
		.amdhsa_user_sgpr_dispatch_ptr 0
		.amdhsa_user_sgpr_queue_ptr 0
		.amdhsa_user_sgpr_kernarg_segment_ptr 1
		.amdhsa_user_sgpr_dispatch_id 0
		.amdhsa_user_sgpr_flat_scratch_init 0
		.amdhsa_user_sgpr_private_segment_size 0
		.amdhsa_uses_dynamic_stack 0
		.amdhsa_system_sgpr_private_segment_wavefront_offset 0
		.amdhsa_system_sgpr_workgroup_id_x 1
		.amdhsa_system_sgpr_workgroup_id_y 0
		.amdhsa_system_sgpr_workgroup_id_z 0
		.amdhsa_system_sgpr_workgroup_info 0
		.amdhsa_system_vgpr_workitem_id 0
		.amdhsa_next_free_vgpr 25
		.amdhsa_next_free_sgpr 61
		.amdhsa_reserve_vcc 1
		.amdhsa_reserve_flat_scratch 0
		.amdhsa_float_round_mode_32 0
		.amdhsa_float_round_mode_16_64 0
		.amdhsa_float_denorm_mode_32 3
		.amdhsa_float_denorm_mode_16_64 3
		.amdhsa_dx10_clamp 1
		.amdhsa_ieee_mode 1
		.amdhsa_fp16_overflow 0
		.amdhsa_exception_fp_ieee_invalid_op 0
		.amdhsa_exception_fp_denorm_src 0
		.amdhsa_exception_fp_ieee_div_zero 0
		.amdhsa_exception_fp_ieee_overflow 0
		.amdhsa_exception_fp_ieee_underflow 0
		.amdhsa_exception_fp_ieee_inexact 0
		.amdhsa_exception_int_div_zero 0
	.end_amdhsa_kernel
	.section	.text._ZN9rocsparseL20bsrxmvn_17_32_kernelILj26EfiifffEEvT2_20rocsparse_direction_NS_24const_host_device_scalarIT0_EES1_PKS1_PKT1_SA_S7_PKT3_PKT4_S5_PT5_21rocsparse_index_base_b,"axG",@progbits,_ZN9rocsparseL20bsrxmvn_17_32_kernelILj26EfiifffEEvT2_20rocsparse_direction_NS_24const_host_device_scalarIT0_EES1_PKS1_PKT1_SA_S7_PKT3_PKT4_S5_PT5_21rocsparse_index_base_b,comdat
.Lfunc_end9:
	.size	_ZN9rocsparseL20bsrxmvn_17_32_kernelILj26EfiifffEEvT2_20rocsparse_direction_NS_24const_host_device_scalarIT0_EES1_PKS1_PKT1_SA_S7_PKT3_PKT4_S5_PT5_21rocsparse_index_base_b, .Lfunc_end9-_ZN9rocsparseL20bsrxmvn_17_32_kernelILj26EfiifffEEvT2_20rocsparse_direction_NS_24const_host_device_scalarIT0_EES1_PKS1_PKT1_SA_S7_PKT3_PKT4_S5_PT5_21rocsparse_index_base_b
                                        ; -- End function
	.set _ZN9rocsparseL20bsrxmvn_17_32_kernelILj26EfiifffEEvT2_20rocsparse_direction_NS_24const_host_device_scalarIT0_EES1_PKS1_PKT1_SA_S7_PKT3_PKT4_S5_PT5_21rocsparse_index_base_b.num_vgpr, 12
	.set _ZN9rocsparseL20bsrxmvn_17_32_kernelILj26EfiifffEEvT2_20rocsparse_direction_NS_24const_host_device_scalarIT0_EES1_PKS1_PKT1_SA_S7_PKT3_PKT4_S5_PT5_21rocsparse_index_base_b.num_agpr, 0
	.set _ZN9rocsparseL20bsrxmvn_17_32_kernelILj26EfiifffEEvT2_20rocsparse_direction_NS_24const_host_device_scalarIT0_EES1_PKS1_PKT1_SA_S7_PKT3_PKT4_S5_PT5_21rocsparse_index_base_b.numbered_sgpr, 22
	.set _ZN9rocsparseL20bsrxmvn_17_32_kernelILj26EfiifffEEvT2_20rocsparse_direction_NS_24const_host_device_scalarIT0_EES1_PKS1_PKT1_SA_S7_PKT3_PKT4_S5_PT5_21rocsparse_index_base_b.num_named_barrier, 0
	.set _ZN9rocsparseL20bsrxmvn_17_32_kernelILj26EfiifffEEvT2_20rocsparse_direction_NS_24const_host_device_scalarIT0_EES1_PKS1_PKT1_SA_S7_PKT3_PKT4_S5_PT5_21rocsparse_index_base_b.private_seg_size, 0
	.set _ZN9rocsparseL20bsrxmvn_17_32_kernelILj26EfiifffEEvT2_20rocsparse_direction_NS_24const_host_device_scalarIT0_EES1_PKS1_PKT1_SA_S7_PKT3_PKT4_S5_PT5_21rocsparse_index_base_b.uses_vcc, 1
	.set _ZN9rocsparseL20bsrxmvn_17_32_kernelILj26EfiifffEEvT2_20rocsparse_direction_NS_24const_host_device_scalarIT0_EES1_PKS1_PKT1_SA_S7_PKT3_PKT4_S5_PT5_21rocsparse_index_base_b.uses_flat_scratch, 0
	.set _ZN9rocsparseL20bsrxmvn_17_32_kernelILj26EfiifffEEvT2_20rocsparse_direction_NS_24const_host_device_scalarIT0_EES1_PKS1_PKT1_SA_S7_PKT3_PKT4_S5_PT5_21rocsparse_index_base_b.has_dyn_sized_stack, 0
	.set _ZN9rocsparseL20bsrxmvn_17_32_kernelILj26EfiifffEEvT2_20rocsparse_direction_NS_24const_host_device_scalarIT0_EES1_PKS1_PKT1_SA_S7_PKT3_PKT4_S5_PT5_21rocsparse_index_base_b.has_recursion, 0
	.set _ZN9rocsparseL20bsrxmvn_17_32_kernelILj26EfiifffEEvT2_20rocsparse_direction_NS_24const_host_device_scalarIT0_EES1_PKS1_PKT1_SA_S7_PKT3_PKT4_S5_PT5_21rocsparse_index_base_b.has_indirect_call, 0
	.section	.AMDGPU.csdata,"",@progbits
; Kernel info:
; codeLenInByte = 1236
; TotalNumSgprs: 26
; NumVgprs: 12
; ScratchSize: 0
; MemoryBound: 0
; FloatMode: 240
; IeeeMode: 1
; LDSByteSize: 2704 bytes/workgroup (compile time only)
; SGPRBlocks: 8
; VGPRBlocks: 6
; NumSGPRsForWavesPerEU: 65
; NumVGPRsForWavesPerEU: 25
; Occupancy: 9
; WaveLimiterHint : 1
; COMPUTE_PGM_RSRC2:SCRATCH_EN: 0
; COMPUTE_PGM_RSRC2:USER_SGPR: 6
; COMPUTE_PGM_RSRC2:TRAP_HANDLER: 0
; COMPUTE_PGM_RSRC2:TGID_X_EN: 1
; COMPUTE_PGM_RSRC2:TGID_Y_EN: 0
; COMPUTE_PGM_RSRC2:TGID_Z_EN: 0
; COMPUTE_PGM_RSRC2:TIDIG_COMP_CNT: 0
	.section	.text._ZN9rocsparseL20bsrxmvn_17_32_kernelILj27EfiifffEEvT2_20rocsparse_direction_NS_24const_host_device_scalarIT0_EES1_PKS1_PKT1_SA_S7_PKT3_PKT4_S5_PT5_21rocsparse_index_base_b,"axG",@progbits,_ZN9rocsparseL20bsrxmvn_17_32_kernelILj27EfiifffEEvT2_20rocsparse_direction_NS_24const_host_device_scalarIT0_EES1_PKS1_PKT1_SA_S7_PKT3_PKT4_S5_PT5_21rocsparse_index_base_b,comdat
	.globl	_ZN9rocsparseL20bsrxmvn_17_32_kernelILj27EfiifffEEvT2_20rocsparse_direction_NS_24const_host_device_scalarIT0_EES1_PKS1_PKT1_SA_S7_PKT3_PKT4_S5_PT5_21rocsparse_index_base_b ; -- Begin function _ZN9rocsparseL20bsrxmvn_17_32_kernelILj27EfiifffEEvT2_20rocsparse_direction_NS_24const_host_device_scalarIT0_EES1_PKS1_PKT1_SA_S7_PKT3_PKT4_S5_PT5_21rocsparse_index_base_b
	.p2align	8
	.type	_ZN9rocsparseL20bsrxmvn_17_32_kernelILj27EfiifffEEvT2_20rocsparse_direction_NS_24const_host_device_scalarIT0_EES1_PKS1_PKT1_SA_S7_PKT3_PKT4_S5_PT5_21rocsparse_index_base_b,@function
_ZN9rocsparseL20bsrxmvn_17_32_kernelILj27EfiifffEEvT2_20rocsparse_direction_NS_24const_host_device_scalarIT0_EES1_PKS1_PKT1_SA_S7_PKT3_PKT4_S5_PT5_21rocsparse_index_base_b: ; @_ZN9rocsparseL20bsrxmvn_17_32_kernelILj27EfiifffEEvT2_20rocsparse_direction_NS_24const_host_device_scalarIT0_EES1_PKS1_PKT1_SA_S7_PKT3_PKT4_S5_PT5_21rocsparse_index_base_b
; %bb.0:
	s_load_dwordx2 s[18:19], s[4:5], 0x58
	s_load_dwordx2 s[14:15], s[4:5], 0x8
	;; [unrolled: 1-line block ×3, first 2 shown]
	s_waitcnt lgkmcnt(0)
	s_bitcmp1_b32 s19, 0
	s_cselect_b64 s[2:3], -1, 0
	s_xor_b64 s[0:1], s[2:3], -1
	s_and_b64 vcc, exec, s[2:3]
	s_cbranch_vccnz .LBB10_2
; %bb.1:
	s_load_dword s14, s[14:15], 0x0
.LBB10_2:
	s_andn2_b64 vcc, exec, s[0:1]
	s_cbranch_vccnz .LBB10_4
; %bb.3:
	s_load_dword s12, s[12:13], 0x0
.LBB10_4:
	s_waitcnt lgkmcnt(0)
	v_cmp_neq_f32_e64 s[0:1], s14, 0
	v_cmp_neq_f32_e64 s[2:3], s12, 1.0
	s_or_b64 s[0:1], s[0:1], s[2:3]
	s_andn2_b64 vcc, exec, s[0:1]
	s_cbranch_vccnz .LBB10_40
; %bb.5:
	s_load_dwordx4 s[0:3], s[4:5], 0x18
	s_load_dwordx2 s[8:9], s[4:5], 0x28
	s_waitcnt lgkmcnt(0)
	s_cmp_eq_u64 s[0:1], 0
	s_cbranch_scc1 .LBB10_7
; %bb.6:
	s_ashr_i32 s7, s6, 31
	s_lshl_b64 s[6:7], s[6:7], 2
	s_add_u32 s0, s0, s6
	s_addc_u32 s1, s1, s7
	s_load_dword s0, s[0:1], 0x0
	s_waitcnt lgkmcnt(0)
	s_sub_i32 s6, s0, s18
.LBB10_7:
	s_load_dword s0, s[4:5], 0x4
	s_load_dwordx2 s[16:17], s[4:5], 0x50
	v_mul_u32_u24_e32 v1, 0x97c, v0
	v_mov_b32_e32 v2, 27
	v_mul_lo_u16_sdwa v2, v1, v2 dst_sel:DWORD dst_unused:UNUSED_PAD src0_sel:WORD_1 src1_sel:DWORD
	s_waitcnt lgkmcnt(0)
	s_cmp_eq_u32 s0, 1
	s_cselect_b64 vcc, -1, 0
	s_cmp_lg_u32 s0, 1
	s_cselect_b64 s[20:21], -1, 0
	s_ashr_i32 s7, s6, 31
	s_lshl_b64 s[0:1], s[6:7], 2
	s_add_u32 s2, s2, s0
	s_addc_u32 s3, s3, s1
	s_load_dword s7, s[2:3], 0x0
	s_add_u32 s2, s2, 4
	s_addc_u32 s3, s3, 0
	s_add_u32 s0, s8, s0
	s_addc_u32 s1, s9, s1
	s_cmp_eq_u64 s[8:9], 0
	s_cselect_b32 s1, s3, s1
	s_cselect_b32 s0, s2, s0
	s_load_dword s0, s[0:1], 0x0
	v_sub_u16_e32 v8, v0, v2
	v_mov_b32_e32 v7, 0
	v_lshlrev_b32_e32 v6, 2, v0
	s_waitcnt lgkmcnt(0)
	s_cmp_ge_i32 s7, s0
	s_cbranch_scc1 .LBB10_12
; %bb.8:
	s_load_dwordx4 s[8:11], s[4:5], 0x30
	s_load_dwordx2 s[2:3], s[4:5], 0x40
	s_sub_i32 s4, s0, s18
	s_mov_b32 s0, 0xffff
	s_movk_i32 s1, 0x2d9
	v_and_b32_sdwa v1, s0, v1 dst_sel:DWORD dst_unused:UNUSED_PAD src0_sel:DWORD src1_sel:WORD_1
	v_subrev_u32_e32 v2, 27, v1
	v_cmp_gt_u32_e64 s[0:1], s1, v0
	s_sub_i32 s5, s7, s18
	v_cndmask_b32_e64 v1, v2, v1, s[0:1]
	s_mul_i32 s1, s5, 0xb64
	s_mul_hi_i32 s0, s5, 0xb64
	s_waitcnt lgkmcnt(0)
	s_add_u32 s1, s10, s1
	s_addc_u32 s0, s11, s0
	v_cndmask_b32_e32 v1, v8, v1, vcc
	v_mov_b32_e32 v3, s0
	v_add_co_u32_e32 v2, vcc, s1, v6
	v_addc_co_u32_e32 v3, vcc, 0, v3, vcc
	s_movk_i32 s0, 0x2d8
	v_cmp_lt_u32_e32 vcc, s0, v0
	v_mov_b32_e32 v7, 0
	v_cndmask_b32_e64 v9, 0, 1, vcc
	s_branch .LBB10_10
.LBB10_9:                               ;   in Loop: Header=BB10_10 Depth=1
	s_or_b64 exec, exec, s[0:1]
	s_add_i32 s5, s5, 1
	s_cmp_lt_i32 s5, s4
	s_cbranch_scc0 .LBB10_12
.LBB10_10:                              ; =>This Inner Loop Header: Depth=1
	v_add_u32_e32 v4, s5, v9
	v_cmp_gt_i32_e32 vcc, s4, v4
	s_and_saveexec_b64 s[0:1], vcc
	s_cbranch_execz .LBB10_9
; %bb.11:                               ;   in Loop: Header=BB10_10 Depth=1
	v_ashrrev_i32_e32 v5, 31, v4
	v_lshlrev_b64 v[4:5], 2, v[4:5]
	v_mov_b32_e32 v10, s9
	v_add_co_u32_e32 v4, vcc, s8, v4
	v_addc_co_u32_e32 v5, vcc, v10, v5, vcc
	global_load_dword v4, v[4:5], off
	v_mov_b32_e32 v11, s3
	global_load_dword v10, v[2:3], off
	s_waitcnt vmcnt(1)
	v_subrev_u32_e32 v4, s18, v4
	v_mad_u64_u32 v[4:5], s[10:11], v4, 27, v[1:2]
	v_ashrrev_i32_e32 v5, 31, v4
	v_lshlrev_b64 v[4:5], 2, v[4:5]
	v_add_co_u32_e32 v4, vcc, s2, v4
	v_addc_co_u32_e32 v5, vcc, v11, v5, vcc
	global_load_dword v4, v[4:5], off
	v_add_co_u32_e32 v2, vcc, 0xb64, v2
	v_addc_co_u32_e32 v3, vcc, 0, v3, vcc
	s_waitcnt vmcnt(0)
	v_fmac_f32_e32 v7, v10, v4
	s_branch .LBB10_9
.LBB10_12:
	s_and_b64 vcc, exec, s[20:21]
	ds_write_b32 v6, v7
	s_waitcnt lgkmcnt(0)
	s_barrier
	s_cbranch_vccz .LBB10_24
; %bb.13:
	v_cmp_gt_u16_e32 vcc, 11, v8
	s_and_saveexec_b64 s[0:1], vcc
	s_cbranch_execz .LBB10_15
; %bb.14:
	ds_read2_b32 v[1:2], v6 offset1:16
	s_waitcnt lgkmcnt(0)
	v_add_f32_e32 v1, v2, v1
	ds_write_b32 v6, v1
.LBB10_15:
	s_or_b64 exec, exec, s[0:1]
	v_cmp_gt_u16_e32 vcc, 8, v8
	s_waitcnt lgkmcnt(0)
	s_barrier
	s_and_saveexec_b64 s[0:1], vcc
	s_cbranch_execz .LBB10_17
; %bb.16:
	ds_read2_b32 v[1:2], v6 offset1:8
	s_waitcnt lgkmcnt(0)
	v_add_f32_e32 v1, v2, v1
	ds_write_b32 v6, v1
.LBB10_17:
	s_or_b64 exec, exec, s[0:1]
	v_cmp_gt_u16_e32 vcc, 4, v8
	s_waitcnt lgkmcnt(0)
	s_barrier
	;; [unrolled: 12-line block ×3, first 2 shown]
	s_and_saveexec_b64 s[0:1], vcc
	s_cbranch_execz .LBB10_21
; %bb.20:
	ds_read2_b32 v[1:2], v6 offset1:2
	s_waitcnt lgkmcnt(0)
	v_add_f32_e32 v1, v2, v1
	ds_write_b32 v6, v1
.LBB10_21:
	s_or_b64 exec, exec, s[0:1]
	v_cmp_gt_u32_e32 vcc, 27, v0
	v_mov_b32_e32 v1, v7
	s_waitcnt lgkmcnt(0)
	s_barrier
	s_and_saveexec_b64 s[0:1], vcc
	s_cbranch_execz .LBB10_23
; %bb.22:
	s_movk_i32 s2, 0x68
	v_mad_u32_u24 v1, v0, s2, v6
	ds_read2_b32 v[1:2], v1 offset1:1
	s_waitcnt lgkmcnt(0)
	v_add_f32_e32 v1, v1, v2
.LBB10_23:
	s_or_b64 exec, exec, s[0:1]
	s_branch .LBB10_36
.LBB10_24:
                                        ; implicit-def: $vgpr1
	s_cbranch_execz .LBB10_36
; %bb.25:
	s_movk_i32 s0, 0x129
	v_cmp_gt_u32_e32 vcc, s0, v0
	s_and_saveexec_b64 s[0:1], vcc
	s_cbranch_execz .LBB10_27
; %bb.26:
	ds_read_b32 v1, v6 offset:1728
	ds_read_b32 v2, v6
	s_waitcnt lgkmcnt(0)
	v_add_f32_e32 v1, v1, v2
	ds_write_b32 v6, v1
.LBB10_27:
	s_or_b64 exec, exec, s[0:1]
	s_movk_i32 s0, 0xd8
	v_cmp_gt_u32_e32 vcc, s0, v0
	s_waitcnt lgkmcnt(0)
	s_barrier
	s_and_saveexec_b64 s[0:1], vcc
	s_cbranch_execz .LBB10_29
; %bb.28:
	ds_read2_b32 v[1:2], v6 offset1:216
	s_waitcnt lgkmcnt(0)
	v_add_f32_e32 v1, v2, v1
	ds_write_b32 v6, v1
.LBB10_29:
	s_or_b64 exec, exec, s[0:1]
	s_movk_i32 s0, 0x6c
	v_cmp_gt_u32_e32 vcc, s0, v0
	s_waitcnt lgkmcnt(0)
	s_barrier
	s_and_saveexec_b64 s[0:1], vcc
	s_cbranch_execz .LBB10_31
; %bb.30:
	ds_read2_b32 v[1:2], v6 offset1:108
	s_waitcnt lgkmcnt(0)
	v_add_f32_e32 v1, v2, v1
	ds_write_b32 v6, v1
.LBB10_31:
	s_or_b64 exec, exec, s[0:1]
	v_cmp_gt_u32_e32 vcc, 54, v0
	s_waitcnt lgkmcnt(0)
	s_barrier
	s_and_saveexec_b64 s[0:1], vcc
	s_cbranch_execz .LBB10_33
; %bb.32:
	ds_read2_b32 v[1:2], v6 offset1:54
	s_waitcnt lgkmcnt(0)
	v_add_f32_e32 v1, v2, v1
	ds_write_b32 v6, v1
.LBB10_33:
	s_or_b64 exec, exec, s[0:1]
	v_cmp_gt_u32_e32 vcc, 27, v0
	s_waitcnt lgkmcnt(0)
	s_and_saveexec_b64 s[0:1], vcc
	s_cbranch_execz .LBB10_35
; %bb.34:
	ds_read2_b32 v[1:2], v6 offset1:27
	s_waitcnt lgkmcnt(0)
	v_add_f32_e32 v7, v1, v2
.LBB10_35:
	s_or_b64 exec, exec, s[0:1]
	v_mov_b32_e32 v1, v7
.LBB10_36:
	v_cmp_gt_u32_e32 vcc, 27, v0
	s_and_saveexec_b64 s[0:1], vcc
	s_cbranch_execz .LBB10_40
; %bb.37:
	v_cmp_eq_f32_e64 s[0:1], s12, 0
	s_and_b64 vcc, exec, s[0:1]
	v_mul_f32_e32 v1, s14, v1
	s_cbranch_vccz .LBB10_41
; %bb.38:
	v_mad_u64_u32 v[2:3], s[0:1], s6, 27, v[0:1]
	v_mov_b32_e32 v3, 0
	v_mov_b32_e32 v4, s17
	v_lshlrev_b64 v[2:3], 2, v[2:3]
	v_add_co_u32_e32 v2, vcc, s16, v2
	v_addc_co_u32_e32 v3, vcc, v4, v3, vcc
	global_store_dword v[2:3], v1, off
	s_cbranch_execnz .LBB10_40
.LBB10_39:
	v_mad_u64_u32 v[2:3], s[0:1], s6, 27, v[0:1]
	v_mov_b32_e32 v3, 0
	v_mov_b32_e32 v0, s17
	v_lshlrev_b64 v[2:3], 2, v[2:3]
	v_add_co_u32_e32 v2, vcc, s16, v2
	v_addc_co_u32_e32 v3, vcc, v0, v3, vcc
	global_load_dword v0, v[2:3], off
	s_waitcnt vmcnt(0)
	v_fmac_f32_e32 v1, s12, v0
	global_store_dword v[2:3], v1, off
.LBB10_40:
	s_endpgm
.LBB10_41:
	s_branch .LBB10_39
	.section	.rodata,"a",@progbits
	.p2align	6, 0x0
	.amdhsa_kernel _ZN9rocsparseL20bsrxmvn_17_32_kernelILj27EfiifffEEvT2_20rocsparse_direction_NS_24const_host_device_scalarIT0_EES1_PKS1_PKT1_SA_S7_PKT3_PKT4_S5_PT5_21rocsparse_index_base_b
		.amdhsa_group_segment_fixed_size 2916
		.amdhsa_private_segment_fixed_size 0
		.amdhsa_kernarg_size 96
		.amdhsa_user_sgpr_count 6
		.amdhsa_user_sgpr_private_segment_buffer 1
		.amdhsa_user_sgpr_dispatch_ptr 0
		.amdhsa_user_sgpr_queue_ptr 0
		.amdhsa_user_sgpr_kernarg_segment_ptr 1
		.amdhsa_user_sgpr_dispatch_id 0
		.amdhsa_user_sgpr_flat_scratch_init 0
		.amdhsa_user_sgpr_private_segment_size 0
		.amdhsa_uses_dynamic_stack 0
		.amdhsa_system_sgpr_private_segment_wavefront_offset 0
		.amdhsa_system_sgpr_workgroup_id_x 1
		.amdhsa_system_sgpr_workgroup_id_y 0
		.amdhsa_system_sgpr_workgroup_id_z 0
		.amdhsa_system_sgpr_workgroup_info 0
		.amdhsa_system_vgpr_workitem_id 0
		.amdhsa_next_free_vgpr 25
		.amdhsa_next_free_sgpr 61
		.amdhsa_reserve_vcc 1
		.amdhsa_reserve_flat_scratch 0
		.amdhsa_float_round_mode_32 0
		.amdhsa_float_round_mode_16_64 0
		.amdhsa_float_denorm_mode_32 3
		.amdhsa_float_denorm_mode_16_64 3
		.amdhsa_dx10_clamp 1
		.amdhsa_ieee_mode 1
		.amdhsa_fp16_overflow 0
		.amdhsa_exception_fp_ieee_invalid_op 0
		.amdhsa_exception_fp_denorm_src 0
		.amdhsa_exception_fp_ieee_div_zero 0
		.amdhsa_exception_fp_ieee_overflow 0
		.amdhsa_exception_fp_ieee_underflow 0
		.amdhsa_exception_fp_ieee_inexact 0
		.amdhsa_exception_int_div_zero 0
	.end_amdhsa_kernel
	.section	.text._ZN9rocsparseL20bsrxmvn_17_32_kernelILj27EfiifffEEvT2_20rocsparse_direction_NS_24const_host_device_scalarIT0_EES1_PKS1_PKT1_SA_S7_PKT3_PKT4_S5_PT5_21rocsparse_index_base_b,"axG",@progbits,_ZN9rocsparseL20bsrxmvn_17_32_kernelILj27EfiifffEEvT2_20rocsparse_direction_NS_24const_host_device_scalarIT0_EES1_PKS1_PKT1_SA_S7_PKT3_PKT4_S5_PT5_21rocsparse_index_base_b,comdat
.Lfunc_end10:
	.size	_ZN9rocsparseL20bsrxmvn_17_32_kernelILj27EfiifffEEvT2_20rocsparse_direction_NS_24const_host_device_scalarIT0_EES1_PKS1_PKT1_SA_S7_PKT3_PKT4_S5_PT5_21rocsparse_index_base_b, .Lfunc_end10-_ZN9rocsparseL20bsrxmvn_17_32_kernelILj27EfiifffEEvT2_20rocsparse_direction_NS_24const_host_device_scalarIT0_EES1_PKS1_PKT1_SA_S7_PKT3_PKT4_S5_PT5_21rocsparse_index_base_b
                                        ; -- End function
	.set _ZN9rocsparseL20bsrxmvn_17_32_kernelILj27EfiifffEEvT2_20rocsparse_direction_NS_24const_host_device_scalarIT0_EES1_PKS1_PKT1_SA_S7_PKT3_PKT4_S5_PT5_21rocsparse_index_base_b.num_vgpr, 12
	.set _ZN9rocsparseL20bsrxmvn_17_32_kernelILj27EfiifffEEvT2_20rocsparse_direction_NS_24const_host_device_scalarIT0_EES1_PKS1_PKT1_SA_S7_PKT3_PKT4_S5_PT5_21rocsparse_index_base_b.num_agpr, 0
	.set _ZN9rocsparseL20bsrxmvn_17_32_kernelILj27EfiifffEEvT2_20rocsparse_direction_NS_24const_host_device_scalarIT0_EES1_PKS1_PKT1_SA_S7_PKT3_PKT4_S5_PT5_21rocsparse_index_base_b.numbered_sgpr, 22
	.set _ZN9rocsparseL20bsrxmvn_17_32_kernelILj27EfiifffEEvT2_20rocsparse_direction_NS_24const_host_device_scalarIT0_EES1_PKS1_PKT1_SA_S7_PKT3_PKT4_S5_PT5_21rocsparse_index_base_b.num_named_barrier, 0
	.set _ZN9rocsparseL20bsrxmvn_17_32_kernelILj27EfiifffEEvT2_20rocsparse_direction_NS_24const_host_device_scalarIT0_EES1_PKS1_PKT1_SA_S7_PKT3_PKT4_S5_PT5_21rocsparse_index_base_b.private_seg_size, 0
	.set _ZN9rocsparseL20bsrxmvn_17_32_kernelILj27EfiifffEEvT2_20rocsparse_direction_NS_24const_host_device_scalarIT0_EES1_PKS1_PKT1_SA_S7_PKT3_PKT4_S5_PT5_21rocsparse_index_base_b.uses_vcc, 1
	.set _ZN9rocsparseL20bsrxmvn_17_32_kernelILj27EfiifffEEvT2_20rocsparse_direction_NS_24const_host_device_scalarIT0_EES1_PKS1_PKT1_SA_S7_PKT3_PKT4_S5_PT5_21rocsparse_index_base_b.uses_flat_scratch, 0
	.set _ZN9rocsparseL20bsrxmvn_17_32_kernelILj27EfiifffEEvT2_20rocsparse_direction_NS_24const_host_device_scalarIT0_EES1_PKS1_PKT1_SA_S7_PKT3_PKT4_S5_PT5_21rocsparse_index_base_b.has_dyn_sized_stack, 0
	.set _ZN9rocsparseL20bsrxmvn_17_32_kernelILj27EfiifffEEvT2_20rocsparse_direction_NS_24const_host_device_scalarIT0_EES1_PKS1_PKT1_SA_S7_PKT3_PKT4_S5_PT5_21rocsparse_index_base_b.has_recursion, 0
	.set _ZN9rocsparseL20bsrxmvn_17_32_kernelILj27EfiifffEEvT2_20rocsparse_direction_NS_24const_host_device_scalarIT0_EES1_PKS1_PKT1_SA_S7_PKT3_PKT4_S5_PT5_21rocsparse_index_base_b.has_indirect_call, 0
	.section	.AMDGPU.csdata,"",@progbits
; Kernel info:
; codeLenInByte = 1236
; TotalNumSgprs: 26
; NumVgprs: 12
; ScratchSize: 0
; MemoryBound: 0
; FloatMode: 240
; IeeeMode: 1
; LDSByteSize: 2916 bytes/workgroup (compile time only)
; SGPRBlocks: 8
; VGPRBlocks: 6
; NumSGPRsForWavesPerEU: 65
; NumVGPRsForWavesPerEU: 25
; Occupancy: 9
; WaveLimiterHint : 1
; COMPUTE_PGM_RSRC2:SCRATCH_EN: 0
; COMPUTE_PGM_RSRC2:USER_SGPR: 6
; COMPUTE_PGM_RSRC2:TRAP_HANDLER: 0
; COMPUTE_PGM_RSRC2:TGID_X_EN: 1
; COMPUTE_PGM_RSRC2:TGID_Y_EN: 0
; COMPUTE_PGM_RSRC2:TGID_Z_EN: 0
; COMPUTE_PGM_RSRC2:TIDIG_COMP_CNT: 0
	.section	.text._ZN9rocsparseL20bsrxmvn_17_32_kernelILj28EfiifffEEvT2_20rocsparse_direction_NS_24const_host_device_scalarIT0_EES1_PKS1_PKT1_SA_S7_PKT3_PKT4_S5_PT5_21rocsparse_index_base_b,"axG",@progbits,_ZN9rocsparseL20bsrxmvn_17_32_kernelILj28EfiifffEEvT2_20rocsparse_direction_NS_24const_host_device_scalarIT0_EES1_PKS1_PKT1_SA_S7_PKT3_PKT4_S5_PT5_21rocsparse_index_base_b,comdat
	.globl	_ZN9rocsparseL20bsrxmvn_17_32_kernelILj28EfiifffEEvT2_20rocsparse_direction_NS_24const_host_device_scalarIT0_EES1_PKS1_PKT1_SA_S7_PKT3_PKT4_S5_PT5_21rocsparse_index_base_b ; -- Begin function _ZN9rocsparseL20bsrxmvn_17_32_kernelILj28EfiifffEEvT2_20rocsparse_direction_NS_24const_host_device_scalarIT0_EES1_PKS1_PKT1_SA_S7_PKT3_PKT4_S5_PT5_21rocsparse_index_base_b
	.p2align	8
	.type	_ZN9rocsparseL20bsrxmvn_17_32_kernelILj28EfiifffEEvT2_20rocsparse_direction_NS_24const_host_device_scalarIT0_EES1_PKS1_PKT1_SA_S7_PKT3_PKT4_S5_PT5_21rocsparse_index_base_b,@function
_ZN9rocsparseL20bsrxmvn_17_32_kernelILj28EfiifffEEvT2_20rocsparse_direction_NS_24const_host_device_scalarIT0_EES1_PKS1_PKT1_SA_S7_PKT3_PKT4_S5_PT5_21rocsparse_index_base_b: ; @_ZN9rocsparseL20bsrxmvn_17_32_kernelILj28EfiifffEEvT2_20rocsparse_direction_NS_24const_host_device_scalarIT0_EES1_PKS1_PKT1_SA_S7_PKT3_PKT4_S5_PT5_21rocsparse_index_base_b
; %bb.0:
	s_load_dwordx2 s[18:19], s[4:5], 0x58
	s_load_dwordx2 s[14:15], s[4:5], 0x8
	;; [unrolled: 1-line block ×3, first 2 shown]
	s_waitcnt lgkmcnt(0)
	s_bitcmp1_b32 s19, 0
	s_cselect_b64 s[2:3], -1, 0
	s_xor_b64 s[0:1], s[2:3], -1
	s_and_b64 vcc, exec, s[2:3]
	s_cbranch_vccnz .LBB11_2
; %bb.1:
	s_load_dword s14, s[14:15], 0x0
.LBB11_2:
	s_andn2_b64 vcc, exec, s[0:1]
	s_cbranch_vccnz .LBB11_4
; %bb.3:
	s_load_dword s12, s[12:13], 0x0
.LBB11_4:
	s_waitcnt lgkmcnt(0)
	v_cmp_neq_f32_e64 s[0:1], s14, 0
	v_cmp_neq_f32_e64 s[2:3], s12, 1.0
	s_or_b64 s[0:1], s[0:1], s[2:3]
	s_andn2_b64 vcc, exec, s[0:1]
	s_cbranch_vccnz .LBB11_40
; %bb.5:
	s_load_dwordx4 s[0:3], s[4:5], 0x18
	s_load_dwordx2 s[8:9], s[4:5], 0x28
	s_waitcnt lgkmcnt(0)
	s_cmp_eq_u64 s[0:1], 0
	s_cbranch_scc1 .LBB11_7
; %bb.6:
	s_ashr_i32 s7, s6, 31
	s_lshl_b64 s[6:7], s[6:7], 2
	s_add_u32 s0, s0, s6
	s_addc_u32 s1, s1, s7
	s_load_dword s0, s[0:1], 0x0
	s_waitcnt lgkmcnt(0)
	s_sub_i32 s6, s0, s18
.LBB11_7:
	s_load_dword s0, s[4:5], 0x4
	s_load_dwordx2 s[16:17], s[4:5], 0x50
	v_mul_u32_u24_e32 v1, 0x925, v0
	v_mov_b32_e32 v2, 28
	v_mul_lo_u16_sdwa v2, v1, v2 dst_sel:DWORD dst_unused:UNUSED_PAD src0_sel:WORD_1 src1_sel:DWORD
	s_waitcnt lgkmcnt(0)
	s_cmp_eq_u32 s0, 1
	s_cselect_b64 vcc, -1, 0
	s_cmp_lg_u32 s0, 1
	s_cselect_b64 s[20:21], -1, 0
	s_ashr_i32 s7, s6, 31
	s_lshl_b64 s[0:1], s[6:7], 2
	s_add_u32 s2, s2, s0
	s_addc_u32 s3, s3, s1
	s_load_dword s7, s[2:3], 0x0
	s_add_u32 s2, s2, 4
	s_addc_u32 s3, s3, 0
	s_add_u32 s0, s8, s0
	s_addc_u32 s1, s9, s1
	s_cmp_eq_u64 s[8:9], 0
	s_cselect_b32 s1, s3, s1
	s_cselect_b32 s0, s2, s0
	s_load_dword s0, s[0:1], 0x0
	v_sub_u16_e32 v8, v0, v2
	v_mov_b32_e32 v7, 0
	v_lshlrev_b32_e32 v6, 2, v0
	s_waitcnt lgkmcnt(0)
	s_cmp_ge_i32 s7, s0
	s_cbranch_scc1 .LBB11_12
; %bb.8:
	s_load_dwordx4 s[8:11], s[4:5], 0x30
	s_load_dwordx2 s[2:3], s[4:5], 0x40
	s_sub_i32 s4, s0, s18
	s_mov_b32 s0, 0xffff
	s_movk_i32 s1, 0x310
	v_and_b32_sdwa v1, s0, v1 dst_sel:DWORD dst_unused:UNUSED_PAD src0_sel:DWORD src1_sel:WORD_1
	v_subrev_u32_e32 v2, 28, v1
	v_cmp_gt_u32_e64 s[0:1], s1, v0
	s_sub_i32 s5, s7, s18
	v_cndmask_b32_e64 v1, v2, v1, s[0:1]
	s_mul_i32 s1, s5, 0xc40
	s_mul_hi_i32 s0, s5, 0xc40
	s_waitcnt lgkmcnt(0)
	s_add_u32 s1, s10, s1
	s_addc_u32 s0, s11, s0
	v_cndmask_b32_e32 v1, v8, v1, vcc
	v_mov_b32_e32 v3, s0
	v_add_co_u32_e32 v2, vcc, s1, v6
	v_addc_co_u32_e32 v3, vcc, 0, v3, vcc
	s_movk_i32 s0, 0x30f
	v_cmp_lt_u32_e32 vcc, s0, v0
	v_mov_b32_e32 v7, 0
	v_cndmask_b32_e64 v9, 0, 1, vcc
	s_branch .LBB11_10
.LBB11_9:                               ;   in Loop: Header=BB11_10 Depth=1
	s_or_b64 exec, exec, s[0:1]
	s_add_i32 s5, s5, 1
	s_cmp_lt_i32 s5, s4
	s_cbranch_scc0 .LBB11_12
.LBB11_10:                              ; =>This Inner Loop Header: Depth=1
	v_add_u32_e32 v4, s5, v9
	v_cmp_gt_i32_e32 vcc, s4, v4
	s_and_saveexec_b64 s[0:1], vcc
	s_cbranch_execz .LBB11_9
; %bb.11:                               ;   in Loop: Header=BB11_10 Depth=1
	v_ashrrev_i32_e32 v5, 31, v4
	v_lshlrev_b64 v[4:5], 2, v[4:5]
	v_mov_b32_e32 v10, s9
	v_add_co_u32_e32 v4, vcc, s8, v4
	v_addc_co_u32_e32 v5, vcc, v10, v5, vcc
	global_load_dword v4, v[4:5], off
	v_mov_b32_e32 v11, s3
	global_load_dword v10, v[2:3], off
	s_waitcnt vmcnt(1)
	v_subrev_u32_e32 v4, s18, v4
	v_mad_u64_u32 v[4:5], s[10:11], v4, 28, v[1:2]
	v_ashrrev_i32_e32 v5, 31, v4
	v_lshlrev_b64 v[4:5], 2, v[4:5]
	v_add_co_u32_e32 v4, vcc, s2, v4
	v_addc_co_u32_e32 v5, vcc, v11, v5, vcc
	global_load_dword v4, v[4:5], off
	v_add_co_u32_e32 v2, vcc, 0xc40, v2
	v_addc_co_u32_e32 v3, vcc, 0, v3, vcc
	s_waitcnt vmcnt(0)
	v_fmac_f32_e32 v7, v10, v4
	s_branch .LBB11_9
.LBB11_12:
	s_and_b64 vcc, exec, s[20:21]
	ds_write_b32 v6, v7
	s_waitcnt lgkmcnt(0)
	s_barrier
	s_cbranch_vccz .LBB11_24
; %bb.13:
	v_cmp_gt_u16_e32 vcc, 12, v8
	s_and_saveexec_b64 s[0:1], vcc
	s_cbranch_execz .LBB11_15
; %bb.14:
	ds_read2_b32 v[1:2], v6 offset1:16
	s_waitcnt lgkmcnt(0)
	v_add_f32_e32 v1, v2, v1
	ds_write_b32 v6, v1
.LBB11_15:
	s_or_b64 exec, exec, s[0:1]
	v_cmp_gt_u16_e32 vcc, 8, v8
	s_waitcnt lgkmcnt(0)
	s_barrier
	s_and_saveexec_b64 s[0:1], vcc
	s_cbranch_execz .LBB11_17
; %bb.16:
	ds_read2_b32 v[1:2], v6 offset1:8
	s_waitcnt lgkmcnt(0)
	v_add_f32_e32 v1, v2, v1
	ds_write_b32 v6, v1
.LBB11_17:
	s_or_b64 exec, exec, s[0:1]
	v_cmp_gt_u16_e32 vcc, 4, v8
	s_waitcnt lgkmcnt(0)
	s_barrier
	;; [unrolled: 12-line block ×3, first 2 shown]
	s_and_saveexec_b64 s[0:1], vcc
	s_cbranch_execz .LBB11_21
; %bb.20:
	ds_read2_b32 v[1:2], v6 offset1:2
	s_waitcnt lgkmcnt(0)
	v_add_f32_e32 v1, v2, v1
	ds_write_b32 v6, v1
.LBB11_21:
	s_or_b64 exec, exec, s[0:1]
	v_cmp_gt_u32_e32 vcc, 28, v0
	v_mov_b32_e32 v1, v7
	s_waitcnt lgkmcnt(0)
	s_barrier
	s_and_saveexec_b64 s[0:1], vcc
	s_cbranch_execz .LBB11_23
; %bb.22:
	s_movk_i32 s2, 0x6c
	v_mad_u32_u24 v1, v0, s2, v6
	ds_read_b64 v[1:2], v1
	s_waitcnt lgkmcnt(0)
	v_add_f32_e32 v1, v1, v2
.LBB11_23:
	s_or_b64 exec, exec, s[0:1]
	s_branch .LBB11_36
.LBB11_24:
                                        ; implicit-def: $vgpr1
	s_cbranch_execz .LBB11_36
; %bb.25:
	s_movk_i32 s0, 0x150
	v_cmp_gt_u32_e32 vcc, s0, v0
	s_and_saveexec_b64 s[0:1], vcc
	s_cbranch_execz .LBB11_27
; %bb.26:
	ds_read2st64_b32 v[1:2], v6 offset1:7
	s_waitcnt lgkmcnt(0)
	v_add_f32_e32 v1, v2, v1
	ds_write_b32 v6, v1
.LBB11_27:
	s_or_b64 exec, exec, s[0:1]
	s_movk_i32 s0, 0xe0
	v_cmp_gt_u32_e32 vcc, s0, v0
	s_waitcnt lgkmcnt(0)
	s_barrier
	s_and_saveexec_b64 s[0:1], vcc
	s_cbranch_execz .LBB11_29
; %bb.28:
	ds_read2_b32 v[1:2], v6 offset1:224
	s_waitcnt lgkmcnt(0)
	v_add_f32_e32 v1, v2, v1
	ds_write_b32 v6, v1
.LBB11_29:
	s_or_b64 exec, exec, s[0:1]
	s_movk_i32 s0, 0x70
	v_cmp_gt_u32_e32 vcc, s0, v0
	s_waitcnt lgkmcnt(0)
	s_barrier
	s_and_saveexec_b64 s[0:1], vcc
	s_cbranch_execz .LBB11_31
; %bb.30:
	ds_read2_b32 v[1:2], v6 offset1:112
	s_waitcnt lgkmcnt(0)
	v_add_f32_e32 v1, v2, v1
	ds_write_b32 v6, v1
.LBB11_31:
	s_or_b64 exec, exec, s[0:1]
	v_cmp_gt_u32_e32 vcc, 56, v0
	s_waitcnt lgkmcnt(0)
	s_barrier
	s_and_saveexec_b64 s[0:1], vcc
	s_cbranch_execz .LBB11_33
; %bb.32:
	ds_read2_b32 v[1:2], v6 offset1:56
	s_waitcnt lgkmcnt(0)
	v_add_f32_e32 v1, v2, v1
	ds_write_b32 v6, v1
.LBB11_33:
	s_or_b64 exec, exec, s[0:1]
	v_cmp_gt_u32_e32 vcc, 28, v0
	s_waitcnt lgkmcnt(0)
	s_and_saveexec_b64 s[0:1], vcc
	s_cbranch_execz .LBB11_35
; %bb.34:
	ds_read2_b32 v[1:2], v6 offset1:28
	s_waitcnt lgkmcnt(0)
	v_add_f32_e32 v7, v1, v2
.LBB11_35:
	s_or_b64 exec, exec, s[0:1]
	v_mov_b32_e32 v1, v7
.LBB11_36:
	v_cmp_gt_u32_e32 vcc, 28, v0
	s_and_saveexec_b64 s[0:1], vcc
	s_cbranch_execz .LBB11_40
; %bb.37:
	v_cmp_eq_f32_e64 s[0:1], s12, 0
	s_and_b64 vcc, exec, s[0:1]
	v_mul_f32_e32 v1, s14, v1
	s_cbranch_vccz .LBB11_41
; %bb.38:
	v_mad_u64_u32 v[2:3], s[0:1], s6, 28, v[0:1]
	v_mov_b32_e32 v3, 0
	v_mov_b32_e32 v4, s17
	v_lshlrev_b64 v[2:3], 2, v[2:3]
	v_add_co_u32_e32 v2, vcc, s16, v2
	v_addc_co_u32_e32 v3, vcc, v4, v3, vcc
	global_store_dword v[2:3], v1, off
	s_cbranch_execnz .LBB11_40
.LBB11_39:
	v_mad_u64_u32 v[2:3], s[0:1], s6, 28, v[0:1]
	v_mov_b32_e32 v3, 0
	v_mov_b32_e32 v0, s17
	v_lshlrev_b64 v[2:3], 2, v[2:3]
	v_add_co_u32_e32 v2, vcc, s16, v2
	v_addc_co_u32_e32 v3, vcc, v0, v3, vcc
	global_load_dword v0, v[2:3], off
	s_waitcnt vmcnt(0)
	v_fmac_f32_e32 v1, s12, v0
	global_store_dword v[2:3], v1, off
.LBB11_40:
	s_endpgm
.LBB11_41:
	s_branch .LBB11_39
	.section	.rodata,"a",@progbits
	.p2align	6, 0x0
	.amdhsa_kernel _ZN9rocsparseL20bsrxmvn_17_32_kernelILj28EfiifffEEvT2_20rocsparse_direction_NS_24const_host_device_scalarIT0_EES1_PKS1_PKT1_SA_S7_PKT3_PKT4_S5_PT5_21rocsparse_index_base_b
		.amdhsa_group_segment_fixed_size 3136
		.amdhsa_private_segment_fixed_size 0
		.amdhsa_kernarg_size 96
		.amdhsa_user_sgpr_count 6
		.amdhsa_user_sgpr_private_segment_buffer 1
		.amdhsa_user_sgpr_dispatch_ptr 0
		.amdhsa_user_sgpr_queue_ptr 0
		.amdhsa_user_sgpr_kernarg_segment_ptr 1
		.amdhsa_user_sgpr_dispatch_id 0
		.amdhsa_user_sgpr_flat_scratch_init 0
		.amdhsa_user_sgpr_private_segment_size 0
		.amdhsa_uses_dynamic_stack 0
		.amdhsa_system_sgpr_private_segment_wavefront_offset 0
		.amdhsa_system_sgpr_workgroup_id_x 1
		.amdhsa_system_sgpr_workgroup_id_y 0
		.amdhsa_system_sgpr_workgroup_id_z 0
		.amdhsa_system_sgpr_workgroup_info 0
		.amdhsa_system_vgpr_workitem_id 0
		.amdhsa_next_free_vgpr 12
		.amdhsa_next_free_sgpr 22
		.amdhsa_reserve_vcc 1
		.amdhsa_reserve_flat_scratch 0
		.amdhsa_float_round_mode_32 0
		.amdhsa_float_round_mode_16_64 0
		.amdhsa_float_denorm_mode_32 3
		.amdhsa_float_denorm_mode_16_64 3
		.amdhsa_dx10_clamp 1
		.amdhsa_ieee_mode 1
		.amdhsa_fp16_overflow 0
		.amdhsa_exception_fp_ieee_invalid_op 0
		.amdhsa_exception_fp_denorm_src 0
		.amdhsa_exception_fp_ieee_div_zero 0
		.amdhsa_exception_fp_ieee_overflow 0
		.amdhsa_exception_fp_ieee_underflow 0
		.amdhsa_exception_fp_ieee_inexact 0
		.amdhsa_exception_int_div_zero 0
	.end_amdhsa_kernel
	.section	.text._ZN9rocsparseL20bsrxmvn_17_32_kernelILj28EfiifffEEvT2_20rocsparse_direction_NS_24const_host_device_scalarIT0_EES1_PKS1_PKT1_SA_S7_PKT3_PKT4_S5_PT5_21rocsparse_index_base_b,"axG",@progbits,_ZN9rocsparseL20bsrxmvn_17_32_kernelILj28EfiifffEEvT2_20rocsparse_direction_NS_24const_host_device_scalarIT0_EES1_PKS1_PKT1_SA_S7_PKT3_PKT4_S5_PT5_21rocsparse_index_base_b,comdat
.Lfunc_end11:
	.size	_ZN9rocsparseL20bsrxmvn_17_32_kernelILj28EfiifffEEvT2_20rocsparse_direction_NS_24const_host_device_scalarIT0_EES1_PKS1_PKT1_SA_S7_PKT3_PKT4_S5_PT5_21rocsparse_index_base_b, .Lfunc_end11-_ZN9rocsparseL20bsrxmvn_17_32_kernelILj28EfiifffEEvT2_20rocsparse_direction_NS_24const_host_device_scalarIT0_EES1_PKS1_PKT1_SA_S7_PKT3_PKT4_S5_PT5_21rocsparse_index_base_b
                                        ; -- End function
	.set _ZN9rocsparseL20bsrxmvn_17_32_kernelILj28EfiifffEEvT2_20rocsparse_direction_NS_24const_host_device_scalarIT0_EES1_PKS1_PKT1_SA_S7_PKT3_PKT4_S5_PT5_21rocsparse_index_base_b.num_vgpr, 12
	.set _ZN9rocsparseL20bsrxmvn_17_32_kernelILj28EfiifffEEvT2_20rocsparse_direction_NS_24const_host_device_scalarIT0_EES1_PKS1_PKT1_SA_S7_PKT3_PKT4_S5_PT5_21rocsparse_index_base_b.num_agpr, 0
	.set _ZN9rocsparseL20bsrxmvn_17_32_kernelILj28EfiifffEEvT2_20rocsparse_direction_NS_24const_host_device_scalarIT0_EES1_PKS1_PKT1_SA_S7_PKT3_PKT4_S5_PT5_21rocsparse_index_base_b.numbered_sgpr, 22
	.set _ZN9rocsparseL20bsrxmvn_17_32_kernelILj28EfiifffEEvT2_20rocsparse_direction_NS_24const_host_device_scalarIT0_EES1_PKS1_PKT1_SA_S7_PKT3_PKT4_S5_PT5_21rocsparse_index_base_b.num_named_barrier, 0
	.set _ZN9rocsparseL20bsrxmvn_17_32_kernelILj28EfiifffEEvT2_20rocsparse_direction_NS_24const_host_device_scalarIT0_EES1_PKS1_PKT1_SA_S7_PKT3_PKT4_S5_PT5_21rocsparse_index_base_b.private_seg_size, 0
	.set _ZN9rocsparseL20bsrxmvn_17_32_kernelILj28EfiifffEEvT2_20rocsparse_direction_NS_24const_host_device_scalarIT0_EES1_PKS1_PKT1_SA_S7_PKT3_PKT4_S5_PT5_21rocsparse_index_base_b.uses_vcc, 1
	.set _ZN9rocsparseL20bsrxmvn_17_32_kernelILj28EfiifffEEvT2_20rocsparse_direction_NS_24const_host_device_scalarIT0_EES1_PKS1_PKT1_SA_S7_PKT3_PKT4_S5_PT5_21rocsparse_index_base_b.uses_flat_scratch, 0
	.set _ZN9rocsparseL20bsrxmvn_17_32_kernelILj28EfiifffEEvT2_20rocsparse_direction_NS_24const_host_device_scalarIT0_EES1_PKS1_PKT1_SA_S7_PKT3_PKT4_S5_PT5_21rocsparse_index_base_b.has_dyn_sized_stack, 0
	.set _ZN9rocsparseL20bsrxmvn_17_32_kernelILj28EfiifffEEvT2_20rocsparse_direction_NS_24const_host_device_scalarIT0_EES1_PKS1_PKT1_SA_S7_PKT3_PKT4_S5_PT5_21rocsparse_index_base_b.has_recursion, 0
	.set _ZN9rocsparseL20bsrxmvn_17_32_kernelILj28EfiifffEEvT2_20rocsparse_direction_NS_24const_host_device_scalarIT0_EES1_PKS1_PKT1_SA_S7_PKT3_PKT4_S5_PT5_21rocsparse_index_base_b.has_indirect_call, 0
	.section	.AMDGPU.csdata,"",@progbits
; Kernel info:
; codeLenInByte = 1228
; TotalNumSgprs: 26
; NumVgprs: 12
; ScratchSize: 0
; MemoryBound: 0
; FloatMode: 240
; IeeeMode: 1
; LDSByteSize: 3136 bytes/workgroup (compile time only)
; SGPRBlocks: 3
; VGPRBlocks: 2
; NumSGPRsForWavesPerEU: 26
; NumVGPRsForWavesPerEU: 12
; Occupancy: 10
; WaveLimiterHint : 1
; COMPUTE_PGM_RSRC2:SCRATCH_EN: 0
; COMPUTE_PGM_RSRC2:USER_SGPR: 6
; COMPUTE_PGM_RSRC2:TRAP_HANDLER: 0
; COMPUTE_PGM_RSRC2:TGID_X_EN: 1
; COMPUTE_PGM_RSRC2:TGID_Y_EN: 0
; COMPUTE_PGM_RSRC2:TGID_Z_EN: 0
; COMPUTE_PGM_RSRC2:TIDIG_COMP_CNT: 0
	.section	.text._ZN9rocsparseL20bsrxmvn_17_32_kernelILj29EfiifffEEvT2_20rocsparse_direction_NS_24const_host_device_scalarIT0_EES1_PKS1_PKT1_SA_S7_PKT3_PKT4_S5_PT5_21rocsparse_index_base_b,"axG",@progbits,_ZN9rocsparseL20bsrxmvn_17_32_kernelILj29EfiifffEEvT2_20rocsparse_direction_NS_24const_host_device_scalarIT0_EES1_PKS1_PKT1_SA_S7_PKT3_PKT4_S5_PT5_21rocsparse_index_base_b,comdat
	.globl	_ZN9rocsparseL20bsrxmvn_17_32_kernelILj29EfiifffEEvT2_20rocsparse_direction_NS_24const_host_device_scalarIT0_EES1_PKS1_PKT1_SA_S7_PKT3_PKT4_S5_PT5_21rocsparse_index_base_b ; -- Begin function _ZN9rocsparseL20bsrxmvn_17_32_kernelILj29EfiifffEEvT2_20rocsparse_direction_NS_24const_host_device_scalarIT0_EES1_PKS1_PKT1_SA_S7_PKT3_PKT4_S5_PT5_21rocsparse_index_base_b
	.p2align	8
	.type	_ZN9rocsparseL20bsrxmvn_17_32_kernelILj29EfiifffEEvT2_20rocsparse_direction_NS_24const_host_device_scalarIT0_EES1_PKS1_PKT1_SA_S7_PKT3_PKT4_S5_PT5_21rocsparse_index_base_b,@function
_ZN9rocsparseL20bsrxmvn_17_32_kernelILj29EfiifffEEvT2_20rocsparse_direction_NS_24const_host_device_scalarIT0_EES1_PKS1_PKT1_SA_S7_PKT3_PKT4_S5_PT5_21rocsparse_index_base_b: ; @_ZN9rocsparseL20bsrxmvn_17_32_kernelILj29EfiifffEEvT2_20rocsparse_direction_NS_24const_host_device_scalarIT0_EES1_PKS1_PKT1_SA_S7_PKT3_PKT4_S5_PT5_21rocsparse_index_base_b
; %bb.0:
	s_load_dwordx2 s[18:19], s[4:5], 0x58
	s_load_dwordx2 s[14:15], s[4:5], 0x8
	;; [unrolled: 1-line block ×3, first 2 shown]
	s_waitcnt lgkmcnt(0)
	s_bitcmp1_b32 s19, 0
	s_cselect_b64 s[2:3], -1, 0
	s_xor_b64 s[0:1], s[2:3], -1
	s_and_b64 vcc, exec, s[2:3]
	s_cbranch_vccnz .LBB12_2
; %bb.1:
	s_load_dword s14, s[14:15], 0x0
.LBB12_2:
	s_andn2_b64 vcc, exec, s[0:1]
	s_cbranch_vccnz .LBB12_4
; %bb.3:
	s_load_dword s12, s[12:13], 0x0
.LBB12_4:
	s_waitcnt lgkmcnt(0)
	v_cmp_neq_f32_e64 s[0:1], s14, 0
	v_cmp_neq_f32_e64 s[2:3], s12, 1.0
	s_or_b64 s[0:1], s[0:1], s[2:3]
	s_andn2_b64 vcc, exec, s[0:1]
	s_cbranch_vccnz .LBB12_40
; %bb.5:
	s_load_dwordx4 s[0:3], s[4:5], 0x18
	s_load_dwordx2 s[8:9], s[4:5], 0x28
	s_waitcnt lgkmcnt(0)
	s_cmp_eq_u64 s[0:1], 0
	s_cbranch_scc1 .LBB12_7
; %bb.6:
	s_ashr_i32 s7, s6, 31
	s_lshl_b64 s[6:7], s[6:7], 2
	s_add_u32 s0, s0, s6
	s_addc_u32 s1, s1, s7
	s_load_dword s0, s[0:1], 0x0
	s_waitcnt lgkmcnt(0)
	s_sub_i32 s6, s0, s18
.LBB12_7:
	s_load_dword s0, s[4:5], 0x4
	s_load_dwordx2 s[16:17], s[4:5], 0x50
	v_mul_u32_u24_e32 v1, 0x8d4, v0
	v_mov_b32_e32 v2, 29
	v_mul_lo_u16_sdwa v2, v1, v2 dst_sel:DWORD dst_unused:UNUSED_PAD src0_sel:WORD_1 src1_sel:DWORD
	s_waitcnt lgkmcnt(0)
	s_cmp_eq_u32 s0, 1
	s_cselect_b64 vcc, -1, 0
	s_cmp_lg_u32 s0, 1
	s_cselect_b64 s[20:21], -1, 0
	s_ashr_i32 s7, s6, 31
	s_lshl_b64 s[0:1], s[6:7], 2
	s_add_u32 s2, s2, s0
	s_addc_u32 s3, s3, s1
	s_load_dword s7, s[2:3], 0x0
	s_add_u32 s2, s2, 4
	s_addc_u32 s3, s3, 0
	s_add_u32 s0, s8, s0
	s_addc_u32 s1, s9, s1
	s_cmp_eq_u64 s[8:9], 0
	s_cselect_b32 s1, s3, s1
	s_cselect_b32 s0, s2, s0
	s_load_dword s0, s[0:1], 0x0
	v_sub_u16_e32 v8, v0, v2
	v_mov_b32_e32 v7, 0
	v_lshlrev_b32_e32 v6, 2, v0
	s_waitcnt lgkmcnt(0)
	s_cmp_ge_i32 s7, s0
	s_cbranch_scc1 .LBB12_12
; %bb.8:
	s_load_dwordx4 s[8:11], s[4:5], 0x30
	s_load_dwordx2 s[2:3], s[4:5], 0x40
	s_sub_i32 s4, s0, s18
	s_mov_b32 s0, 0xffff
	s_movk_i32 s1, 0x349
	v_and_b32_sdwa v1, s0, v1 dst_sel:DWORD dst_unused:UNUSED_PAD src0_sel:DWORD src1_sel:WORD_1
	v_subrev_u32_e32 v2, 29, v1
	v_cmp_gt_u32_e64 s[0:1], s1, v0
	s_sub_i32 s5, s7, s18
	v_cndmask_b32_e64 v1, v2, v1, s[0:1]
	s_mul_i32 s1, s5, 0xd24
	s_mul_hi_i32 s0, s5, 0xd24
	s_waitcnt lgkmcnt(0)
	s_add_u32 s1, s10, s1
	s_addc_u32 s0, s11, s0
	v_cndmask_b32_e32 v1, v8, v1, vcc
	v_mov_b32_e32 v3, s0
	v_add_co_u32_e32 v2, vcc, s1, v6
	v_addc_co_u32_e32 v3, vcc, 0, v3, vcc
	s_movk_i32 s0, 0x348
	v_cmp_lt_u32_e32 vcc, s0, v0
	v_mov_b32_e32 v7, 0
	v_cndmask_b32_e64 v9, 0, 1, vcc
	s_branch .LBB12_10
.LBB12_9:                               ;   in Loop: Header=BB12_10 Depth=1
	s_or_b64 exec, exec, s[0:1]
	s_add_i32 s5, s5, 1
	s_cmp_lt_i32 s5, s4
	s_cbranch_scc0 .LBB12_12
.LBB12_10:                              ; =>This Inner Loop Header: Depth=1
	v_add_u32_e32 v4, s5, v9
	v_cmp_gt_i32_e32 vcc, s4, v4
	s_and_saveexec_b64 s[0:1], vcc
	s_cbranch_execz .LBB12_9
; %bb.11:                               ;   in Loop: Header=BB12_10 Depth=1
	v_ashrrev_i32_e32 v5, 31, v4
	v_lshlrev_b64 v[4:5], 2, v[4:5]
	v_mov_b32_e32 v10, s9
	v_add_co_u32_e32 v4, vcc, s8, v4
	v_addc_co_u32_e32 v5, vcc, v10, v5, vcc
	global_load_dword v4, v[4:5], off
	v_mov_b32_e32 v11, s3
	global_load_dword v10, v[2:3], off
	s_waitcnt vmcnt(1)
	v_subrev_u32_e32 v4, s18, v4
	v_mad_u64_u32 v[4:5], s[10:11], v4, 29, v[1:2]
	v_ashrrev_i32_e32 v5, 31, v4
	v_lshlrev_b64 v[4:5], 2, v[4:5]
	v_add_co_u32_e32 v4, vcc, s2, v4
	v_addc_co_u32_e32 v5, vcc, v11, v5, vcc
	global_load_dword v4, v[4:5], off
	v_add_co_u32_e32 v2, vcc, 0xd24, v2
	v_addc_co_u32_e32 v3, vcc, 0, v3, vcc
	s_waitcnt vmcnt(0)
	v_fmac_f32_e32 v7, v10, v4
	s_branch .LBB12_9
.LBB12_12:
	s_and_b64 vcc, exec, s[20:21]
	ds_write_b32 v6, v7
	s_waitcnt lgkmcnt(0)
	s_barrier
	s_cbranch_vccz .LBB12_24
; %bb.13:
	v_cmp_gt_u16_e32 vcc, 13, v8
	s_and_saveexec_b64 s[0:1], vcc
	s_cbranch_execz .LBB12_15
; %bb.14:
	ds_read2_b32 v[1:2], v6 offset1:16
	s_waitcnt lgkmcnt(0)
	v_add_f32_e32 v1, v2, v1
	ds_write_b32 v6, v1
.LBB12_15:
	s_or_b64 exec, exec, s[0:1]
	v_cmp_gt_u16_e32 vcc, 8, v8
	s_waitcnt lgkmcnt(0)
	s_barrier
	s_and_saveexec_b64 s[0:1], vcc
	s_cbranch_execz .LBB12_17
; %bb.16:
	ds_read2_b32 v[1:2], v6 offset1:8
	s_waitcnt lgkmcnt(0)
	v_add_f32_e32 v1, v2, v1
	ds_write_b32 v6, v1
.LBB12_17:
	s_or_b64 exec, exec, s[0:1]
	v_cmp_gt_u16_e32 vcc, 4, v8
	s_waitcnt lgkmcnt(0)
	s_barrier
	;; [unrolled: 12-line block ×3, first 2 shown]
	s_and_saveexec_b64 s[0:1], vcc
	s_cbranch_execz .LBB12_21
; %bb.20:
	ds_read2_b32 v[1:2], v6 offset1:2
	s_waitcnt lgkmcnt(0)
	v_add_f32_e32 v1, v2, v1
	ds_write_b32 v6, v1
.LBB12_21:
	s_or_b64 exec, exec, s[0:1]
	v_cmp_gt_u32_e32 vcc, 29, v0
	v_mov_b32_e32 v1, v7
	s_waitcnt lgkmcnt(0)
	s_barrier
	s_and_saveexec_b64 s[0:1], vcc
	s_cbranch_execz .LBB12_23
; %bb.22:
	s_movk_i32 s2, 0x70
	v_mad_u32_u24 v1, v0, s2, v6
	ds_read2_b32 v[1:2], v1 offset1:1
	s_waitcnt lgkmcnt(0)
	v_add_f32_e32 v1, v1, v2
.LBB12_23:
	s_or_b64 exec, exec, s[0:1]
	s_branch .LBB12_36
.LBB12_24:
                                        ; implicit-def: $vgpr1
	s_cbranch_execz .LBB12_36
; %bb.25:
	s_movk_i32 s0, 0x179
	v_cmp_gt_u32_e32 vcc, s0, v0
	s_and_saveexec_b64 s[0:1], vcc
	s_cbranch_execz .LBB12_27
; %bb.26:
	ds_read_b32 v1, v6 offset:1856
	ds_read_b32 v2, v6
	s_waitcnt lgkmcnt(0)
	v_add_f32_e32 v1, v1, v2
	ds_write_b32 v6, v1
.LBB12_27:
	s_or_b64 exec, exec, s[0:1]
	s_movk_i32 s0, 0xe8
	v_cmp_gt_u32_e32 vcc, s0, v0
	s_waitcnt lgkmcnt(0)
	s_barrier
	s_and_saveexec_b64 s[0:1], vcc
	s_cbranch_execz .LBB12_29
; %bb.28:
	ds_read2_b32 v[1:2], v6 offset1:232
	s_waitcnt lgkmcnt(0)
	v_add_f32_e32 v1, v2, v1
	ds_write_b32 v6, v1
.LBB12_29:
	s_or_b64 exec, exec, s[0:1]
	s_movk_i32 s0, 0x74
	v_cmp_gt_u32_e32 vcc, s0, v0
	s_waitcnt lgkmcnt(0)
	s_barrier
	s_and_saveexec_b64 s[0:1], vcc
	s_cbranch_execz .LBB12_31
; %bb.30:
	ds_read2_b32 v[1:2], v6 offset1:116
	s_waitcnt lgkmcnt(0)
	v_add_f32_e32 v1, v2, v1
	ds_write_b32 v6, v1
.LBB12_31:
	s_or_b64 exec, exec, s[0:1]
	v_cmp_gt_u32_e32 vcc, 58, v0
	s_waitcnt lgkmcnt(0)
	s_barrier
	s_and_saveexec_b64 s[0:1], vcc
	s_cbranch_execz .LBB12_33
; %bb.32:
	ds_read2_b32 v[1:2], v6 offset1:58
	s_waitcnt lgkmcnt(0)
	v_add_f32_e32 v1, v2, v1
	ds_write_b32 v6, v1
.LBB12_33:
	s_or_b64 exec, exec, s[0:1]
	v_cmp_gt_u32_e32 vcc, 29, v0
	s_waitcnt lgkmcnt(0)
	s_and_saveexec_b64 s[0:1], vcc
	s_cbranch_execz .LBB12_35
; %bb.34:
	ds_read2_b32 v[1:2], v6 offset1:29
	s_waitcnt lgkmcnt(0)
	v_add_f32_e32 v7, v1, v2
.LBB12_35:
	s_or_b64 exec, exec, s[0:1]
	v_mov_b32_e32 v1, v7
.LBB12_36:
	v_cmp_gt_u32_e32 vcc, 29, v0
	s_and_saveexec_b64 s[0:1], vcc
	s_cbranch_execz .LBB12_40
; %bb.37:
	v_cmp_eq_f32_e64 s[0:1], s12, 0
	s_and_b64 vcc, exec, s[0:1]
	v_mul_f32_e32 v1, s14, v1
	s_cbranch_vccz .LBB12_41
; %bb.38:
	v_mad_u64_u32 v[2:3], s[0:1], s6, 29, v[0:1]
	v_mov_b32_e32 v3, 0
	v_mov_b32_e32 v4, s17
	v_lshlrev_b64 v[2:3], 2, v[2:3]
	v_add_co_u32_e32 v2, vcc, s16, v2
	v_addc_co_u32_e32 v3, vcc, v4, v3, vcc
	global_store_dword v[2:3], v1, off
	s_cbranch_execnz .LBB12_40
.LBB12_39:
	v_mad_u64_u32 v[2:3], s[0:1], s6, 29, v[0:1]
	v_mov_b32_e32 v3, 0
	v_mov_b32_e32 v0, s17
	v_lshlrev_b64 v[2:3], 2, v[2:3]
	v_add_co_u32_e32 v2, vcc, s16, v2
	v_addc_co_u32_e32 v3, vcc, v0, v3, vcc
	global_load_dword v0, v[2:3], off
	s_waitcnt vmcnt(0)
	v_fmac_f32_e32 v1, s12, v0
	global_store_dword v[2:3], v1, off
.LBB12_40:
	s_endpgm
.LBB12_41:
	s_branch .LBB12_39
	.section	.rodata,"a",@progbits
	.p2align	6, 0x0
	.amdhsa_kernel _ZN9rocsparseL20bsrxmvn_17_32_kernelILj29EfiifffEEvT2_20rocsparse_direction_NS_24const_host_device_scalarIT0_EES1_PKS1_PKT1_SA_S7_PKT3_PKT4_S5_PT5_21rocsparse_index_base_b
		.amdhsa_group_segment_fixed_size 3364
		.amdhsa_private_segment_fixed_size 0
		.amdhsa_kernarg_size 96
		.amdhsa_user_sgpr_count 6
		.amdhsa_user_sgpr_private_segment_buffer 1
		.amdhsa_user_sgpr_dispatch_ptr 0
		.amdhsa_user_sgpr_queue_ptr 0
		.amdhsa_user_sgpr_kernarg_segment_ptr 1
		.amdhsa_user_sgpr_dispatch_id 0
		.amdhsa_user_sgpr_flat_scratch_init 0
		.amdhsa_user_sgpr_private_segment_size 0
		.amdhsa_uses_dynamic_stack 0
		.amdhsa_system_sgpr_private_segment_wavefront_offset 0
		.amdhsa_system_sgpr_workgroup_id_x 1
		.amdhsa_system_sgpr_workgroup_id_y 0
		.amdhsa_system_sgpr_workgroup_id_z 0
		.amdhsa_system_sgpr_workgroup_info 0
		.amdhsa_system_vgpr_workitem_id 0
		.amdhsa_next_free_vgpr 33
		.amdhsa_next_free_sgpr 77
		.amdhsa_reserve_vcc 1
		.amdhsa_reserve_flat_scratch 0
		.amdhsa_float_round_mode_32 0
		.amdhsa_float_round_mode_16_64 0
		.amdhsa_float_denorm_mode_32 3
		.amdhsa_float_denorm_mode_16_64 3
		.amdhsa_dx10_clamp 1
		.amdhsa_ieee_mode 1
		.amdhsa_fp16_overflow 0
		.amdhsa_exception_fp_ieee_invalid_op 0
		.amdhsa_exception_fp_denorm_src 0
		.amdhsa_exception_fp_ieee_div_zero 0
		.amdhsa_exception_fp_ieee_overflow 0
		.amdhsa_exception_fp_ieee_underflow 0
		.amdhsa_exception_fp_ieee_inexact 0
		.amdhsa_exception_int_div_zero 0
	.end_amdhsa_kernel
	.section	.text._ZN9rocsparseL20bsrxmvn_17_32_kernelILj29EfiifffEEvT2_20rocsparse_direction_NS_24const_host_device_scalarIT0_EES1_PKS1_PKT1_SA_S7_PKT3_PKT4_S5_PT5_21rocsparse_index_base_b,"axG",@progbits,_ZN9rocsparseL20bsrxmvn_17_32_kernelILj29EfiifffEEvT2_20rocsparse_direction_NS_24const_host_device_scalarIT0_EES1_PKS1_PKT1_SA_S7_PKT3_PKT4_S5_PT5_21rocsparse_index_base_b,comdat
.Lfunc_end12:
	.size	_ZN9rocsparseL20bsrxmvn_17_32_kernelILj29EfiifffEEvT2_20rocsparse_direction_NS_24const_host_device_scalarIT0_EES1_PKS1_PKT1_SA_S7_PKT3_PKT4_S5_PT5_21rocsparse_index_base_b, .Lfunc_end12-_ZN9rocsparseL20bsrxmvn_17_32_kernelILj29EfiifffEEvT2_20rocsparse_direction_NS_24const_host_device_scalarIT0_EES1_PKS1_PKT1_SA_S7_PKT3_PKT4_S5_PT5_21rocsparse_index_base_b
                                        ; -- End function
	.set _ZN9rocsparseL20bsrxmvn_17_32_kernelILj29EfiifffEEvT2_20rocsparse_direction_NS_24const_host_device_scalarIT0_EES1_PKS1_PKT1_SA_S7_PKT3_PKT4_S5_PT5_21rocsparse_index_base_b.num_vgpr, 12
	.set _ZN9rocsparseL20bsrxmvn_17_32_kernelILj29EfiifffEEvT2_20rocsparse_direction_NS_24const_host_device_scalarIT0_EES1_PKS1_PKT1_SA_S7_PKT3_PKT4_S5_PT5_21rocsparse_index_base_b.num_agpr, 0
	.set _ZN9rocsparseL20bsrxmvn_17_32_kernelILj29EfiifffEEvT2_20rocsparse_direction_NS_24const_host_device_scalarIT0_EES1_PKS1_PKT1_SA_S7_PKT3_PKT4_S5_PT5_21rocsparse_index_base_b.numbered_sgpr, 22
	.set _ZN9rocsparseL20bsrxmvn_17_32_kernelILj29EfiifffEEvT2_20rocsparse_direction_NS_24const_host_device_scalarIT0_EES1_PKS1_PKT1_SA_S7_PKT3_PKT4_S5_PT5_21rocsparse_index_base_b.num_named_barrier, 0
	.set _ZN9rocsparseL20bsrxmvn_17_32_kernelILj29EfiifffEEvT2_20rocsparse_direction_NS_24const_host_device_scalarIT0_EES1_PKS1_PKT1_SA_S7_PKT3_PKT4_S5_PT5_21rocsparse_index_base_b.private_seg_size, 0
	.set _ZN9rocsparseL20bsrxmvn_17_32_kernelILj29EfiifffEEvT2_20rocsparse_direction_NS_24const_host_device_scalarIT0_EES1_PKS1_PKT1_SA_S7_PKT3_PKT4_S5_PT5_21rocsparse_index_base_b.uses_vcc, 1
	.set _ZN9rocsparseL20bsrxmvn_17_32_kernelILj29EfiifffEEvT2_20rocsparse_direction_NS_24const_host_device_scalarIT0_EES1_PKS1_PKT1_SA_S7_PKT3_PKT4_S5_PT5_21rocsparse_index_base_b.uses_flat_scratch, 0
	.set _ZN9rocsparseL20bsrxmvn_17_32_kernelILj29EfiifffEEvT2_20rocsparse_direction_NS_24const_host_device_scalarIT0_EES1_PKS1_PKT1_SA_S7_PKT3_PKT4_S5_PT5_21rocsparse_index_base_b.has_dyn_sized_stack, 0
	.set _ZN9rocsparseL20bsrxmvn_17_32_kernelILj29EfiifffEEvT2_20rocsparse_direction_NS_24const_host_device_scalarIT0_EES1_PKS1_PKT1_SA_S7_PKT3_PKT4_S5_PT5_21rocsparse_index_base_b.has_recursion, 0
	.set _ZN9rocsparseL20bsrxmvn_17_32_kernelILj29EfiifffEEvT2_20rocsparse_direction_NS_24const_host_device_scalarIT0_EES1_PKS1_PKT1_SA_S7_PKT3_PKT4_S5_PT5_21rocsparse_index_base_b.has_indirect_call, 0
	.section	.AMDGPU.csdata,"",@progbits
; Kernel info:
; codeLenInByte = 1236
; TotalNumSgprs: 26
; NumVgprs: 12
; ScratchSize: 0
; MemoryBound: 0
; FloatMode: 240
; IeeeMode: 1
; LDSByteSize: 3364 bytes/workgroup (compile time only)
; SGPRBlocks: 10
; VGPRBlocks: 8
; NumSGPRsForWavesPerEU: 81
; NumVGPRsForWavesPerEU: 33
; Occupancy: 7
; WaveLimiterHint : 1
; COMPUTE_PGM_RSRC2:SCRATCH_EN: 0
; COMPUTE_PGM_RSRC2:USER_SGPR: 6
; COMPUTE_PGM_RSRC2:TRAP_HANDLER: 0
; COMPUTE_PGM_RSRC2:TGID_X_EN: 1
; COMPUTE_PGM_RSRC2:TGID_Y_EN: 0
; COMPUTE_PGM_RSRC2:TGID_Z_EN: 0
; COMPUTE_PGM_RSRC2:TIDIG_COMP_CNT: 0
	.section	.text._ZN9rocsparseL20bsrxmvn_17_32_kernelILj30EfiifffEEvT2_20rocsparse_direction_NS_24const_host_device_scalarIT0_EES1_PKS1_PKT1_SA_S7_PKT3_PKT4_S5_PT5_21rocsparse_index_base_b,"axG",@progbits,_ZN9rocsparseL20bsrxmvn_17_32_kernelILj30EfiifffEEvT2_20rocsparse_direction_NS_24const_host_device_scalarIT0_EES1_PKS1_PKT1_SA_S7_PKT3_PKT4_S5_PT5_21rocsparse_index_base_b,comdat
	.globl	_ZN9rocsparseL20bsrxmvn_17_32_kernelILj30EfiifffEEvT2_20rocsparse_direction_NS_24const_host_device_scalarIT0_EES1_PKS1_PKT1_SA_S7_PKT3_PKT4_S5_PT5_21rocsparse_index_base_b ; -- Begin function _ZN9rocsparseL20bsrxmvn_17_32_kernelILj30EfiifffEEvT2_20rocsparse_direction_NS_24const_host_device_scalarIT0_EES1_PKS1_PKT1_SA_S7_PKT3_PKT4_S5_PT5_21rocsparse_index_base_b
	.p2align	8
	.type	_ZN9rocsparseL20bsrxmvn_17_32_kernelILj30EfiifffEEvT2_20rocsparse_direction_NS_24const_host_device_scalarIT0_EES1_PKS1_PKT1_SA_S7_PKT3_PKT4_S5_PT5_21rocsparse_index_base_b,@function
_ZN9rocsparseL20bsrxmvn_17_32_kernelILj30EfiifffEEvT2_20rocsparse_direction_NS_24const_host_device_scalarIT0_EES1_PKS1_PKT1_SA_S7_PKT3_PKT4_S5_PT5_21rocsparse_index_base_b: ; @_ZN9rocsparseL20bsrxmvn_17_32_kernelILj30EfiifffEEvT2_20rocsparse_direction_NS_24const_host_device_scalarIT0_EES1_PKS1_PKT1_SA_S7_PKT3_PKT4_S5_PT5_21rocsparse_index_base_b
; %bb.0:
	s_load_dwordx2 s[18:19], s[4:5], 0x58
	s_load_dwordx2 s[14:15], s[4:5], 0x8
	;; [unrolled: 1-line block ×3, first 2 shown]
	s_waitcnt lgkmcnt(0)
	s_bitcmp1_b32 s19, 0
	s_cselect_b64 s[2:3], -1, 0
	s_xor_b64 s[0:1], s[2:3], -1
	s_and_b64 vcc, exec, s[2:3]
	s_cbranch_vccnz .LBB13_2
; %bb.1:
	s_load_dword s14, s[14:15], 0x0
.LBB13_2:
	s_andn2_b64 vcc, exec, s[0:1]
	s_cbranch_vccnz .LBB13_4
; %bb.3:
	s_load_dword s12, s[12:13], 0x0
.LBB13_4:
	s_waitcnt lgkmcnt(0)
	v_cmp_neq_f32_e64 s[0:1], s14, 0
	v_cmp_neq_f32_e64 s[2:3], s12, 1.0
	s_or_b64 s[0:1], s[0:1], s[2:3]
	s_andn2_b64 vcc, exec, s[0:1]
	s_cbranch_vccnz .LBB13_40
; %bb.5:
	s_load_dwordx4 s[0:3], s[4:5], 0x18
	s_load_dwordx2 s[8:9], s[4:5], 0x28
	s_waitcnt lgkmcnt(0)
	s_cmp_eq_u64 s[0:1], 0
	s_cbranch_scc1 .LBB13_7
; %bb.6:
	s_ashr_i32 s7, s6, 31
	s_lshl_b64 s[6:7], s[6:7], 2
	s_add_u32 s0, s0, s6
	s_addc_u32 s1, s1, s7
	s_load_dword s0, s[0:1], 0x0
	s_waitcnt lgkmcnt(0)
	s_sub_i32 s6, s0, s18
.LBB13_7:
	s_load_dword s0, s[4:5], 0x4
	s_load_dwordx2 s[16:17], s[4:5], 0x50
	v_mul_u32_u24_e32 v1, 0x889, v0
	v_mov_b32_e32 v2, 30
	v_mul_lo_u16_sdwa v2, v1, v2 dst_sel:DWORD dst_unused:UNUSED_PAD src0_sel:WORD_1 src1_sel:DWORD
	s_waitcnt lgkmcnt(0)
	s_cmp_eq_u32 s0, 1
	s_cselect_b64 vcc, -1, 0
	s_cmp_lg_u32 s0, 1
	s_cselect_b64 s[20:21], -1, 0
	s_ashr_i32 s7, s6, 31
	s_lshl_b64 s[0:1], s[6:7], 2
	s_add_u32 s2, s2, s0
	s_addc_u32 s3, s3, s1
	s_load_dword s7, s[2:3], 0x0
	s_add_u32 s2, s2, 4
	s_addc_u32 s3, s3, 0
	s_add_u32 s0, s8, s0
	s_addc_u32 s1, s9, s1
	s_cmp_eq_u64 s[8:9], 0
	s_cselect_b32 s1, s3, s1
	s_cselect_b32 s0, s2, s0
	s_load_dword s0, s[0:1], 0x0
	v_sub_u16_e32 v8, v0, v2
	v_mov_b32_e32 v7, 0
	v_lshlrev_b32_e32 v6, 2, v0
	s_waitcnt lgkmcnt(0)
	s_cmp_ge_i32 s7, s0
	s_cbranch_scc1 .LBB13_12
; %bb.8:
	s_load_dwordx4 s[8:11], s[4:5], 0x30
	s_load_dwordx2 s[2:3], s[4:5], 0x40
	s_sub_i32 s4, s0, s18
	s_mov_b32 s0, 0xffff
	s_movk_i32 s1, 0x384
	v_and_b32_sdwa v1, s0, v1 dst_sel:DWORD dst_unused:UNUSED_PAD src0_sel:DWORD src1_sel:WORD_1
	v_subrev_u32_e32 v2, 30, v1
	v_cmp_gt_u32_e64 s[0:1], s1, v0
	s_sub_i32 s5, s7, s18
	v_cndmask_b32_e64 v1, v2, v1, s[0:1]
	s_mul_i32 s1, s5, 0xe10
	s_mul_hi_i32 s0, s5, 0xe10
	s_waitcnt lgkmcnt(0)
	s_add_u32 s1, s10, s1
	s_addc_u32 s0, s11, s0
	v_cndmask_b32_e32 v1, v8, v1, vcc
	v_mov_b32_e32 v3, s0
	v_add_co_u32_e32 v2, vcc, s1, v6
	v_addc_co_u32_e32 v3, vcc, 0, v3, vcc
	s_movk_i32 s0, 0x383
	v_cmp_lt_u32_e32 vcc, s0, v0
	v_mov_b32_e32 v7, 0
	v_cndmask_b32_e64 v9, 0, 1, vcc
	s_branch .LBB13_10
.LBB13_9:                               ;   in Loop: Header=BB13_10 Depth=1
	s_or_b64 exec, exec, s[0:1]
	s_add_i32 s5, s5, 1
	s_cmp_lt_i32 s5, s4
	s_cbranch_scc0 .LBB13_12
.LBB13_10:                              ; =>This Inner Loop Header: Depth=1
	v_add_u32_e32 v4, s5, v9
	v_cmp_gt_i32_e32 vcc, s4, v4
	s_and_saveexec_b64 s[0:1], vcc
	s_cbranch_execz .LBB13_9
; %bb.11:                               ;   in Loop: Header=BB13_10 Depth=1
	v_ashrrev_i32_e32 v5, 31, v4
	v_lshlrev_b64 v[4:5], 2, v[4:5]
	v_mov_b32_e32 v10, s9
	v_add_co_u32_e32 v4, vcc, s8, v4
	v_addc_co_u32_e32 v5, vcc, v10, v5, vcc
	global_load_dword v4, v[4:5], off
	v_mov_b32_e32 v11, s3
	global_load_dword v10, v[2:3], off
	s_waitcnt vmcnt(1)
	v_subrev_u32_e32 v4, s18, v4
	v_mad_u64_u32 v[4:5], s[10:11], v4, 30, v[1:2]
	v_ashrrev_i32_e32 v5, 31, v4
	v_lshlrev_b64 v[4:5], 2, v[4:5]
	v_add_co_u32_e32 v4, vcc, s2, v4
	v_addc_co_u32_e32 v5, vcc, v11, v5, vcc
	global_load_dword v4, v[4:5], off
	v_add_co_u32_e32 v2, vcc, 0xe10, v2
	v_addc_co_u32_e32 v3, vcc, 0, v3, vcc
	s_waitcnt vmcnt(0)
	v_fmac_f32_e32 v7, v10, v4
	s_branch .LBB13_9
.LBB13_12:
	s_and_b64 vcc, exec, s[20:21]
	ds_write_b32 v6, v7
	s_waitcnt lgkmcnt(0)
	s_barrier
	s_cbranch_vccz .LBB13_24
; %bb.13:
	v_cmp_gt_u16_e32 vcc, 14, v8
	s_and_saveexec_b64 s[0:1], vcc
	s_cbranch_execz .LBB13_15
; %bb.14:
	ds_read2_b32 v[1:2], v6 offset1:16
	s_waitcnt lgkmcnt(0)
	v_add_f32_e32 v1, v2, v1
	ds_write_b32 v6, v1
.LBB13_15:
	s_or_b64 exec, exec, s[0:1]
	v_cmp_gt_u16_e32 vcc, 8, v8
	s_waitcnt lgkmcnt(0)
	s_barrier
	s_and_saveexec_b64 s[0:1], vcc
	s_cbranch_execz .LBB13_17
; %bb.16:
	ds_read2_b32 v[1:2], v6 offset1:8
	s_waitcnt lgkmcnt(0)
	v_add_f32_e32 v1, v2, v1
	ds_write_b32 v6, v1
.LBB13_17:
	s_or_b64 exec, exec, s[0:1]
	v_cmp_gt_u16_e32 vcc, 4, v8
	s_waitcnt lgkmcnt(0)
	s_barrier
	s_and_saveexec_b64 s[0:1], vcc
	s_cbranch_execz .LBB13_19
; %bb.18:
	ds_read2_b32 v[1:2], v6 offset1:4
	s_waitcnt lgkmcnt(0)
	v_add_f32_e32 v1, v2, v1
	ds_write_b32 v6, v1
.LBB13_19:
	s_or_b64 exec, exec, s[0:1]
	v_cmp_gt_u16_e32 vcc, 2, v8
	s_waitcnt lgkmcnt(0)
	s_barrier
	s_and_saveexec_b64 s[0:1], vcc
	s_cbranch_execz .LBB13_21
; %bb.20:
	ds_read2_b32 v[1:2], v6 offset1:2
	s_waitcnt lgkmcnt(0)
	v_add_f32_e32 v1, v2, v1
	ds_write_b32 v6, v1
.LBB13_21:
	s_or_b64 exec, exec, s[0:1]
	v_cmp_gt_u32_e32 vcc, 30, v0
	v_mov_b32_e32 v1, v7
	s_waitcnt lgkmcnt(0)
	s_barrier
	s_and_saveexec_b64 s[0:1], vcc
	s_cbranch_execz .LBB13_23
; %bb.22:
	s_movk_i32 s2, 0x74
	v_mad_u32_u24 v1, v0, s2, v6
	ds_read_b64 v[1:2], v1
	s_waitcnt lgkmcnt(0)
	v_add_f32_e32 v1, v1, v2
.LBB13_23:
	s_or_b64 exec, exec, s[0:1]
	s_branch .LBB13_36
.LBB13_24:
                                        ; implicit-def: $vgpr1
	s_cbranch_execz .LBB13_36
; %bb.25:
	s_movk_i32 s0, 0x1a4
	v_cmp_gt_u32_e32 vcc, s0, v0
	s_and_saveexec_b64 s[0:1], vcc
	s_cbranch_execz .LBB13_27
; %bb.26:
	ds_read_b32 v1, v6 offset:1920
	ds_read_b32 v2, v6
	s_waitcnt lgkmcnt(0)
	v_add_f32_e32 v1, v1, v2
	ds_write_b32 v6, v1
.LBB13_27:
	s_or_b64 exec, exec, s[0:1]
	s_movk_i32 s0, 0xf0
	v_cmp_gt_u32_e32 vcc, s0, v0
	s_waitcnt lgkmcnt(0)
	s_barrier
	s_and_saveexec_b64 s[0:1], vcc
	s_cbranch_execz .LBB13_29
; %bb.28:
	ds_read2_b32 v[1:2], v6 offset1:240
	s_waitcnt lgkmcnt(0)
	v_add_f32_e32 v1, v2, v1
	ds_write_b32 v6, v1
.LBB13_29:
	s_or_b64 exec, exec, s[0:1]
	s_movk_i32 s0, 0x78
	v_cmp_gt_u32_e32 vcc, s0, v0
	s_waitcnt lgkmcnt(0)
	s_barrier
	s_and_saveexec_b64 s[0:1], vcc
	s_cbranch_execz .LBB13_31
; %bb.30:
	ds_read2_b32 v[1:2], v6 offset1:120
	s_waitcnt lgkmcnt(0)
	v_add_f32_e32 v1, v2, v1
	ds_write_b32 v6, v1
.LBB13_31:
	s_or_b64 exec, exec, s[0:1]
	v_cmp_gt_u32_e32 vcc, 60, v0
	s_waitcnt lgkmcnt(0)
	s_barrier
	s_and_saveexec_b64 s[0:1], vcc
	s_cbranch_execz .LBB13_33
; %bb.32:
	ds_read2_b32 v[1:2], v6 offset1:60
	s_waitcnt lgkmcnt(0)
	v_add_f32_e32 v1, v2, v1
	ds_write_b32 v6, v1
.LBB13_33:
	s_or_b64 exec, exec, s[0:1]
	v_cmp_gt_u32_e32 vcc, 30, v0
	s_waitcnt lgkmcnt(0)
	s_and_saveexec_b64 s[0:1], vcc
	s_cbranch_execz .LBB13_35
; %bb.34:
	ds_read2_b32 v[1:2], v6 offset1:30
	s_waitcnt lgkmcnt(0)
	v_add_f32_e32 v7, v1, v2
.LBB13_35:
	s_or_b64 exec, exec, s[0:1]
	v_mov_b32_e32 v1, v7
.LBB13_36:
	v_cmp_gt_u32_e32 vcc, 30, v0
	s_and_saveexec_b64 s[0:1], vcc
	s_cbranch_execz .LBB13_40
; %bb.37:
	v_cmp_eq_f32_e64 s[0:1], s12, 0
	s_and_b64 vcc, exec, s[0:1]
	v_mul_f32_e32 v1, s14, v1
	s_cbranch_vccz .LBB13_41
; %bb.38:
	v_mad_u64_u32 v[2:3], s[0:1], s6, 30, v[0:1]
	v_mov_b32_e32 v3, 0
	v_mov_b32_e32 v4, s17
	v_lshlrev_b64 v[2:3], 2, v[2:3]
	v_add_co_u32_e32 v2, vcc, s16, v2
	v_addc_co_u32_e32 v3, vcc, v4, v3, vcc
	global_store_dword v[2:3], v1, off
	s_cbranch_execnz .LBB13_40
.LBB13_39:
	v_mad_u64_u32 v[2:3], s[0:1], s6, 30, v[0:1]
	v_mov_b32_e32 v3, 0
	v_mov_b32_e32 v0, s17
	v_lshlrev_b64 v[2:3], 2, v[2:3]
	v_add_co_u32_e32 v2, vcc, s16, v2
	v_addc_co_u32_e32 v3, vcc, v0, v3, vcc
	global_load_dword v0, v[2:3], off
	s_waitcnt vmcnt(0)
	v_fmac_f32_e32 v1, s12, v0
	global_store_dword v[2:3], v1, off
.LBB13_40:
	s_endpgm
.LBB13_41:
	s_branch .LBB13_39
	.section	.rodata,"a",@progbits
	.p2align	6, 0x0
	.amdhsa_kernel _ZN9rocsparseL20bsrxmvn_17_32_kernelILj30EfiifffEEvT2_20rocsparse_direction_NS_24const_host_device_scalarIT0_EES1_PKS1_PKT1_SA_S7_PKT3_PKT4_S5_PT5_21rocsparse_index_base_b
		.amdhsa_group_segment_fixed_size 3600
		.amdhsa_private_segment_fixed_size 0
		.amdhsa_kernarg_size 96
		.amdhsa_user_sgpr_count 6
		.amdhsa_user_sgpr_private_segment_buffer 1
		.amdhsa_user_sgpr_dispatch_ptr 0
		.amdhsa_user_sgpr_queue_ptr 0
		.amdhsa_user_sgpr_kernarg_segment_ptr 1
		.amdhsa_user_sgpr_dispatch_id 0
		.amdhsa_user_sgpr_flat_scratch_init 0
		.amdhsa_user_sgpr_private_segment_size 0
		.amdhsa_uses_dynamic_stack 0
		.amdhsa_system_sgpr_private_segment_wavefront_offset 0
		.amdhsa_system_sgpr_workgroup_id_x 1
		.amdhsa_system_sgpr_workgroup_id_y 0
		.amdhsa_system_sgpr_workgroup_id_z 0
		.amdhsa_system_sgpr_workgroup_info 0
		.amdhsa_system_vgpr_workitem_id 0
		.amdhsa_next_free_vgpr 29
		.amdhsa_next_free_sgpr 61
		.amdhsa_reserve_vcc 1
		.amdhsa_reserve_flat_scratch 0
		.amdhsa_float_round_mode_32 0
		.amdhsa_float_round_mode_16_64 0
		.amdhsa_float_denorm_mode_32 3
		.amdhsa_float_denorm_mode_16_64 3
		.amdhsa_dx10_clamp 1
		.amdhsa_ieee_mode 1
		.amdhsa_fp16_overflow 0
		.amdhsa_exception_fp_ieee_invalid_op 0
		.amdhsa_exception_fp_denorm_src 0
		.amdhsa_exception_fp_ieee_div_zero 0
		.amdhsa_exception_fp_ieee_overflow 0
		.amdhsa_exception_fp_ieee_underflow 0
		.amdhsa_exception_fp_ieee_inexact 0
		.amdhsa_exception_int_div_zero 0
	.end_amdhsa_kernel
	.section	.text._ZN9rocsparseL20bsrxmvn_17_32_kernelILj30EfiifffEEvT2_20rocsparse_direction_NS_24const_host_device_scalarIT0_EES1_PKS1_PKT1_SA_S7_PKT3_PKT4_S5_PT5_21rocsparse_index_base_b,"axG",@progbits,_ZN9rocsparseL20bsrxmvn_17_32_kernelILj30EfiifffEEvT2_20rocsparse_direction_NS_24const_host_device_scalarIT0_EES1_PKS1_PKT1_SA_S7_PKT3_PKT4_S5_PT5_21rocsparse_index_base_b,comdat
.Lfunc_end13:
	.size	_ZN9rocsparseL20bsrxmvn_17_32_kernelILj30EfiifffEEvT2_20rocsparse_direction_NS_24const_host_device_scalarIT0_EES1_PKS1_PKT1_SA_S7_PKT3_PKT4_S5_PT5_21rocsparse_index_base_b, .Lfunc_end13-_ZN9rocsparseL20bsrxmvn_17_32_kernelILj30EfiifffEEvT2_20rocsparse_direction_NS_24const_host_device_scalarIT0_EES1_PKS1_PKT1_SA_S7_PKT3_PKT4_S5_PT5_21rocsparse_index_base_b
                                        ; -- End function
	.set _ZN9rocsparseL20bsrxmvn_17_32_kernelILj30EfiifffEEvT2_20rocsparse_direction_NS_24const_host_device_scalarIT0_EES1_PKS1_PKT1_SA_S7_PKT3_PKT4_S5_PT5_21rocsparse_index_base_b.num_vgpr, 12
	.set _ZN9rocsparseL20bsrxmvn_17_32_kernelILj30EfiifffEEvT2_20rocsparse_direction_NS_24const_host_device_scalarIT0_EES1_PKS1_PKT1_SA_S7_PKT3_PKT4_S5_PT5_21rocsparse_index_base_b.num_agpr, 0
	.set _ZN9rocsparseL20bsrxmvn_17_32_kernelILj30EfiifffEEvT2_20rocsparse_direction_NS_24const_host_device_scalarIT0_EES1_PKS1_PKT1_SA_S7_PKT3_PKT4_S5_PT5_21rocsparse_index_base_b.numbered_sgpr, 22
	.set _ZN9rocsparseL20bsrxmvn_17_32_kernelILj30EfiifffEEvT2_20rocsparse_direction_NS_24const_host_device_scalarIT0_EES1_PKS1_PKT1_SA_S7_PKT3_PKT4_S5_PT5_21rocsparse_index_base_b.num_named_barrier, 0
	.set _ZN9rocsparseL20bsrxmvn_17_32_kernelILj30EfiifffEEvT2_20rocsparse_direction_NS_24const_host_device_scalarIT0_EES1_PKS1_PKT1_SA_S7_PKT3_PKT4_S5_PT5_21rocsparse_index_base_b.private_seg_size, 0
	.set _ZN9rocsparseL20bsrxmvn_17_32_kernelILj30EfiifffEEvT2_20rocsparse_direction_NS_24const_host_device_scalarIT0_EES1_PKS1_PKT1_SA_S7_PKT3_PKT4_S5_PT5_21rocsparse_index_base_b.uses_vcc, 1
	.set _ZN9rocsparseL20bsrxmvn_17_32_kernelILj30EfiifffEEvT2_20rocsparse_direction_NS_24const_host_device_scalarIT0_EES1_PKS1_PKT1_SA_S7_PKT3_PKT4_S5_PT5_21rocsparse_index_base_b.uses_flat_scratch, 0
	.set _ZN9rocsparseL20bsrxmvn_17_32_kernelILj30EfiifffEEvT2_20rocsparse_direction_NS_24const_host_device_scalarIT0_EES1_PKS1_PKT1_SA_S7_PKT3_PKT4_S5_PT5_21rocsparse_index_base_b.has_dyn_sized_stack, 0
	.set _ZN9rocsparseL20bsrxmvn_17_32_kernelILj30EfiifffEEvT2_20rocsparse_direction_NS_24const_host_device_scalarIT0_EES1_PKS1_PKT1_SA_S7_PKT3_PKT4_S5_PT5_21rocsparse_index_base_b.has_recursion, 0
	.set _ZN9rocsparseL20bsrxmvn_17_32_kernelILj30EfiifffEEvT2_20rocsparse_direction_NS_24const_host_device_scalarIT0_EES1_PKS1_PKT1_SA_S7_PKT3_PKT4_S5_PT5_21rocsparse_index_base_b.has_indirect_call, 0
	.section	.AMDGPU.csdata,"",@progbits
; Kernel info:
; codeLenInByte = 1236
; TotalNumSgprs: 26
; NumVgprs: 12
; ScratchSize: 0
; MemoryBound: 0
; FloatMode: 240
; IeeeMode: 1
; LDSByteSize: 3600 bytes/workgroup (compile time only)
; SGPRBlocks: 8
; VGPRBlocks: 7
; NumSGPRsForWavesPerEU: 65
; NumVGPRsForWavesPerEU: 29
; Occupancy: 8
; WaveLimiterHint : 1
; COMPUTE_PGM_RSRC2:SCRATCH_EN: 0
; COMPUTE_PGM_RSRC2:USER_SGPR: 6
; COMPUTE_PGM_RSRC2:TRAP_HANDLER: 0
; COMPUTE_PGM_RSRC2:TGID_X_EN: 1
; COMPUTE_PGM_RSRC2:TGID_Y_EN: 0
; COMPUTE_PGM_RSRC2:TGID_Z_EN: 0
; COMPUTE_PGM_RSRC2:TIDIG_COMP_CNT: 0
	.section	.text._ZN9rocsparseL20bsrxmvn_17_32_kernelILj31EfiifffEEvT2_20rocsparse_direction_NS_24const_host_device_scalarIT0_EES1_PKS1_PKT1_SA_S7_PKT3_PKT4_S5_PT5_21rocsparse_index_base_b,"axG",@progbits,_ZN9rocsparseL20bsrxmvn_17_32_kernelILj31EfiifffEEvT2_20rocsparse_direction_NS_24const_host_device_scalarIT0_EES1_PKS1_PKT1_SA_S7_PKT3_PKT4_S5_PT5_21rocsparse_index_base_b,comdat
	.globl	_ZN9rocsparseL20bsrxmvn_17_32_kernelILj31EfiifffEEvT2_20rocsparse_direction_NS_24const_host_device_scalarIT0_EES1_PKS1_PKT1_SA_S7_PKT3_PKT4_S5_PT5_21rocsparse_index_base_b ; -- Begin function _ZN9rocsparseL20bsrxmvn_17_32_kernelILj31EfiifffEEvT2_20rocsparse_direction_NS_24const_host_device_scalarIT0_EES1_PKS1_PKT1_SA_S7_PKT3_PKT4_S5_PT5_21rocsparse_index_base_b
	.p2align	8
	.type	_ZN9rocsparseL20bsrxmvn_17_32_kernelILj31EfiifffEEvT2_20rocsparse_direction_NS_24const_host_device_scalarIT0_EES1_PKS1_PKT1_SA_S7_PKT3_PKT4_S5_PT5_21rocsparse_index_base_b,@function
_ZN9rocsparseL20bsrxmvn_17_32_kernelILj31EfiifffEEvT2_20rocsparse_direction_NS_24const_host_device_scalarIT0_EES1_PKS1_PKT1_SA_S7_PKT3_PKT4_S5_PT5_21rocsparse_index_base_b: ; @_ZN9rocsparseL20bsrxmvn_17_32_kernelILj31EfiifffEEvT2_20rocsparse_direction_NS_24const_host_device_scalarIT0_EES1_PKS1_PKT1_SA_S7_PKT3_PKT4_S5_PT5_21rocsparse_index_base_b
; %bb.0:
	s_load_dwordx2 s[18:19], s[4:5], 0x58
	s_load_dwordx2 s[14:15], s[4:5], 0x8
	;; [unrolled: 1-line block ×3, first 2 shown]
	s_waitcnt lgkmcnt(0)
	s_bitcmp1_b32 s19, 0
	s_cselect_b64 s[2:3], -1, 0
	s_xor_b64 s[0:1], s[2:3], -1
	s_and_b64 vcc, exec, s[2:3]
	s_cbranch_vccnz .LBB14_2
; %bb.1:
	s_load_dword s14, s[14:15], 0x0
.LBB14_2:
	s_andn2_b64 vcc, exec, s[0:1]
	s_cbranch_vccnz .LBB14_4
; %bb.3:
	s_load_dword s12, s[12:13], 0x0
.LBB14_4:
	s_waitcnt lgkmcnt(0)
	v_cmp_neq_f32_e64 s[0:1], s14, 0
	v_cmp_neq_f32_e64 s[2:3], s12, 1.0
	s_or_b64 s[0:1], s[0:1], s[2:3]
	s_andn2_b64 vcc, exec, s[0:1]
	s_cbranch_vccnz .LBB14_40
; %bb.5:
	s_load_dwordx4 s[0:3], s[4:5], 0x18
	s_load_dwordx2 s[8:9], s[4:5], 0x28
	s_waitcnt lgkmcnt(0)
	s_cmp_eq_u64 s[0:1], 0
	s_cbranch_scc1 .LBB14_7
; %bb.6:
	s_ashr_i32 s7, s6, 31
	s_lshl_b64 s[6:7], s[6:7], 2
	s_add_u32 s0, s0, s6
	s_addc_u32 s1, s1, s7
	s_load_dword s0, s[0:1], 0x0
	s_waitcnt lgkmcnt(0)
	s_sub_i32 s6, s0, s18
.LBB14_7:
	s_load_dword s0, s[4:5], 0x4
	s_load_dwordx2 s[16:17], s[4:5], 0x50
	v_mul_u32_u24_e32 v1, 0x843, v0
	v_mov_b32_e32 v2, 31
	v_mul_lo_u16_sdwa v2, v1, v2 dst_sel:DWORD dst_unused:UNUSED_PAD src0_sel:WORD_1 src1_sel:DWORD
	s_waitcnt lgkmcnt(0)
	s_cmp_eq_u32 s0, 1
	s_cselect_b64 vcc, -1, 0
	s_cmp_lg_u32 s0, 1
	s_cselect_b64 s[20:21], -1, 0
	s_ashr_i32 s7, s6, 31
	s_lshl_b64 s[0:1], s[6:7], 2
	s_add_u32 s2, s2, s0
	s_addc_u32 s3, s3, s1
	s_load_dword s7, s[2:3], 0x0
	s_add_u32 s2, s2, 4
	s_addc_u32 s3, s3, 0
	s_add_u32 s0, s8, s0
	s_addc_u32 s1, s9, s1
	s_cmp_eq_u64 s[8:9], 0
	s_cselect_b32 s1, s3, s1
	s_cselect_b32 s0, s2, s0
	s_load_dword s0, s[0:1], 0x0
	v_sub_u16_e32 v8, v0, v2
	v_mov_b32_e32 v7, 0
	v_lshlrev_b32_e32 v6, 2, v0
	s_waitcnt lgkmcnt(0)
	s_cmp_ge_i32 s7, s0
	s_cbranch_scc1 .LBB14_12
; %bb.8:
	s_load_dwordx4 s[8:11], s[4:5], 0x30
	s_load_dwordx2 s[2:3], s[4:5], 0x40
	s_sub_i32 s4, s0, s18
	s_mov_b32 s0, 0xffff
	s_movk_i32 s1, 0x3c1
	v_and_b32_sdwa v1, s0, v1 dst_sel:DWORD dst_unused:UNUSED_PAD src0_sel:DWORD src1_sel:WORD_1
	v_subrev_u32_e32 v2, 31, v1
	v_cmp_gt_u32_e64 s[0:1], s1, v0
	s_sub_i32 s5, s7, s18
	v_cndmask_b32_e64 v1, v2, v1, s[0:1]
	s_mul_i32 s1, s5, 0xf04
	s_mul_hi_i32 s0, s5, 0xf04
	s_waitcnt lgkmcnt(0)
	s_add_u32 s1, s10, s1
	s_addc_u32 s0, s11, s0
	v_cndmask_b32_e32 v1, v8, v1, vcc
	v_mov_b32_e32 v3, s0
	v_add_co_u32_e32 v2, vcc, s1, v6
	v_addc_co_u32_e32 v3, vcc, 0, v3, vcc
	s_movk_i32 s0, 0x3c0
	v_cmp_lt_u32_e32 vcc, s0, v0
	v_mov_b32_e32 v7, 0
	v_cndmask_b32_e64 v9, 0, 1, vcc
	s_branch .LBB14_10
.LBB14_9:                               ;   in Loop: Header=BB14_10 Depth=1
	s_or_b64 exec, exec, s[0:1]
	s_add_i32 s5, s5, 1
	s_cmp_lt_i32 s5, s4
	s_cbranch_scc0 .LBB14_12
.LBB14_10:                              ; =>This Inner Loop Header: Depth=1
	v_add_u32_e32 v4, s5, v9
	v_cmp_gt_i32_e32 vcc, s4, v4
	s_and_saveexec_b64 s[0:1], vcc
	s_cbranch_execz .LBB14_9
; %bb.11:                               ;   in Loop: Header=BB14_10 Depth=1
	v_ashrrev_i32_e32 v5, 31, v4
	v_lshlrev_b64 v[4:5], 2, v[4:5]
	v_mov_b32_e32 v10, s9
	v_add_co_u32_e32 v4, vcc, s8, v4
	v_addc_co_u32_e32 v5, vcc, v10, v5, vcc
	global_load_dword v4, v[4:5], off
	v_mov_b32_e32 v11, s3
	global_load_dword v10, v[2:3], off
	s_waitcnt vmcnt(1)
	v_subrev_u32_e32 v4, s18, v4
	v_mad_u64_u32 v[4:5], s[10:11], v4, 31, v[1:2]
	v_ashrrev_i32_e32 v5, 31, v4
	v_lshlrev_b64 v[4:5], 2, v[4:5]
	v_add_co_u32_e32 v4, vcc, s2, v4
	v_addc_co_u32_e32 v5, vcc, v11, v5, vcc
	global_load_dword v4, v[4:5], off
	v_add_co_u32_e32 v2, vcc, 0xf04, v2
	v_addc_co_u32_e32 v3, vcc, 0, v3, vcc
	s_waitcnt vmcnt(0)
	v_fmac_f32_e32 v7, v10, v4
	s_branch .LBB14_9
.LBB14_12:
	s_and_b64 vcc, exec, s[20:21]
	ds_write_b32 v6, v7
	s_waitcnt lgkmcnt(0)
	s_barrier
	s_cbranch_vccz .LBB14_24
; %bb.13:
	v_cmp_gt_u16_e32 vcc, 15, v8
	s_and_saveexec_b64 s[0:1], vcc
	s_cbranch_execz .LBB14_15
; %bb.14:
	ds_read2_b32 v[1:2], v6 offset1:16
	s_waitcnt lgkmcnt(0)
	v_add_f32_e32 v1, v2, v1
	ds_write_b32 v6, v1
.LBB14_15:
	s_or_b64 exec, exec, s[0:1]
	v_cmp_gt_u16_e32 vcc, 8, v8
	s_waitcnt lgkmcnt(0)
	s_barrier
	s_and_saveexec_b64 s[0:1], vcc
	s_cbranch_execz .LBB14_17
; %bb.16:
	ds_read2_b32 v[1:2], v6 offset1:8
	s_waitcnt lgkmcnt(0)
	v_add_f32_e32 v1, v2, v1
	ds_write_b32 v6, v1
.LBB14_17:
	s_or_b64 exec, exec, s[0:1]
	v_cmp_gt_u16_e32 vcc, 4, v8
	s_waitcnt lgkmcnt(0)
	s_barrier
	;; [unrolled: 12-line block ×3, first 2 shown]
	s_and_saveexec_b64 s[0:1], vcc
	s_cbranch_execz .LBB14_21
; %bb.20:
	ds_read2_b32 v[1:2], v6 offset1:2
	s_waitcnt lgkmcnt(0)
	v_add_f32_e32 v1, v2, v1
	ds_write_b32 v6, v1
.LBB14_21:
	s_or_b64 exec, exec, s[0:1]
	v_cmp_gt_u32_e32 vcc, 31, v0
	v_mov_b32_e32 v1, v7
	s_waitcnt lgkmcnt(0)
	s_barrier
	s_and_saveexec_b64 s[0:1], vcc
	s_cbranch_execz .LBB14_23
; %bb.22:
	s_movk_i32 s2, 0x78
	v_mad_u32_u24 v1, v0, s2, v6
	ds_read2_b32 v[1:2], v1 offset1:1
	s_waitcnt lgkmcnt(0)
	v_add_f32_e32 v1, v1, v2
.LBB14_23:
	s_or_b64 exec, exec, s[0:1]
	s_branch .LBB14_36
.LBB14_24:
                                        ; implicit-def: $vgpr1
	s_cbranch_execz .LBB14_36
; %bb.25:
	s_movk_i32 s0, 0x1d1
	v_cmp_gt_u32_e32 vcc, s0, v0
	s_and_saveexec_b64 s[0:1], vcc
	s_cbranch_execz .LBB14_27
; %bb.26:
	ds_read_b32 v1, v6 offset:1984
	ds_read_b32 v2, v6
	s_waitcnt lgkmcnt(0)
	v_add_f32_e32 v1, v1, v2
	ds_write_b32 v6, v1
.LBB14_27:
	s_or_b64 exec, exec, s[0:1]
	s_movk_i32 s0, 0xf8
	v_cmp_gt_u32_e32 vcc, s0, v0
	s_waitcnt lgkmcnt(0)
	s_barrier
	s_and_saveexec_b64 s[0:1], vcc
	s_cbranch_execz .LBB14_29
; %bb.28:
	ds_read2_b32 v[1:2], v6 offset1:248
	s_waitcnt lgkmcnt(0)
	v_add_f32_e32 v1, v2, v1
	ds_write_b32 v6, v1
.LBB14_29:
	s_or_b64 exec, exec, s[0:1]
	s_movk_i32 s0, 0x7c
	v_cmp_gt_u32_e32 vcc, s0, v0
	s_waitcnt lgkmcnt(0)
	s_barrier
	s_and_saveexec_b64 s[0:1], vcc
	s_cbranch_execz .LBB14_31
; %bb.30:
	ds_read2_b32 v[1:2], v6 offset1:124
	s_waitcnt lgkmcnt(0)
	v_add_f32_e32 v1, v2, v1
	ds_write_b32 v6, v1
.LBB14_31:
	s_or_b64 exec, exec, s[0:1]
	v_cmp_gt_u32_e32 vcc, 62, v0
	s_waitcnt lgkmcnt(0)
	s_barrier
	s_and_saveexec_b64 s[0:1], vcc
	s_cbranch_execz .LBB14_33
; %bb.32:
	ds_read2_b32 v[1:2], v6 offset1:62
	s_waitcnt lgkmcnt(0)
	v_add_f32_e32 v1, v2, v1
	ds_write_b32 v6, v1
.LBB14_33:
	s_or_b64 exec, exec, s[0:1]
	v_cmp_gt_u32_e32 vcc, 31, v0
	s_waitcnt lgkmcnt(0)
	s_and_saveexec_b64 s[0:1], vcc
	s_cbranch_execz .LBB14_35
; %bb.34:
	ds_read2_b32 v[1:2], v6 offset1:31
	s_waitcnt lgkmcnt(0)
	v_add_f32_e32 v7, v1, v2
.LBB14_35:
	s_or_b64 exec, exec, s[0:1]
	v_mov_b32_e32 v1, v7
.LBB14_36:
	v_cmp_gt_u32_e32 vcc, 31, v0
	s_and_saveexec_b64 s[0:1], vcc
	s_cbranch_execz .LBB14_40
; %bb.37:
	v_cmp_eq_f32_e64 s[0:1], s12, 0
	s_and_b64 vcc, exec, s[0:1]
	v_mul_f32_e32 v1, s14, v1
	s_cbranch_vccz .LBB14_41
; %bb.38:
	v_mad_u64_u32 v[2:3], s[0:1], s6, 31, v[0:1]
	v_mov_b32_e32 v3, 0
	v_mov_b32_e32 v4, s17
	v_lshlrev_b64 v[2:3], 2, v[2:3]
	v_add_co_u32_e32 v2, vcc, s16, v2
	v_addc_co_u32_e32 v3, vcc, v4, v3, vcc
	global_store_dword v[2:3], v1, off
	s_cbranch_execnz .LBB14_40
.LBB14_39:
	v_mad_u64_u32 v[2:3], s[0:1], s6, 31, v[0:1]
	v_mov_b32_e32 v3, 0
	v_mov_b32_e32 v0, s17
	v_lshlrev_b64 v[2:3], 2, v[2:3]
	v_add_co_u32_e32 v2, vcc, s16, v2
	v_addc_co_u32_e32 v3, vcc, v0, v3, vcc
	global_load_dword v0, v[2:3], off
	s_waitcnt vmcnt(0)
	v_fmac_f32_e32 v1, s12, v0
	global_store_dword v[2:3], v1, off
.LBB14_40:
	s_endpgm
.LBB14_41:
	s_branch .LBB14_39
	.section	.rodata,"a",@progbits
	.p2align	6, 0x0
	.amdhsa_kernel _ZN9rocsparseL20bsrxmvn_17_32_kernelILj31EfiifffEEvT2_20rocsparse_direction_NS_24const_host_device_scalarIT0_EES1_PKS1_PKT1_SA_S7_PKT3_PKT4_S5_PT5_21rocsparse_index_base_b
		.amdhsa_group_segment_fixed_size 3844
		.amdhsa_private_segment_fixed_size 0
		.amdhsa_kernarg_size 96
		.amdhsa_user_sgpr_count 6
		.amdhsa_user_sgpr_private_segment_buffer 1
		.amdhsa_user_sgpr_dispatch_ptr 0
		.amdhsa_user_sgpr_queue_ptr 0
		.amdhsa_user_sgpr_kernarg_segment_ptr 1
		.amdhsa_user_sgpr_dispatch_id 0
		.amdhsa_user_sgpr_flat_scratch_init 0
		.amdhsa_user_sgpr_private_segment_size 0
		.amdhsa_uses_dynamic_stack 0
		.amdhsa_system_sgpr_private_segment_wavefront_offset 0
		.amdhsa_system_sgpr_workgroup_id_x 1
		.amdhsa_system_sgpr_workgroup_id_y 0
		.amdhsa_system_sgpr_workgroup_id_z 0
		.amdhsa_system_sgpr_workgroup_info 0
		.amdhsa_system_vgpr_workitem_id 0
		.amdhsa_next_free_vgpr 29
		.amdhsa_next_free_sgpr 61
		.amdhsa_reserve_vcc 1
		.amdhsa_reserve_flat_scratch 0
		.amdhsa_float_round_mode_32 0
		.amdhsa_float_round_mode_16_64 0
		.amdhsa_float_denorm_mode_32 3
		.amdhsa_float_denorm_mode_16_64 3
		.amdhsa_dx10_clamp 1
		.amdhsa_ieee_mode 1
		.amdhsa_fp16_overflow 0
		.amdhsa_exception_fp_ieee_invalid_op 0
		.amdhsa_exception_fp_denorm_src 0
		.amdhsa_exception_fp_ieee_div_zero 0
		.amdhsa_exception_fp_ieee_overflow 0
		.amdhsa_exception_fp_ieee_underflow 0
		.amdhsa_exception_fp_ieee_inexact 0
		.amdhsa_exception_int_div_zero 0
	.end_amdhsa_kernel
	.section	.text._ZN9rocsparseL20bsrxmvn_17_32_kernelILj31EfiifffEEvT2_20rocsparse_direction_NS_24const_host_device_scalarIT0_EES1_PKS1_PKT1_SA_S7_PKT3_PKT4_S5_PT5_21rocsparse_index_base_b,"axG",@progbits,_ZN9rocsparseL20bsrxmvn_17_32_kernelILj31EfiifffEEvT2_20rocsparse_direction_NS_24const_host_device_scalarIT0_EES1_PKS1_PKT1_SA_S7_PKT3_PKT4_S5_PT5_21rocsparse_index_base_b,comdat
.Lfunc_end14:
	.size	_ZN9rocsparseL20bsrxmvn_17_32_kernelILj31EfiifffEEvT2_20rocsparse_direction_NS_24const_host_device_scalarIT0_EES1_PKS1_PKT1_SA_S7_PKT3_PKT4_S5_PT5_21rocsparse_index_base_b, .Lfunc_end14-_ZN9rocsparseL20bsrxmvn_17_32_kernelILj31EfiifffEEvT2_20rocsparse_direction_NS_24const_host_device_scalarIT0_EES1_PKS1_PKT1_SA_S7_PKT3_PKT4_S5_PT5_21rocsparse_index_base_b
                                        ; -- End function
	.set _ZN9rocsparseL20bsrxmvn_17_32_kernelILj31EfiifffEEvT2_20rocsparse_direction_NS_24const_host_device_scalarIT0_EES1_PKS1_PKT1_SA_S7_PKT3_PKT4_S5_PT5_21rocsparse_index_base_b.num_vgpr, 12
	.set _ZN9rocsparseL20bsrxmvn_17_32_kernelILj31EfiifffEEvT2_20rocsparse_direction_NS_24const_host_device_scalarIT0_EES1_PKS1_PKT1_SA_S7_PKT3_PKT4_S5_PT5_21rocsparse_index_base_b.num_agpr, 0
	.set _ZN9rocsparseL20bsrxmvn_17_32_kernelILj31EfiifffEEvT2_20rocsparse_direction_NS_24const_host_device_scalarIT0_EES1_PKS1_PKT1_SA_S7_PKT3_PKT4_S5_PT5_21rocsparse_index_base_b.numbered_sgpr, 22
	.set _ZN9rocsparseL20bsrxmvn_17_32_kernelILj31EfiifffEEvT2_20rocsparse_direction_NS_24const_host_device_scalarIT0_EES1_PKS1_PKT1_SA_S7_PKT3_PKT4_S5_PT5_21rocsparse_index_base_b.num_named_barrier, 0
	.set _ZN9rocsparseL20bsrxmvn_17_32_kernelILj31EfiifffEEvT2_20rocsparse_direction_NS_24const_host_device_scalarIT0_EES1_PKS1_PKT1_SA_S7_PKT3_PKT4_S5_PT5_21rocsparse_index_base_b.private_seg_size, 0
	.set _ZN9rocsparseL20bsrxmvn_17_32_kernelILj31EfiifffEEvT2_20rocsparse_direction_NS_24const_host_device_scalarIT0_EES1_PKS1_PKT1_SA_S7_PKT3_PKT4_S5_PT5_21rocsparse_index_base_b.uses_vcc, 1
	.set _ZN9rocsparseL20bsrxmvn_17_32_kernelILj31EfiifffEEvT2_20rocsparse_direction_NS_24const_host_device_scalarIT0_EES1_PKS1_PKT1_SA_S7_PKT3_PKT4_S5_PT5_21rocsparse_index_base_b.uses_flat_scratch, 0
	.set _ZN9rocsparseL20bsrxmvn_17_32_kernelILj31EfiifffEEvT2_20rocsparse_direction_NS_24const_host_device_scalarIT0_EES1_PKS1_PKT1_SA_S7_PKT3_PKT4_S5_PT5_21rocsparse_index_base_b.has_dyn_sized_stack, 0
	.set _ZN9rocsparseL20bsrxmvn_17_32_kernelILj31EfiifffEEvT2_20rocsparse_direction_NS_24const_host_device_scalarIT0_EES1_PKS1_PKT1_SA_S7_PKT3_PKT4_S5_PT5_21rocsparse_index_base_b.has_recursion, 0
	.set _ZN9rocsparseL20bsrxmvn_17_32_kernelILj31EfiifffEEvT2_20rocsparse_direction_NS_24const_host_device_scalarIT0_EES1_PKS1_PKT1_SA_S7_PKT3_PKT4_S5_PT5_21rocsparse_index_base_b.has_indirect_call, 0
	.section	.AMDGPU.csdata,"",@progbits
; Kernel info:
; codeLenInByte = 1236
; TotalNumSgprs: 26
; NumVgprs: 12
; ScratchSize: 0
; MemoryBound: 0
; FloatMode: 240
; IeeeMode: 1
; LDSByteSize: 3844 bytes/workgroup (compile time only)
; SGPRBlocks: 8
; VGPRBlocks: 7
; NumSGPRsForWavesPerEU: 65
; NumVGPRsForWavesPerEU: 29
; Occupancy: 8
; WaveLimiterHint : 1
; COMPUTE_PGM_RSRC2:SCRATCH_EN: 0
; COMPUTE_PGM_RSRC2:USER_SGPR: 6
; COMPUTE_PGM_RSRC2:TRAP_HANDLER: 0
; COMPUTE_PGM_RSRC2:TGID_X_EN: 1
; COMPUTE_PGM_RSRC2:TGID_Y_EN: 0
; COMPUTE_PGM_RSRC2:TGID_Z_EN: 0
; COMPUTE_PGM_RSRC2:TIDIG_COMP_CNT: 0
	.section	.text._ZN9rocsparseL20bsrxmvn_17_32_kernelILj32EfiifffEEvT2_20rocsparse_direction_NS_24const_host_device_scalarIT0_EES1_PKS1_PKT1_SA_S7_PKT3_PKT4_S5_PT5_21rocsparse_index_base_b,"axG",@progbits,_ZN9rocsparseL20bsrxmvn_17_32_kernelILj32EfiifffEEvT2_20rocsparse_direction_NS_24const_host_device_scalarIT0_EES1_PKS1_PKT1_SA_S7_PKT3_PKT4_S5_PT5_21rocsparse_index_base_b,comdat
	.globl	_ZN9rocsparseL20bsrxmvn_17_32_kernelILj32EfiifffEEvT2_20rocsparse_direction_NS_24const_host_device_scalarIT0_EES1_PKS1_PKT1_SA_S7_PKT3_PKT4_S5_PT5_21rocsparse_index_base_b ; -- Begin function _ZN9rocsparseL20bsrxmvn_17_32_kernelILj32EfiifffEEvT2_20rocsparse_direction_NS_24const_host_device_scalarIT0_EES1_PKS1_PKT1_SA_S7_PKT3_PKT4_S5_PT5_21rocsparse_index_base_b
	.p2align	8
	.type	_ZN9rocsparseL20bsrxmvn_17_32_kernelILj32EfiifffEEvT2_20rocsparse_direction_NS_24const_host_device_scalarIT0_EES1_PKS1_PKT1_SA_S7_PKT3_PKT4_S5_PT5_21rocsparse_index_base_b,@function
_ZN9rocsparseL20bsrxmvn_17_32_kernelILj32EfiifffEEvT2_20rocsparse_direction_NS_24const_host_device_scalarIT0_EES1_PKS1_PKT1_SA_S7_PKT3_PKT4_S5_PT5_21rocsparse_index_base_b: ; @_ZN9rocsparseL20bsrxmvn_17_32_kernelILj32EfiifffEEvT2_20rocsparse_direction_NS_24const_host_device_scalarIT0_EES1_PKS1_PKT1_SA_S7_PKT3_PKT4_S5_PT5_21rocsparse_index_base_b
; %bb.0:
	s_load_dwordx2 s[12:13], s[4:5], 0x58
	s_load_dwordx2 s[10:11], s[4:5], 0x8
	;; [unrolled: 1-line block ×3, first 2 shown]
	s_waitcnt lgkmcnt(0)
	s_bitcmp1_b32 s13, 0
	s_cselect_b64 s[2:3], -1, 0
	s_xor_b64 s[0:1], s[2:3], -1
	s_and_b64 vcc, exec, s[2:3]
	s_cbranch_vccnz .LBB15_2
; %bb.1:
	s_load_dword s10, s[10:11], 0x0
.LBB15_2:
	s_andn2_b64 vcc, exec, s[0:1]
	s_cbranch_vccnz .LBB15_4
; %bb.3:
	s_load_dword s8, s[8:9], 0x0
.LBB15_4:
	s_waitcnt lgkmcnt(0)
	v_cmp_neq_f32_e64 s[0:1], s10, 0
	v_cmp_neq_f32_e64 s[2:3], s8, 1.0
	s_or_b64 s[0:1], s[0:1], s[2:3]
	s_andn2_b64 vcc, exec, s[0:1]
	s_cbranch_vccnz .LBB15_38
; %bb.5:
	s_load_dwordx4 s[0:3], s[4:5], 0x18
	s_load_dwordx2 s[16:17], s[4:5], 0x28
	s_waitcnt lgkmcnt(0)
	s_cmp_eq_u64 s[0:1], 0
	s_cbranch_scc1 .LBB15_7
; %bb.6:
	s_ashr_i32 s7, s6, 31
	s_lshl_b64 s[6:7], s[6:7], 2
	s_add_u32 s0, s0, s6
	s_addc_u32 s1, s1, s7
	s_load_dword s0, s[0:1], 0x0
	s_waitcnt lgkmcnt(0)
	s_sub_i32 s6, s0, s12
.LBB15_7:
	s_load_dword s0, s[4:5], 0x4
	v_and_b32_e32 v5, 31, v0
	v_mov_b32_e32 v4, 0
	v_lshlrev_b32_e32 v3, 2, v0
	s_waitcnt lgkmcnt(0)
	s_cmp_eq_u32 s0, 1
	s_cselect_b64 vcc, -1, 0
	s_cmp_lg_u32 s0, 1
	s_cselect_b64 s[14:15], -1, 0
	s_ashr_i32 s7, s6, 31
	s_lshl_b64 s[0:1], s[6:7], 2
	s_add_u32 s2, s2, s0
	s_addc_u32 s3, s3, s1
	s_load_dword s9, s[2:3], 0x0
	s_add_u32 s2, s2, 4
	s_addc_u32 s3, s3, 0
	s_add_u32 s0, s16, s0
	s_addc_u32 s1, s17, s1
	s_cmp_eq_u64 s[16:17], 0
	s_cselect_b32 s3, s3, s1
	s_cselect_b32 s2, s2, s0
	s_load_dword s7, s[2:3], 0x0
	s_load_dwordx2 s[0:1], s[4:5], 0x50
	s_waitcnt lgkmcnt(0)
	s_cmp_ge_i32 s9, s7
	s_cbranch_scc1 .LBB15_10
; %bb.8:
	s_load_dwordx4 s[16:19], s[4:5], 0x30
	s_load_dwordx2 s[2:3], s[4:5], 0x40
	s_sub_i32 s4, s9, s12
	s_ashr_i32 s5, s4, 31
	s_sub_i32 s7, s7, s12
	s_lshl_b64 s[20:21], s[4:5], 12
	s_waitcnt lgkmcnt(0)
	s_add_u32 s9, s18, s20
	v_lshrrev_b32_e32 v1, 5, v0
	s_addc_u32 s11, s19, s21
	s_lshl_b64 s[18:19], s[4:5], 2
	v_cndmask_b32_e32 v6, v5, v1, vcc
	v_mov_b32_e32 v2, s11
	v_add_co_u32_e32 v1, vcc, s9, v3
	s_add_u32 s16, s16, s18
	v_mov_b32_e32 v4, 0
	v_addc_co_u32_e32 v2, vcc, 0, v2, vcc
	s_addc_u32 s17, s17, s19
	v_mov_b32_e32 v7, s3
.LBB15_9:                               ; =>This Inner Loop Header: Depth=1
	s_load_dword s3, s[16:17], 0x0
	global_load_dword v10, v[1:2], off
	s_add_i32 s4, s4, 1
	s_waitcnt lgkmcnt(0)
	s_sub_i32 s3, s3, s12
	v_lshl_or_b32 v8, s3, 5, v6
	v_ashrrev_i32_e32 v9, 31, v8
	v_lshlrev_b64 v[8:9], 2, v[8:9]
	s_add_u32 s16, s16, 4
	v_add_co_u32_e32 v8, vcc, s2, v8
	v_addc_co_u32_e32 v9, vcc, v7, v9, vcc
	global_load_dword v8, v[8:9], off
	v_add_co_u32_e32 v1, vcc, 0x1000, v1
	s_addc_u32 s17, s17, 0
	v_addc_co_u32_e32 v2, vcc, 0, v2, vcc
	s_cmp_lt_i32 s4, s7
	s_waitcnt vmcnt(0)
	v_fmac_f32_e32 v4, v10, v8
	s_cbranch_scc1 .LBB15_9
.LBB15_10:
	s_and_b64 vcc, exec, s[14:15]
	ds_write_b32 v3, v4
	s_waitcnt lgkmcnt(0)
	s_barrier
	s_cbranch_vccz .LBB15_22
; %bb.11:
	v_cmp_gt_u32_e32 vcc, 16, v5
	s_and_saveexec_b64 s[2:3], vcc
	s_cbranch_execz .LBB15_13
; %bb.12:
	ds_read2_b32 v[1:2], v3 offset1:16
	s_waitcnt lgkmcnt(0)
	v_add_f32_e32 v1, v2, v1
	ds_write_b32 v3, v1
.LBB15_13:
	s_or_b64 exec, exec, s[2:3]
	v_cmp_gt_u32_e32 vcc, 8, v5
	s_waitcnt lgkmcnt(0)
	s_barrier
	s_and_saveexec_b64 s[2:3], vcc
	s_cbranch_execz .LBB15_15
; %bb.14:
	ds_read2_b32 v[1:2], v3 offset1:8
	s_waitcnt lgkmcnt(0)
	v_add_f32_e32 v1, v2, v1
	ds_write_b32 v3, v1
.LBB15_15:
	s_or_b64 exec, exec, s[2:3]
	v_cmp_gt_u32_e32 vcc, 4, v5
	s_waitcnt lgkmcnt(0)
	s_barrier
	;; [unrolled: 12-line block ×3, first 2 shown]
	s_and_saveexec_b64 s[2:3], vcc
	s_cbranch_execz .LBB15_19
; %bb.18:
	ds_read2_b32 v[1:2], v3 offset1:2
	s_waitcnt lgkmcnt(0)
	v_add_f32_e32 v1, v2, v1
	ds_write_b32 v3, v1
.LBB15_19:
	s_or_b64 exec, exec, s[2:3]
	v_cmp_gt_u32_e32 vcc, 32, v0
	v_mov_b32_e32 v1, v4
	s_waitcnt lgkmcnt(0)
	s_barrier
	s_and_saveexec_b64 s[2:3], vcc
	s_cbranch_execz .LBB15_21
; %bb.20:
	s_movk_i32 s4, 0x7c
	v_mad_u32_u24 v1, v0, s4, v3
	ds_read_b64 v[1:2], v1
	s_waitcnt lgkmcnt(0)
	v_add_f32_e32 v1, v1, v2
.LBB15_21:
	s_or_b64 exec, exec, s[2:3]
	s_branch .LBB15_34
.LBB15_22:
                                        ; implicit-def: $vgpr1
	s_cbranch_execz .LBB15_34
; %bb.23:
	s_movk_i32 s2, 0x200
	v_cmp_gt_u32_e32 vcc, s2, v0
	s_and_saveexec_b64 s[2:3], vcc
	s_cbranch_execz .LBB15_25
; %bb.24:
	ds_read2st64_b32 v[1:2], v3 offset1:8
	s_waitcnt lgkmcnt(0)
	v_add_f32_e32 v1, v2, v1
	ds_write_b32 v3, v1
.LBB15_25:
	s_or_b64 exec, exec, s[2:3]
	s_movk_i32 s2, 0x100
	v_cmp_gt_u32_e32 vcc, s2, v0
	s_waitcnt lgkmcnt(0)
	s_barrier
	s_and_saveexec_b64 s[2:3], vcc
	s_cbranch_execz .LBB15_27
; %bb.26:
	ds_read2st64_b32 v[1:2], v3 offset1:4
	s_waitcnt lgkmcnt(0)
	v_add_f32_e32 v1, v2, v1
	ds_write_b32 v3, v1
.LBB15_27:
	s_or_b64 exec, exec, s[2:3]
	s_movk_i32 s2, 0x80
	v_cmp_gt_u32_e32 vcc, s2, v0
	s_waitcnt lgkmcnt(0)
	s_barrier
	s_and_saveexec_b64 s[2:3], vcc
	s_cbranch_execz .LBB15_29
; %bb.28:
	ds_read2st64_b32 v[1:2], v3 offset1:2
	s_waitcnt lgkmcnt(0)
	v_add_f32_e32 v1, v2, v1
	ds_write_b32 v3, v1
.LBB15_29:
	s_or_b64 exec, exec, s[2:3]
	v_cmp_gt_u32_e32 vcc, 64, v0
	s_waitcnt lgkmcnt(0)
	s_barrier
	s_and_saveexec_b64 s[2:3], vcc
	s_cbranch_execz .LBB15_31
; %bb.30:
	ds_read2st64_b32 v[1:2], v3 offset1:1
	s_waitcnt lgkmcnt(0)
	v_add_f32_e32 v1, v2, v1
	ds_write_b32 v3, v1
.LBB15_31:
	s_or_b64 exec, exec, s[2:3]
	v_cmp_gt_u32_e32 vcc, 32, v0
	s_waitcnt lgkmcnt(0)
	s_and_saveexec_b64 s[2:3], vcc
	s_cbranch_execz .LBB15_33
; %bb.32:
	ds_read2_b32 v[1:2], v3 offset1:32
	s_waitcnt lgkmcnt(0)
	v_add_f32_e32 v4, v1, v2
.LBB15_33:
	s_or_b64 exec, exec, s[2:3]
	v_mov_b32_e32 v1, v4
.LBB15_34:
	v_cmp_gt_u32_e32 vcc, 32, v0
	s_and_saveexec_b64 s[2:3], vcc
	s_cbranch_execz .LBB15_38
; %bb.35:
	v_cmp_eq_f32_e64 s[2:3], s8, 0
	s_and_b64 vcc, exec, s[2:3]
	v_mul_f32_e32 v2, s10, v1
	v_lshl_or_b32 v0, s6, 5, v0
	s_cbranch_vccz .LBB15_39
; %bb.36:
	v_mov_b32_e32 v1, 0
	v_lshlrev_b64 v[3:4], 2, v[0:1]
	v_mov_b32_e32 v1, s1
	v_add_co_u32_e32 v3, vcc, s0, v3
	v_addc_co_u32_e32 v4, vcc, v1, v4, vcc
	global_store_dword v[3:4], v2, off
	s_cbranch_execnz .LBB15_38
.LBB15_37:
	v_mov_b32_e32 v1, 0
	v_lshlrev_b64 v[0:1], 2, v[0:1]
	v_mov_b32_e32 v3, s1
	v_add_co_u32_e32 v0, vcc, s0, v0
	v_addc_co_u32_e32 v1, vcc, v3, v1, vcc
	global_load_dword v3, v[0:1], off
	s_waitcnt vmcnt(0)
	v_fmac_f32_e32 v2, s8, v3
	global_store_dword v[0:1], v2, off
.LBB15_38:
	s_endpgm
.LBB15_39:
	s_branch .LBB15_37
	.section	.rodata,"a",@progbits
	.p2align	6, 0x0
	.amdhsa_kernel _ZN9rocsparseL20bsrxmvn_17_32_kernelILj32EfiifffEEvT2_20rocsparse_direction_NS_24const_host_device_scalarIT0_EES1_PKS1_PKT1_SA_S7_PKT3_PKT4_S5_PT5_21rocsparse_index_base_b
		.amdhsa_group_segment_fixed_size 4096
		.amdhsa_private_segment_fixed_size 0
		.amdhsa_kernarg_size 96
		.amdhsa_user_sgpr_count 6
		.amdhsa_user_sgpr_private_segment_buffer 1
		.amdhsa_user_sgpr_dispatch_ptr 0
		.amdhsa_user_sgpr_queue_ptr 0
		.amdhsa_user_sgpr_kernarg_segment_ptr 1
		.amdhsa_user_sgpr_dispatch_id 0
		.amdhsa_user_sgpr_flat_scratch_init 0
		.amdhsa_user_sgpr_private_segment_size 0
		.amdhsa_uses_dynamic_stack 0
		.amdhsa_system_sgpr_private_segment_wavefront_offset 0
		.amdhsa_system_sgpr_workgroup_id_x 1
		.amdhsa_system_sgpr_workgroup_id_y 0
		.amdhsa_system_sgpr_workgroup_id_z 0
		.amdhsa_system_sgpr_workgroup_info 0
		.amdhsa_system_vgpr_workitem_id 0
		.amdhsa_next_free_vgpr 29
		.amdhsa_next_free_sgpr 61
		.amdhsa_reserve_vcc 1
		.amdhsa_reserve_flat_scratch 0
		.amdhsa_float_round_mode_32 0
		.amdhsa_float_round_mode_16_64 0
		.amdhsa_float_denorm_mode_32 3
		.amdhsa_float_denorm_mode_16_64 3
		.amdhsa_dx10_clamp 1
		.amdhsa_ieee_mode 1
		.amdhsa_fp16_overflow 0
		.amdhsa_exception_fp_ieee_invalid_op 0
		.amdhsa_exception_fp_denorm_src 0
		.amdhsa_exception_fp_ieee_div_zero 0
		.amdhsa_exception_fp_ieee_overflow 0
		.amdhsa_exception_fp_ieee_underflow 0
		.amdhsa_exception_fp_ieee_inexact 0
		.amdhsa_exception_int_div_zero 0
	.end_amdhsa_kernel
	.section	.text._ZN9rocsparseL20bsrxmvn_17_32_kernelILj32EfiifffEEvT2_20rocsparse_direction_NS_24const_host_device_scalarIT0_EES1_PKS1_PKT1_SA_S7_PKT3_PKT4_S5_PT5_21rocsparse_index_base_b,"axG",@progbits,_ZN9rocsparseL20bsrxmvn_17_32_kernelILj32EfiifffEEvT2_20rocsparse_direction_NS_24const_host_device_scalarIT0_EES1_PKS1_PKT1_SA_S7_PKT3_PKT4_S5_PT5_21rocsparse_index_base_b,comdat
.Lfunc_end15:
	.size	_ZN9rocsparseL20bsrxmvn_17_32_kernelILj32EfiifffEEvT2_20rocsparse_direction_NS_24const_host_device_scalarIT0_EES1_PKS1_PKT1_SA_S7_PKT3_PKT4_S5_PT5_21rocsparse_index_base_b, .Lfunc_end15-_ZN9rocsparseL20bsrxmvn_17_32_kernelILj32EfiifffEEvT2_20rocsparse_direction_NS_24const_host_device_scalarIT0_EES1_PKS1_PKT1_SA_S7_PKT3_PKT4_S5_PT5_21rocsparse_index_base_b
                                        ; -- End function
	.set _ZN9rocsparseL20bsrxmvn_17_32_kernelILj32EfiifffEEvT2_20rocsparse_direction_NS_24const_host_device_scalarIT0_EES1_PKS1_PKT1_SA_S7_PKT3_PKT4_S5_PT5_21rocsparse_index_base_b.num_vgpr, 11
	.set _ZN9rocsparseL20bsrxmvn_17_32_kernelILj32EfiifffEEvT2_20rocsparse_direction_NS_24const_host_device_scalarIT0_EES1_PKS1_PKT1_SA_S7_PKT3_PKT4_S5_PT5_21rocsparse_index_base_b.num_agpr, 0
	.set _ZN9rocsparseL20bsrxmvn_17_32_kernelILj32EfiifffEEvT2_20rocsparse_direction_NS_24const_host_device_scalarIT0_EES1_PKS1_PKT1_SA_S7_PKT3_PKT4_S5_PT5_21rocsparse_index_base_b.numbered_sgpr, 22
	.set _ZN9rocsparseL20bsrxmvn_17_32_kernelILj32EfiifffEEvT2_20rocsparse_direction_NS_24const_host_device_scalarIT0_EES1_PKS1_PKT1_SA_S7_PKT3_PKT4_S5_PT5_21rocsparse_index_base_b.num_named_barrier, 0
	.set _ZN9rocsparseL20bsrxmvn_17_32_kernelILj32EfiifffEEvT2_20rocsparse_direction_NS_24const_host_device_scalarIT0_EES1_PKS1_PKT1_SA_S7_PKT3_PKT4_S5_PT5_21rocsparse_index_base_b.private_seg_size, 0
	.set _ZN9rocsparseL20bsrxmvn_17_32_kernelILj32EfiifffEEvT2_20rocsparse_direction_NS_24const_host_device_scalarIT0_EES1_PKS1_PKT1_SA_S7_PKT3_PKT4_S5_PT5_21rocsparse_index_base_b.uses_vcc, 1
	.set _ZN9rocsparseL20bsrxmvn_17_32_kernelILj32EfiifffEEvT2_20rocsparse_direction_NS_24const_host_device_scalarIT0_EES1_PKS1_PKT1_SA_S7_PKT3_PKT4_S5_PT5_21rocsparse_index_base_b.uses_flat_scratch, 0
	.set _ZN9rocsparseL20bsrxmvn_17_32_kernelILj32EfiifffEEvT2_20rocsparse_direction_NS_24const_host_device_scalarIT0_EES1_PKS1_PKT1_SA_S7_PKT3_PKT4_S5_PT5_21rocsparse_index_base_b.has_dyn_sized_stack, 0
	.set _ZN9rocsparseL20bsrxmvn_17_32_kernelILj32EfiifffEEvT2_20rocsparse_direction_NS_24const_host_device_scalarIT0_EES1_PKS1_PKT1_SA_S7_PKT3_PKT4_S5_PT5_21rocsparse_index_base_b.has_recursion, 0
	.set _ZN9rocsparseL20bsrxmvn_17_32_kernelILj32EfiifffEEvT2_20rocsparse_direction_NS_24const_host_device_scalarIT0_EES1_PKS1_PKT1_SA_S7_PKT3_PKT4_S5_PT5_21rocsparse_index_base_b.has_indirect_call, 0
	.section	.AMDGPU.csdata,"",@progbits
; Kernel info:
; codeLenInByte = 1108
; TotalNumSgprs: 26
; NumVgprs: 11
; ScratchSize: 0
; MemoryBound: 0
; FloatMode: 240
; IeeeMode: 1
; LDSByteSize: 4096 bytes/workgroup (compile time only)
; SGPRBlocks: 8
; VGPRBlocks: 7
; NumSGPRsForWavesPerEU: 65
; NumVGPRsForWavesPerEU: 29
; Occupancy: 8
; WaveLimiterHint : 1
; COMPUTE_PGM_RSRC2:SCRATCH_EN: 0
; COMPUTE_PGM_RSRC2:USER_SGPR: 6
; COMPUTE_PGM_RSRC2:TRAP_HANDLER: 0
; COMPUTE_PGM_RSRC2:TGID_X_EN: 1
; COMPUTE_PGM_RSRC2:TGID_Y_EN: 0
; COMPUTE_PGM_RSRC2:TGID_Z_EN: 0
; COMPUTE_PGM_RSRC2:TIDIG_COMP_CNT: 0
	.section	.text._ZN9rocsparseL20bsrxmvn_17_32_kernelILj17EdiidddEEvT2_20rocsparse_direction_NS_24const_host_device_scalarIT0_EES1_PKS1_PKT1_SA_S7_PKT3_PKT4_S5_PT5_21rocsparse_index_base_b,"axG",@progbits,_ZN9rocsparseL20bsrxmvn_17_32_kernelILj17EdiidddEEvT2_20rocsparse_direction_NS_24const_host_device_scalarIT0_EES1_PKS1_PKT1_SA_S7_PKT3_PKT4_S5_PT5_21rocsparse_index_base_b,comdat
	.globl	_ZN9rocsparseL20bsrxmvn_17_32_kernelILj17EdiidddEEvT2_20rocsparse_direction_NS_24const_host_device_scalarIT0_EES1_PKS1_PKT1_SA_S7_PKT3_PKT4_S5_PT5_21rocsparse_index_base_b ; -- Begin function _ZN9rocsparseL20bsrxmvn_17_32_kernelILj17EdiidddEEvT2_20rocsparse_direction_NS_24const_host_device_scalarIT0_EES1_PKS1_PKT1_SA_S7_PKT3_PKT4_S5_PT5_21rocsparse_index_base_b
	.p2align	8
	.type	_ZN9rocsparseL20bsrxmvn_17_32_kernelILj17EdiidddEEvT2_20rocsparse_direction_NS_24const_host_device_scalarIT0_EES1_PKS1_PKT1_SA_S7_PKT3_PKT4_S5_PT5_21rocsparse_index_base_b,@function
_ZN9rocsparseL20bsrxmvn_17_32_kernelILj17EdiidddEEvT2_20rocsparse_direction_NS_24const_host_device_scalarIT0_EES1_PKS1_PKT1_SA_S7_PKT3_PKT4_S5_PT5_21rocsparse_index_base_b: ; @_ZN9rocsparseL20bsrxmvn_17_32_kernelILj17EdiidddEEvT2_20rocsparse_direction_NS_24const_host_device_scalarIT0_EES1_PKS1_PKT1_SA_S7_PKT3_PKT4_S5_PT5_21rocsparse_index_base_b
; %bb.0:
	s_load_dwordx2 s[10:11], s[4:5], 0x58
	s_load_dwordx2 s[8:9], s[4:5], 0x8
	s_load_dwordx2 s[0:1], s[4:5], 0x48
	s_waitcnt lgkmcnt(0)
	s_bitcmp1_b32 s11, 0
	s_cselect_b64 s[12:13], -1, 0
	v_mov_b32_e32 v3, s8
	s_xor_b64 s[2:3], s[12:13], -1
	s_and_b64 vcc, exec, s[12:13]
	v_mov_b32_e32 v4, s9
	s_cbranch_vccnz .LBB16_2
; %bb.1:
	v_mov_b32_e32 v1, s8
	v_mov_b32_e32 v2, s9
	flat_load_dwordx2 v[3:4], v[1:2]
.LBB16_2:
	v_mov_b32_e32 v2, s1
	s_andn2_b64 vcc, exec, s[2:3]
	v_mov_b32_e32 v1, s0
	s_cbranch_vccnz .LBB16_4
; %bb.3:
	v_mov_b32_e32 v2, s1
	v_mov_b32_e32 v1, s0
	flat_load_dwordx2 v[1:2], v[1:2]
.LBB16_4:
	s_waitcnt vmcnt(0) lgkmcnt(0)
	v_cmp_neq_f64_e32 vcc, 0, v[3:4]
	v_cmp_neq_f64_e64 s[0:1], 1.0, v[1:2]
	s_or_b64 s[0:1], vcc, s[0:1]
	s_and_saveexec_b64 s[2:3], s[0:1]
	s_cbranch_execz .LBB16_41
; %bb.5:
	s_load_dwordx4 s[0:3], s[4:5], 0x18
	s_load_dwordx2 s[14:15], s[4:5], 0x28
	s_waitcnt lgkmcnt(0)
	s_cmp_eq_u64 s[0:1], 0
	s_cbranch_scc1 .LBB16_7
; %bb.6:
	s_ashr_i32 s7, s6, 31
	s_lshl_b64 s[6:7], s[6:7], 2
	s_add_u32 s0, s0, s6
	s_addc_u32 s1, s1, s7
	s_load_dword s0, s[0:1], 0x0
	s_waitcnt lgkmcnt(0)
	s_sub_i32 s6, s0, s10
.LBB16_7:
	s_load_dword s0, s[4:5], 0x4
	s_load_dwordx2 s[8:9], s[4:5], 0x50
	v_mul_u32_u24_e32 v7, 0xf10, v0
	v_mov_b32_e32 v5, 17
	v_mul_lo_u16_sdwa v5, v7, v5 dst_sel:DWORD dst_unused:UNUSED_PAD src0_sel:WORD_1 src1_sel:DWORD
	s_waitcnt lgkmcnt(0)
	s_cmp_eq_u32 s0, 1
	s_cselect_b64 vcc, -1, 0
	s_cmp_lg_u32 s0, 1
	s_cselect_b64 s[12:13], -1, 0
	s_ashr_i32 s7, s6, 31
	s_lshl_b64 s[0:1], s[6:7], 2
	s_add_u32 s2, s2, s0
	s_addc_u32 s3, s3, s1
	s_load_dword s7, s[2:3], 0x0
	s_add_u32 s2, s2, 4
	s_addc_u32 s3, s3, 0
	s_add_u32 s0, s14, s0
	s_addc_u32 s1, s15, s1
	s_cmp_eq_u64 s[14:15], 0
	s_cselect_b32 s1, s3, s1
	s_cselect_b32 s0, s2, s0
	s_load_dword s11, s[0:1], 0x0
	v_sub_u16_e32 v13, v0, v5
	v_mov_b32_e32 v5, 0
	v_mov_b32_e32 v6, 0
	v_lshlrev_b32_e32 v12, 3, v0
	s_waitcnt lgkmcnt(0)
	s_cmp_ge_i32 s7, s11
	s_cbranch_scc1 .LBB16_12
; %bb.8:
	s_load_dwordx4 s[0:3], s[4:5], 0x30
	s_load_dwordx2 s[14:15], s[4:5], 0x40
	v_mov_b32_e32 v5, 31
	v_mul_lo_u16_sdwa v5, v7, v5 dst_sel:DWORD dst_unused:UNUSED_PAD src0_sel:WORD_1 src1_sel:DWORD
	v_lshrrev_b16_e32 v5, 9, v5
	s_sub_i32 s5, s7, s10
	s_sub_i32 s4, s11, s10
	v_mul_lo_u16_e32 v5, 17, v5
	s_mul_i32 s11, s5, 0x908
	v_sub_u16_sdwa v5, v7, v5 dst_sel:DWORD dst_unused:UNUSED_PAD src0_sel:WORD_1 src1_sel:DWORD
	s_mul_hi_i32 s7, s5, 0x908
	s_waitcnt lgkmcnt(0)
	s_add_u32 s2, s2, s11
	v_and_b32_e32 v5, 0xff, v5
	s_addc_u32 s3, s3, s7
	v_cndmask_b32_e32 v7, v13, v5, vcc
	v_mov_b32_e32 v5, s3
	v_add_co_u32_e32 v8, vcc, s2, v12
	v_addc_co_u32_e32 v9, vcc, 0, v5, vcc
	s_movk_i32 s2, 0xe3
	v_mov_b32_e32 v5, 0
	v_mov_b32_e32 v6, 0
	v_mul_u32_u24_sdwa v14, v0, s2 dst_sel:DWORD dst_unused:UNUSED_PAD src0_sel:WORD_0 src1_sel:DWORD
	s_branch .LBB16_10
.LBB16_9:                               ;   in Loop: Header=BB16_10 Depth=1
	s_or_b64 exec, exec, s[2:3]
	s_add_i32 s5, s5, 1
	s_cmp_lt_i32 s5, s4
	s_cbranch_scc0 .LBB16_12
.LBB16_10:                              ; =>This Inner Loop Header: Depth=1
	v_add_u32_sdwa v10, v14, s5 dst_sel:DWORD dst_unused:UNUSED_PAD src0_sel:WORD_1 src1_sel:DWORD
	v_cmp_gt_i32_e32 vcc, s4, v10
	s_and_saveexec_b64 s[2:3], vcc
	s_cbranch_execz .LBB16_9
; %bb.11:                               ;   in Loop: Header=BB16_10 Depth=1
	v_ashrrev_i32_e32 v11, 31, v10
	v_lshlrev_b64 v[10:11], 2, v[10:11]
	v_mov_b32_e32 v15, s1
	v_add_co_u32_e32 v10, vcc, s0, v10
	v_addc_co_u32_e32 v11, vcc, v15, v11, vcc
	global_load_dword v10, v[10:11], off
	v_mov_b32_e32 v17, s15
	global_load_dwordx2 v[15:16], v[8:9], off
	s_waitcnt vmcnt(1)
	v_subrev_u32_e32 v10, s10, v10
	v_mad_u64_u32 v[10:11], s[16:17], v10, 17, v[7:8]
	v_ashrrev_i32_e32 v11, 31, v10
	v_lshlrev_b64 v[10:11], 3, v[10:11]
	v_add_co_u32_e32 v10, vcc, s14, v10
	v_addc_co_u32_e32 v11, vcc, v17, v11, vcc
	global_load_dwordx2 v[10:11], v[10:11], off
	v_add_co_u32_e32 v8, vcc, 0x908, v8
	v_addc_co_u32_e32 v9, vcc, 0, v9, vcc
	s_waitcnt vmcnt(0)
	v_fma_f64 v[5:6], v[15:16], v[10:11], v[5:6]
	s_branch .LBB16_9
.LBB16_12:
	s_and_b64 vcc, exec, s[12:13]
	ds_write_b64 v12, v[5:6]
	s_waitcnt lgkmcnt(0)
	s_barrier
	s_cbranch_vccz .LBB16_24
; %bb.13:
	v_cmp_eq_u16_e32 vcc, 0, v13
	s_and_saveexec_b64 s[0:1], vcc
	s_cbranch_execz .LBB16_15
; %bb.14:
	ds_read2_b64 v[7:10], v12 offset1:16
	s_waitcnt lgkmcnt(0)
	v_add_f64 v[7:8], v[9:10], v[7:8]
	ds_write_b64 v12, v[7:8]
.LBB16_15:
	s_or_b64 exec, exec, s[0:1]
	v_cmp_gt_u16_e32 vcc, 8, v13
	s_waitcnt lgkmcnt(0)
	s_barrier
	s_and_saveexec_b64 s[0:1], vcc
	s_cbranch_execz .LBB16_17
; %bb.16:
	ds_read2_b64 v[7:10], v12 offset1:8
	s_waitcnt lgkmcnt(0)
	v_add_f64 v[7:8], v[9:10], v[7:8]
	ds_write_b64 v12, v[7:8]
.LBB16_17:
	s_or_b64 exec, exec, s[0:1]
	v_cmp_gt_u16_e32 vcc, 4, v13
	s_waitcnt lgkmcnt(0)
	s_barrier
	;; [unrolled: 12-line block ×3, first 2 shown]
	s_and_saveexec_b64 s[0:1], vcc
	s_cbranch_execz .LBB16_21
; %bb.20:
	ds_read2_b64 v[7:10], v12 offset1:2
	s_waitcnt lgkmcnt(0)
	v_add_f64 v[7:8], v[9:10], v[7:8]
	ds_write_b64 v12, v[7:8]
.LBB16_21:
	s_or_b64 exec, exec, s[0:1]
	v_mov_b32_e32 v8, v6
	v_cmp_gt_u32_e32 vcc, 17, v0
	v_mov_b32_e32 v7, v5
	s_waitcnt lgkmcnt(0)
	s_barrier
	s_and_saveexec_b64 s[0:1], vcc
	s_cbranch_execz .LBB16_23
; %bb.22:
	v_lshl_add_u32 v7, v0, 7, v12
	ds_read2_b64 v[7:10], v7 offset1:1
	s_waitcnt lgkmcnt(0)
	v_add_f64 v[7:8], v[7:8], v[9:10]
.LBB16_23:
	s_or_b64 exec, exec, s[0:1]
	v_cmp_gt_u32_e64 s[0:1], 17, v0
	s_branch .LBB16_36
.LBB16_24:
                                        ; implicit-def: $vgpr7_vgpr8
	v_cmp_gt_u32_e64 s[0:1], 17, v0
	s_cbranch_execz .LBB16_36
; %bb.25:
	s_and_saveexec_b64 s[2:3], s[0:1]
	s_cbranch_execz .LBB16_27
; %bb.26:
	ds_read_b64 v[7:8], v12 offset:2176
	ds_read_b64 v[9:10], v12
	s_waitcnt lgkmcnt(0)
	v_add_f64 v[7:8], v[7:8], v[9:10]
	ds_write_b64 v12, v[7:8]
.LBB16_27:
	s_or_b64 exec, exec, s[2:3]
	s_movk_i32 s2, 0x88
	v_cmp_gt_u32_e32 vcc, s2, v0
	s_waitcnt lgkmcnt(0)
	s_barrier
	s_and_saveexec_b64 s[2:3], vcc
	s_cbranch_execz .LBB16_29
; %bb.28:
	ds_read2_b64 v[7:10], v12 offset1:136
	s_waitcnt lgkmcnt(0)
	v_add_f64 v[7:8], v[9:10], v[7:8]
	ds_write_b64 v12, v[7:8]
.LBB16_29:
	s_or_b64 exec, exec, s[2:3]
	s_movk_i32 s2, 0x44
	v_cmp_gt_u32_e32 vcc, s2, v0
	s_waitcnt lgkmcnt(0)
	s_barrier
	s_and_saveexec_b64 s[2:3], vcc
	s_cbranch_execz .LBB16_31
; %bb.30:
	ds_read2_b64 v[7:10], v12 offset1:68
	s_waitcnt lgkmcnt(0)
	v_add_f64 v[7:8], v[9:10], v[7:8]
	ds_write_b64 v12, v[7:8]
.LBB16_31:
	s_or_b64 exec, exec, s[2:3]
	v_cmp_gt_u32_e32 vcc, 34, v0
	s_waitcnt lgkmcnt(0)
	s_barrier
	s_and_saveexec_b64 s[2:3], vcc
	s_cbranch_execz .LBB16_33
; %bb.32:
	ds_read2_b64 v[7:10], v12 offset1:34
	s_waitcnt lgkmcnt(0)
	v_add_f64 v[7:8], v[9:10], v[7:8]
	ds_write_b64 v12, v[7:8]
.LBB16_33:
	s_or_b64 exec, exec, s[2:3]
	s_waitcnt lgkmcnt(0)
	s_and_saveexec_b64 s[2:3], s[0:1]
	s_cbranch_execz .LBB16_35
; %bb.34:
	ds_read2_b64 v[5:8], v12 offset1:17
	s_waitcnt lgkmcnt(0)
	v_add_f64 v[5:6], v[5:6], v[7:8]
.LBB16_35:
	s_or_b64 exec, exec, s[2:3]
	v_mov_b32_e32 v8, v6
	v_mov_b32_e32 v7, v5
.LBB16_36:
	v_cmp_gt_u32_e32 vcc, 17, v0
	s_and_b64 exec, exec, vcc
	s_cbranch_execz .LBB16_41
; %bb.37:
	v_cmp_eq_f64_e32 vcc, 0, v[1:2]
	v_mul_f64 v[3:4], v[3:4], v[7:8]
	s_and_saveexec_b64 s[0:1], vcc
	s_xor_b64 s[0:1], exec, s[0:1]
	s_cbranch_execz .LBB16_39
; %bb.38:
	v_mad_u64_u32 v[0:1], s[2:3], s6, 17, v[0:1]
	v_mov_b32_e32 v1, 0
	v_mov_b32_e32 v2, s9
	v_lshlrev_b64 v[0:1], 3, v[0:1]
	v_add_co_u32_e32 v0, vcc, s8, v0
	v_addc_co_u32_e32 v1, vcc, v2, v1, vcc
	global_store_dwordx2 v[0:1], v[3:4], off
                                        ; implicit-def: $vgpr0
                                        ; implicit-def: $vgpr1_vgpr2
                                        ; implicit-def: $vgpr3_vgpr4
.LBB16_39:
	s_andn2_saveexec_b64 s[0:1], s[0:1]
	s_cbranch_execz .LBB16_41
; %bb.40:
	v_mad_u64_u32 v[5:6], s[0:1], s6, 17, v[0:1]
	v_mov_b32_e32 v6, 0
	v_mov_b32_e32 v0, s9
	v_lshlrev_b64 v[5:6], 3, v[5:6]
	v_add_co_u32_e32 v5, vcc, s8, v5
	v_addc_co_u32_e32 v6, vcc, v0, v6, vcc
	global_load_dwordx2 v[7:8], v[5:6], off
	s_waitcnt vmcnt(0)
	v_fma_f64 v[0:1], v[1:2], v[7:8], v[3:4]
	global_store_dwordx2 v[5:6], v[0:1], off
.LBB16_41:
	s_endpgm
	.section	.rodata,"a",@progbits
	.p2align	6, 0x0
	.amdhsa_kernel _ZN9rocsparseL20bsrxmvn_17_32_kernelILj17EdiidddEEvT2_20rocsparse_direction_NS_24const_host_device_scalarIT0_EES1_PKS1_PKT1_SA_S7_PKT3_PKT4_S5_PT5_21rocsparse_index_base_b
		.amdhsa_group_segment_fixed_size 2312
		.amdhsa_private_segment_fixed_size 0
		.amdhsa_kernarg_size 96
		.amdhsa_user_sgpr_count 6
		.amdhsa_user_sgpr_private_segment_buffer 1
		.amdhsa_user_sgpr_dispatch_ptr 0
		.amdhsa_user_sgpr_queue_ptr 0
		.amdhsa_user_sgpr_kernarg_segment_ptr 1
		.amdhsa_user_sgpr_dispatch_id 0
		.amdhsa_user_sgpr_flat_scratch_init 0
		.amdhsa_user_sgpr_private_segment_size 0
		.amdhsa_uses_dynamic_stack 0
		.amdhsa_system_sgpr_private_segment_wavefront_offset 0
		.amdhsa_system_sgpr_workgroup_id_x 1
		.amdhsa_system_sgpr_workgroup_id_y 0
		.amdhsa_system_sgpr_workgroup_id_z 0
		.amdhsa_system_sgpr_workgroup_info 0
		.amdhsa_system_vgpr_workitem_id 0
		.amdhsa_next_free_vgpr 18
		.amdhsa_next_free_sgpr 18
		.amdhsa_reserve_vcc 1
		.amdhsa_reserve_flat_scratch 0
		.amdhsa_float_round_mode_32 0
		.amdhsa_float_round_mode_16_64 0
		.amdhsa_float_denorm_mode_32 3
		.amdhsa_float_denorm_mode_16_64 3
		.amdhsa_dx10_clamp 1
		.amdhsa_ieee_mode 1
		.amdhsa_fp16_overflow 0
		.amdhsa_exception_fp_ieee_invalid_op 0
		.amdhsa_exception_fp_denorm_src 0
		.amdhsa_exception_fp_ieee_div_zero 0
		.amdhsa_exception_fp_ieee_overflow 0
		.amdhsa_exception_fp_ieee_underflow 0
		.amdhsa_exception_fp_ieee_inexact 0
		.amdhsa_exception_int_div_zero 0
	.end_amdhsa_kernel
	.section	.text._ZN9rocsparseL20bsrxmvn_17_32_kernelILj17EdiidddEEvT2_20rocsparse_direction_NS_24const_host_device_scalarIT0_EES1_PKS1_PKT1_SA_S7_PKT3_PKT4_S5_PT5_21rocsparse_index_base_b,"axG",@progbits,_ZN9rocsparseL20bsrxmvn_17_32_kernelILj17EdiidddEEvT2_20rocsparse_direction_NS_24const_host_device_scalarIT0_EES1_PKS1_PKT1_SA_S7_PKT3_PKT4_S5_PT5_21rocsparse_index_base_b,comdat
.Lfunc_end16:
	.size	_ZN9rocsparseL20bsrxmvn_17_32_kernelILj17EdiidddEEvT2_20rocsparse_direction_NS_24const_host_device_scalarIT0_EES1_PKS1_PKT1_SA_S7_PKT3_PKT4_S5_PT5_21rocsparse_index_base_b, .Lfunc_end16-_ZN9rocsparseL20bsrxmvn_17_32_kernelILj17EdiidddEEvT2_20rocsparse_direction_NS_24const_host_device_scalarIT0_EES1_PKS1_PKT1_SA_S7_PKT3_PKT4_S5_PT5_21rocsparse_index_base_b
                                        ; -- End function
	.set _ZN9rocsparseL20bsrxmvn_17_32_kernelILj17EdiidddEEvT2_20rocsparse_direction_NS_24const_host_device_scalarIT0_EES1_PKS1_PKT1_SA_S7_PKT3_PKT4_S5_PT5_21rocsparse_index_base_b.num_vgpr, 18
	.set _ZN9rocsparseL20bsrxmvn_17_32_kernelILj17EdiidddEEvT2_20rocsparse_direction_NS_24const_host_device_scalarIT0_EES1_PKS1_PKT1_SA_S7_PKT3_PKT4_S5_PT5_21rocsparse_index_base_b.num_agpr, 0
	.set _ZN9rocsparseL20bsrxmvn_17_32_kernelILj17EdiidddEEvT2_20rocsparse_direction_NS_24const_host_device_scalarIT0_EES1_PKS1_PKT1_SA_S7_PKT3_PKT4_S5_PT5_21rocsparse_index_base_b.numbered_sgpr, 18
	.set _ZN9rocsparseL20bsrxmvn_17_32_kernelILj17EdiidddEEvT2_20rocsparse_direction_NS_24const_host_device_scalarIT0_EES1_PKS1_PKT1_SA_S7_PKT3_PKT4_S5_PT5_21rocsparse_index_base_b.num_named_barrier, 0
	.set _ZN9rocsparseL20bsrxmvn_17_32_kernelILj17EdiidddEEvT2_20rocsparse_direction_NS_24const_host_device_scalarIT0_EES1_PKS1_PKT1_SA_S7_PKT3_PKT4_S5_PT5_21rocsparse_index_base_b.private_seg_size, 0
	.set _ZN9rocsparseL20bsrxmvn_17_32_kernelILj17EdiidddEEvT2_20rocsparse_direction_NS_24const_host_device_scalarIT0_EES1_PKS1_PKT1_SA_S7_PKT3_PKT4_S5_PT5_21rocsparse_index_base_b.uses_vcc, 1
	.set _ZN9rocsparseL20bsrxmvn_17_32_kernelILj17EdiidddEEvT2_20rocsparse_direction_NS_24const_host_device_scalarIT0_EES1_PKS1_PKT1_SA_S7_PKT3_PKT4_S5_PT5_21rocsparse_index_base_b.uses_flat_scratch, 0
	.set _ZN9rocsparseL20bsrxmvn_17_32_kernelILj17EdiidddEEvT2_20rocsparse_direction_NS_24const_host_device_scalarIT0_EES1_PKS1_PKT1_SA_S7_PKT3_PKT4_S5_PT5_21rocsparse_index_base_b.has_dyn_sized_stack, 0
	.set _ZN9rocsparseL20bsrxmvn_17_32_kernelILj17EdiidddEEvT2_20rocsparse_direction_NS_24const_host_device_scalarIT0_EES1_PKS1_PKT1_SA_S7_PKT3_PKT4_S5_PT5_21rocsparse_index_base_b.has_recursion, 0
	.set _ZN9rocsparseL20bsrxmvn_17_32_kernelILj17EdiidddEEvT2_20rocsparse_direction_NS_24const_host_device_scalarIT0_EES1_PKS1_PKT1_SA_S7_PKT3_PKT4_S5_PT5_21rocsparse_index_base_b.has_indirect_call, 0
	.section	.AMDGPU.csdata,"",@progbits
; Kernel info:
; codeLenInByte = 1328
; TotalNumSgprs: 22
; NumVgprs: 18
; ScratchSize: 0
; MemoryBound: 0
; FloatMode: 240
; IeeeMode: 1
; LDSByteSize: 2312 bytes/workgroup (compile time only)
; SGPRBlocks: 2
; VGPRBlocks: 4
; NumSGPRsForWavesPerEU: 22
; NumVGPRsForWavesPerEU: 18
; Occupancy: 10
; WaveLimiterHint : 1
; COMPUTE_PGM_RSRC2:SCRATCH_EN: 0
; COMPUTE_PGM_RSRC2:USER_SGPR: 6
; COMPUTE_PGM_RSRC2:TRAP_HANDLER: 0
; COMPUTE_PGM_RSRC2:TGID_X_EN: 1
; COMPUTE_PGM_RSRC2:TGID_Y_EN: 0
; COMPUTE_PGM_RSRC2:TGID_Z_EN: 0
; COMPUTE_PGM_RSRC2:TIDIG_COMP_CNT: 0
	.section	.text._ZN9rocsparseL20bsrxmvn_17_32_kernelILj18EdiidddEEvT2_20rocsparse_direction_NS_24const_host_device_scalarIT0_EES1_PKS1_PKT1_SA_S7_PKT3_PKT4_S5_PT5_21rocsparse_index_base_b,"axG",@progbits,_ZN9rocsparseL20bsrxmvn_17_32_kernelILj18EdiidddEEvT2_20rocsparse_direction_NS_24const_host_device_scalarIT0_EES1_PKS1_PKT1_SA_S7_PKT3_PKT4_S5_PT5_21rocsparse_index_base_b,comdat
	.globl	_ZN9rocsparseL20bsrxmvn_17_32_kernelILj18EdiidddEEvT2_20rocsparse_direction_NS_24const_host_device_scalarIT0_EES1_PKS1_PKT1_SA_S7_PKT3_PKT4_S5_PT5_21rocsparse_index_base_b ; -- Begin function _ZN9rocsparseL20bsrxmvn_17_32_kernelILj18EdiidddEEvT2_20rocsparse_direction_NS_24const_host_device_scalarIT0_EES1_PKS1_PKT1_SA_S7_PKT3_PKT4_S5_PT5_21rocsparse_index_base_b
	.p2align	8
	.type	_ZN9rocsparseL20bsrxmvn_17_32_kernelILj18EdiidddEEvT2_20rocsparse_direction_NS_24const_host_device_scalarIT0_EES1_PKS1_PKT1_SA_S7_PKT3_PKT4_S5_PT5_21rocsparse_index_base_b,@function
_ZN9rocsparseL20bsrxmvn_17_32_kernelILj18EdiidddEEvT2_20rocsparse_direction_NS_24const_host_device_scalarIT0_EES1_PKS1_PKT1_SA_S7_PKT3_PKT4_S5_PT5_21rocsparse_index_base_b: ; @_ZN9rocsparseL20bsrxmvn_17_32_kernelILj18EdiidddEEvT2_20rocsparse_direction_NS_24const_host_device_scalarIT0_EES1_PKS1_PKT1_SA_S7_PKT3_PKT4_S5_PT5_21rocsparse_index_base_b
; %bb.0:
	s_load_dwordx2 s[10:11], s[4:5], 0x58
	s_load_dwordx2 s[8:9], s[4:5], 0x8
	;; [unrolled: 1-line block ×3, first 2 shown]
	s_waitcnt lgkmcnt(0)
	s_bitcmp1_b32 s11, 0
	s_cselect_b64 s[12:13], -1, 0
	v_mov_b32_e32 v3, s8
	s_xor_b64 s[2:3], s[12:13], -1
	s_and_b64 vcc, exec, s[12:13]
	v_mov_b32_e32 v4, s9
	s_cbranch_vccnz .LBB17_2
; %bb.1:
	v_mov_b32_e32 v1, s8
	v_mov_b32_e32 v2, s9
	flat_load_dwordx2 v[3:4], v[1:2]
.LBB17_2:
	v_mov_b32_e32 v2, s1
	s_andn2_b64 vcc, exec, s[2:3]
	v_mov_b32_e32 v1, s0
	s_cbranch_vccnz .LBB17_4
; %bb.3:
	v_mov_b32_e32 v2, s1
	v_mov_b32_e32 v1, s0
	flat_load_dwordx2 v[1:2], v[1:2]
.LBB17_4:
	s_waitcnt vmcnt(0) lgkmcnt(0)
	v_cmp_neq_f64_e32 vcc, 0, v[3:4]
	v_cmp_neq_f64_e64 s[0:1], 1.0, v[1:2]
	s_or_b64 s[0:1], vcc, s[0:1]
	s_and_saveexec_b64 s[2:3], s[0:1]
	s_cbranch_execz .LBB17_41
; %bb.5:
	s_load_dwordx4 s[0:3], s[4:5], 0x18
	s_load_dwordx2 s[14:15], s[4:5], 0x28
	s_waitcnt lgkmcnt(0)
	s_cmp_eq_u64 s[0:1], 0
	s_cbranch_scc1 .LBB17_7
; %bb.6:
	s_ashr_i32 s7, s6, 31
	s_lshl_b64 s[6:7], s[6:7], 2
	s_add_u32 s0, s0, s6
	s_addc_u32 s1, s1, s7
	s_load_dword s0, s[0:1], 0x0
	s_waitcnt lgkmcnt(0)
	s_sub_i32 s6, s0, s10
.LBB17_7:
	s_load_dword s0, s[4:5], 0x4
	s_load_dwordx2 s[8:9], s[4:5], 0x50
	v_mul_u32_u24_e32 v7, 0xe39, v0
	v_mov_b32_e32 v8, 18
	v_mul_lo_u16_sdwa v5, v7, v8 dst_sel:DWORD dst_unused:UNUSED_PAD src0_sel:WORD_1 src1_sel:DWORD
	s_waitcnt lgkmcnt(0)
	s_cmp_eq_u32 s0, 1
	s_cselect_b64 vcc, -1, 0
	s_cmp_lg_u32 s0, 1
	s_cselect_b64 s[12:13], -1, 0
	s_ashr_i32 s7, s6, 31
	s_lshl_b64 s[0:1], s[6:7], 2
	s_add_u32 s2, s2, s0
	s_addc_u32 s3, s3, s1
	s_load_dword s7, s[2:3], 0x0
	s_add_u32 s2, s2, 4
	s_addc_u32 s3, s3, 0
	s_add_u32 s0, s14, s0
	s_addc_u32 s1, s15, s1
	s_cmp_eq_u64 s[14:15], 0
	s_cselect_b32 s1, s3, s1
	s_cselect_b32 s0, s2, s0
	s_load_dword s11, s[0:1], 0x0
	v_sub_u16_e32 v13, v0, v5
	v_mov_b32_e32 v5, 0
	v_mov_b32_e32 v6, 0
	v_lshlrev_b32_e32 v12, 3, v0
	s_waitcnt lgkmcnt(0)
	s_cmp_ge_i32 s7, s11
	s_cbranch_scc1 .LBB17_12
; %bb.8:
	s_load_dwordx4 s[0:3], s[4:5], 0x30
	s_load_dwordx2 s[14:15], s[4:5], 0x40
	v_mov_b32_e32 v5, 15
	v_mul_lo_u16_sdwa v5, v7, v5 dst_sel:DWORD dst_unused:UNUSED_PAD src0_sel:WORD_1 src1_sel:DWORD
	s_sub_i32 s5, s7, s10
	s_sub_i32 s4, s11, s10
	v_mul_lo_u16_sdwa v5, v5, v8 dst_sel:DWORD dst_unused:UNUSED_PAD src0_sel:BYTE_1 src1_sel:DWORD
	s_mul_i32 s11, s5, 0xa20
	v_sub_u16_sdwa v5, v7, v5 dst_sel:DWORD dst_unused:UNUSED_PAD src0_sel:WORD_1 src1_sel:DWORD
	s_mul_hi_i32 s7, s5, 0xa20
	s_waitcnt lgkmcnt(0)
	s_add_u32 s2, s2, s11
	v_and_b32_e32 v5, 0xff, v5
	s_addc_u32 s3, s3, s7
	v_cndmask_b32_e32 v7, v13, v5, vcc
	v_mov_b32_e32 v5, s3
	v_add_co_u32_e32 v8, vcc, s2, v12
	s_movk_i32 s2, 0x195
	v_addc_co_u32_e32 v9, vcc, 0, v5, vcc
	v_mul_u32_u24_sdwa v10, v0, s2 dst_sel:DWORD dst_unused:UNUSED_PAD src0_sel:WORD_0 src1_sel:DWORD
	v_mov_b32_e32 v5, 0
	v_mov_b32_e32 v6, 0
	v_lshrrev_b32_e32 v14, 17, v10
	s_branch .LBB17_10
.LBB17_9:                               ;   in Loop: Header=BB17_10 Depth=1
	s_or_b64 exec, exec, s[2:3]
	s_add_i32 s5, s5, 1
	s_cmp_lt_i32 s5, s4
	s_cbranch_scc0 .LBB17_12
.LBB17_10:                              ; =>This Inner Loop Header: Depth=1
	v_add_u32_e32 v10, s5, v14
	v_cmp_gt_i32_e32 vcc, s4, v10
	s_and_saveexec_b64 s[2:3], vcc
	s_cbranch_execz .LBB17_9
; %bb.11:                               ;   in Loop: Header=BB17_10 Depth=1
	v_ashrrev_i32_e32 v11, 31, v10
	v_lshlrev_b64 v[10:11], 2, v[10:11]
	v_mov_b32_e32 v15, s1
	v_add_co_u32_e32 v10, vcc, s0, v10
	v_addc_co_u32_e32 v11, vcc, v15, v11, vcc
	global_load_dword v10, v[10:11], off
	v_mov_b32_e32 v17, s15
	global_load_dwordx2 v[15:16], v[8:9], off
	s_waitcnt vmcnt(1)
	v_subrev_u32_e32 v10, s10, v10
	v_mad_u64_u32 v[10:11], s[16:17], v10, 18, v[7:8]
	v_ashrrev_i32_e32 v11, 31, v10
	v_lshlrev_b64 v[10:11], 3, v[10:11]
	v_add_co_u32_e32 v10, vcc, s14, v10
	v_addc_co_u32_e32 v11, vcc, v17, v11, vcc
	global_load_dwordx2 v[10:11], v[10:11], off
	v_add_co_u32_e32 v8, vcc, 0xa20, v8
	v_addc_co_u32_e32 v9, vcc, 0, v9, vcc
	s_waitcnt vmcnt(0)
	v_fma_f64 v[5:6], v[15:16], v[10:11], v[5:6]
	s_branch .LBB17_9
.LBB17_12:
	s_and_b64 vcc, exec, s[12:13]
	ds_write_b64 v12, v[5:6]
	s_waitcnt lgkmcnt(0)
	s_barrier
	s_cbranch_vccz .LBB17_24
; %bb.13:
	v_cmp_gt_u16_e32 vcc, 2, v13
	s_and_saveexec_b64 s[0:1], vcc
	s_cbranch_execz .LBB17_15
; %bb.14:
	ds_read2_b64 v[7:10], v12 offset1:16
	s_waitcnt lgkmcnt(0)
	v_add_f64 v[7:8], v[9:10], v[7:8]
	ds_write_b64 v12, v[7:8]
.LBB17_15:
	s_or_b64 exec, exec, s[0:1]
	v_cmp_gt_u16_e64 s[0:1], 8, v13
	s_waitcnt lgkmcnt(0)
	s_barrier
	s_and_saveexec_b64 s[2:3], s[0:1]
	s_cbranch_execz .LBB17_17
; %bb.16:
	ds_read2_b64 v[7:10], v12 offset1:8
	s_waitcnt lgkmcnt(0)
	v_add_f64 v[7:8], v[9:10], v[7:8]
	ds_write_b64 v12, v[7:8]
.LBB17_17:
	s_or_b64 exec, exec, s[2:3]
	v_cmp_gt_u16_e64 s[0:1], 4, v13
	s_waitcnt lgkmcnt(0)
	s_barrier
	s_and_saveexec_b64 s[2:3], s[0:1]
	s_cbranch_execz .LBB17_19
; %bb.18:
	ds_read2_b64 v[7:10], v12 offset1:4
	s_waitcnt lgkmcnt(0)
	v_add_f64 v[7:8], v[9:10], v[7:8]
	ds_write_b64 v12, v[7:8]
.LBB17_19:
	s_or_b64 exec, exec, s[2:3]
	s_waitcnt lgkmcnt(0)
	s_barrier
	s_and_saveexec_b64 s[0:1], vcc
	s_cbranch_execz .LBB17_21
; %bb.20:
	ds_read2_b64 v[7:10], v12 offset1:2
	s_waitcnt lgkmcnt(0)
	v_add_f64 v[7:8], v[9:10], v[7:8]
	ds_write_b64 v12, v[7:8]
.LBB17_21:
	s_or_b64 exec, exec, s[0:1]
	v_mov_b32_e32 v8, v6
	v_cmp_gt_u32_e32 vcc, 18, v0
	v_mov_b32_e32 v7, v5
	s_waitcnt lgkmcnt(0)
	s_barrier
	s_and_saveexec_b64 s[0:1], vcc
	s_cbranch_execz .LBB17_23
; %bb.22:
	s_movk_i32 s2, 0x88
	v_mad_u32_u24 v7, v0, s2, v12
	ds_read_b128 v[7:10], v7
	s_waitcnt lgkmcnt(0)
	v_add_f64 v[7:8], v[7:8], v[9:10]
.LBB17_23:
	s_or_b64 exec, exec, s[0:1]
	s_branch .LBB17_36
.LBB17_24:
                                        ; implicit-def: $vgpr7_vgpr8
	s_cbranch_execz .LBB17_36
; %bb.25:
	v_cmp_gt_u32_e32 vcc, 36, v0
	s_and_saveexec_b64 s[0:1], vcc
	s_cbranch_execz .LBB17_27
; %bb.26:
	ds_read_b64 v[7:8], v12 offset:2304
	ds_read_b64 v[9:10], v12
	s_waitcnt lgkmcnt(0)
	v_add_f64 v[7:8], v[7:8], v[9:10]
	ds_write_b64 v12, v[7:8]
.LBB17_27:
	s_or_b64 exec, exec, s[0:1]
	s_movk_i32 s0, 0x90
	v_cmp_gt_u32_e64 s[0:1], s0, v0
	s_waitcnt lgkmcnt(0)
	s_barrier
	s_and_saveexec_b64 s[2:3], s[0:1]
	s_cbranch_execz .LBB17_29
; %bb.28:
	ds_read2_b64 v[7:10], v12 offset1:144
	s_waitcnt lgkmcnt(0)
	v_add_f64 v[7:8], v[9:10], v[7:8]
	ds_write_b64 v12, v[7:8]
.LBB17_29:
	s_or_b64 exec, exec, s[2:3]
	s_movk_i32 s0, 0x48
	v_cmp_gt_u32_e64 s[0:1], s0, v0
	s_waitcnt lgkmcnt(0)
	s_barrier
	s_and_saveexec_b64 s[2:3], s[0:1]
	s_cbranch_execz .LBB17_31
; %bb.30:
	ds_read2_b64 v[7:10], v12 offset1:72
	s_waitcnt lgkmcnt(0)
	v_add_f64 v[7:8], v[9:10], v[7:8]
	ds_write_b64 v12, v[7:8]
.LBB17_31:
	s_or_b64 exec, exec, s[2:3]
	s_waitcnt lgkmcnt(0)
	s_barrier
	s_and_saveexec_b64 s[0:1], vcc
	s_cbranch_execz .LBB17_33
; %bb.32:
	ds_read2_b64 v[7:10], v12 offset1:36
	s_waitcnt lgkmcnt(0)
	v_add_f64 v[7:8], v[9:10], v[7:8]
	ds_write_b64 v12, v[7:8]
.LBB17_33:
	s_or_b64 exec, exec, s[0:1]
	v_cmp_gt_u32_e32 vcc, 18, v0
	s_waitcnt lgkmcnt(0)
	s_and_saveexec_b64 s[0:1], vcc
	s_cbranch_execz .LBB17_35
; %bb.34:
	ds_read2_b64 v[5:8], v12 offset1:18
	s_waitcnt lgkmcnt(0)
	v_add_f64 v[5:6], v[5:6], v[7:8]
.LBB17_35:
	s_or_b64 exec, exec, s[0:1]
	v_mov_b32_e32 v8, v6
	v_mov_b32_e32 v7, v5
.LBB17_36:
	v_cmp_gt_u32_e32 vcc, 18, v0
	s_and_b64 exec, exec, vcc
	s_cbranch_execz .LBB17_41
; %bb.37:
	v_cmp_eq_f64_e32 vcc, 0, v[1:2]
	v_mul_f64 v[3:4], v[3:4], v[7:8]
	s_and_saveexec_b64 s[0:1], vcc
	s_xor_b64 s[0:1], exec, s[0:1]
	s_cbranch_execz .LBB17_39
; %bb.38:
	v_mad_u64_u32 v[0:1], s[2:3], s6, 18, v[0:1]
	v_mov_b32_e32 v1, 0
	v_mov_b32_e32 v2, s9
	v_lshlrev_b64 v[0:1], 3, v[0:1]
	v_add_co_u32_e32 v0, vcc, s8, v0
	v_addc_co_u32_e32 v1, vcc, v2, v1, vcc
	global_store_dwordx2 v[0:1], v[3:4], off
                                        ; implicit-def: $vgpr0
                                        ; implicit-def: $vgpr1_vgpr2
                                        ; implicit-def: $vgpr3_vgpr4
.LBB17_39:
	s_andn2_saveexec_b64 s[0:1], s[0:1]
	s_cbranch_execz .LBB17_41
; %bb.40:
	v_mad_u64_u32 v[5:6], s[0:1], s6, 18, v[0:1]
	v_mov_b32_e32 v6, 0
	v_mov_b32_e32 v0, s9
	v_lshlrev_b64 v[5:6], 3, v[5:6]
	v_add_co_u32_e32 v5, vcc, s8, v5
	v_addc_co_u32_e32 v6, vcc, v0, v6, vcc
	global_load_dwordx2 v[7:8], v[5:6], off
	s_waitcnt vmcnt(0)
	v_fma_f64 v[0:1], v[1:2], v[7:8], v[3:4]
	global_store_dwordx2 v[5:6], v[0:1], off
.LBB17_41:
	s_endpgm
	.section	.rodata,"a",@progbits
	.p2align	6, 0x0
	.amdhsa_kernel _ZN9rocsparseL20bsrxmvn_17_32_kernelILj18EdiidddEEvT2_20rocsparse_direction_NS_24const_host_device_scalarIT0_EES1_PKS1_PKT1_SA_S7_PKT3_PKT4_S5_PT5_21rocsparse_index_base_b
		.amdhsa_group_segment_fixed_size 2592
		.amdhsa_private_segment_fixed_size 0
		.amdhsa_kernarg_size 96
		.amdhsa_user_sgpr_count 6
		.amdhsa_user_sgpr_private_segment_buffer 1
		.amdhsa_user_sgpr_dispatch_ptr 0
		.amdhsa_user_sgpr_queue_ptr 0
		.amdhsa_user_sgpr_kernarg_segment_ptr 1
		.amdhsa_user_sgpr_dispatch_id 0
		.amdhsa_user_sgpr_flat_scratch_init 0
		.amdhsa_user_sgpr_private_segment_size 0
		.amdhsa_uses_dynamic_stack 0
		.amdhsa_system_sgpr_private_segment_wavefront_offset 0
		.amdhsa_system_sgpr_workgroup_id_x 1
		.amdhsa_system_sgpr_workgroup_id_y 0
		.amdhsa_system_sgpr_workgroup_id_z 0
		.amdhsa_system_sgpr_workgroup_info 0
		.amdhsa_system_vgpr_workitem_id 0
		.amdhsa_next_free_vgpr 25
		.amdhsa_next_free_sgpr 61
		.amdhsa_reserve_vcc 1
		.amdhsa_reserve_flat_scratch 0
		.amdhsa_float_round_mode_32 0
		.amdhsa_float_round_mode_16_64 0
		.amdhsa_float_denorm_mode_32 3
		.amdhsa_float_denorm_mode_16_64 3
		.amdhsa_dx10_clamp 1
		.amdhsa_ieee_mode 1
		.amdhsa_fp16_overflow 0
		.amdhsa_exception_fp_ieee_invalid_op 0
		.amdhsa_exception_fp_denorm_src 0
		.amdhsa_exception_fp_ieee_div_zero 0
		.amdhsa_exception_fp_ieee_overflow 0
		.amdhsa_exception_fp_ieee_underflow 0
		.amdhsa_exception_fp_ieee_inexact 0
		.amdhsa_exception_int_div_zero 0
	.end_amdhsa_kernel
	.section	.text._ZN9rocsparseL20bsrxmvn_17_32_kernelILj18EdiidddEEvT2_20rocsparse_direction_NS_24const_host_device_scalarIT0_EES1_PKS1_PKT1_SA_S7_PKT3_PKT4_S5_PT5_21rocsparse_index_base_b,"axG",@progbits,_ZN9rocsparseL20bsrxmvn_17_32_kernelILj18EdiidddEEvT2_20rocsparse_direction_NS_24const_host_device_scalarIT0_EES1_PKS1_PKT1_SA_S7_PKT3_PKT4_S5_PT5_21rocsparse_index_base_b,comdat
.Lfunc_end17:
	.size	_ZN9rocsparseL20bsrxmvn_17_32_kernelILj18EdiidddEEvT2_20rocsparse_direction_NS_24const_host_device_scalarIT0_EES1_PKS1_PKT1_SA_S7_PKT3_PKT4_S5_PT5_21rocsparse_index_base_b, .Lfunc_end17-_ZN9rocsparseL20bsrxmvn_17_32_kernelILj18EdiidddEEvT2_20rocsparse_direction_NS_24const_host_device_scalarIT0_EES1_PKS1_PKT1_SA_S7_PKT3_PKT4_S5_PT5_21rocsparse_index_base_b
                                        ; -- End function
	.set _ZN9rocsparseL20bsrxmvn_17_32_kernelILj18EdiidddEEvT2_20rocsparse_direction_NS_24const_host_device_scalarIT0_EES1_PKS1_PKT1_SA_S7_PKT3_PKT4_S5_PT5_21rocsparse_index_base_b.num_vgpr, 18
	.set _ZN9rocsparseL20bsrxmvn_17_32_kernelILj18EdiidddEEvT2_20rocsparse_direction_NS_24const_host_device_scalarIT0_EES1_PKS1_PKT1_SA_S7_PKT3_PKT4_S5_PT5_21rocsparse_index_base_b.num_agpr, 0
	.set _ZN9rocsparseL20bsrxmvn_17_32_kernelILj18EdiidddEEvT2_20rocsparse_direction_NS_24const_host_device_scalarIT0_EES1_PKS1_PKT1_SA_S7_PKT3_PKT4_S5_PT5_21rocsparse_index_base_b.numbered_sgpr, 18
	.set _ZN9rocsparseL20bsrxmvn_17_32_kernelILj18EdiidddEEvT2_20rocsparse_direction_NS_24const_host_device_scalarIT0_EES1_PKS1_PKT1_SA_S7_PKT3_PKT4_S5_PT5_21rocsparse_index_base_b.num_named_barrier, 0
	.set _ZN9rocsparseL20bsrxmvn_17_32_kernelILj18EdiidddEEvT2_20rocsparse_direction_NS_24const_host_device_scalarIT0_EES1_PKS1_PKT1_SA_S7_PKT3_PKT4_S5_PT5_21rocsparse_index_base_b.private_seg_size, 0
	.set _ZN9rocsparseL20bsrxmvn_17_32_kernelILj18EdiidddEEvT2_20rocsparse_direction_NS_24const_host_device_scalarIT0_EES1_PKS1_PKT1_SA_S7_PKT3_PKT4_S5_PT5_21rocsparse_index_base_b.uses_vcc, 1
	.set _ZN9rocsparseL20bsrxmvn_17_32_kernelILj18EdiidddEEvT2_20rocsparse_direction_NS_24const_host_device_scalarIT0_EES1_PKS1_PKT1_SA_S7_PKT3_PKT4_S5_PT5_21rocsparse_index_base_b.uses_flat_scratch, 0
	.set _ZN9rocsparseL20bsrxmvn_17_32_kernelILj18EdiidddEEvT2_20rocsparse_direction_NS_24const_host_device_scalarIT0_EES1_PKS1_PKT1_SA_S7_PKT3_PKT4_S5_PT5_21rocsparse_index_base_b.has_dyn_sized_stack, 0
	.set _ZN9rocsparseL20bsrxmvn_17_32_kernelILj18EdiidddEEvT2_20rocsparse_direction_NS_24const_host_device_scalarIT0_EES1_PKS1_PKT1_SA_S7_PKT3_PKT4_S5_PT5_21rocsparse_index_base_b.has_recursion, 0
	.set _ZN9rocsparseL20bsrxmvn_17_32_kernelILj18EdiidddEEvT2_20rocsparse_direction_NS_24const_host_device_scalarIT0_EES1_PKS1_PKT1_SA_S7_PKT3_PKT4_S5_PT5_21rocsparse_index_base_b.has_indirect_call, 0
	.section	.AMDGPU.csdata,"",@progbits
; Kernel info:
; codeLenInByte = 1332
; TotalNumSgprs: 22
; NumVgprs: 18
; ScratchSize: 0
; MemoryBound: 0
; FloatMode: 240
; IeeeMode: 1
; LDSByteSize: 2592 bytes/workgroup (compile time only)
; SGPRBlocks: 8
; VGPRBlocks: 6
; NumSGPRsForWavesPerEU: 65
; NumVGPRsForWavesPerEU: 25
; Occupancy: 9
; WaveLimiterHint : 1
; COMPUTE_PGM_RSRC2:SCRATCH_EN: 0
; COMPUTE_PGM_RSRC2:USER_SGPR: 6
; COMPUTE_PGM_RSRC2:TRAP_HANDLER: 0
; COMPUTE_PGM_RSRC2:TGID_X_EN: 1
; COMPUTE_PGM_RSRC2:TGID_Y_EN: 0
; COMPUTE_PGM_RSRC2:TGID_Z_EN: 0
; COMPUTE_PGM_RSRC2:TIDIG_COMP_CNT: 0
	.section	.text._ZN9rocsparseL20bsrxmvn_17_32_kernelILj19EdiidddEEvT2_20rocsparse_direction_NS_24const_host_device_scalarIT0_EES1_PKS1_PKT1_SA_S7_PKT3_PKT4_S5_PT5_21rocsparse_index_base_b,"axG",@progbits,_ZN9rocsparseL20bsrxmvn_17_32_kernelILj19EdiidddEEvT2_20rocsparse_direction_NS_24const_host_device_scalarIT0_EES1_PKS1_PKT1_SA_S7_PKT3_PKT4_S5_PT5_21rocsparse_index_base_b,comdat
	.globl	_ZN9rocsparseL20bsrxmvn_17_32_kernelILj19EdiidddEEvT2_20rocsparse_direction_NS_24const_host_device_scalarIT0_EES1_PKS1_PKT1_SA_S7_PKT3_PKT4_S5_PT5_21rocsparse_index_base_b ; -- Begin function _ZN9rocsparseL20bsrxmvn_17_32_kernelILj19EdiidddEEvT2_20rocsparse_direction_NS_24const_host_device_scalarIT0_EES1_PKS1_PKT1_SA_S7_PKT3_PKT4_S5_PT5_21rocsparse_index_base_b
	.p2align	8
	.type	_ZN9rocsparseL20bsrxmvn_17_32_kernelILj19EdiidddEEvT2_20rocsparse_direction_NS_24const_host_device_scalarIT0_EES1_PKS1_PKT1_SA_S7_PKT3_PKT4_S5_PT5_21rocsparse_index_base_b,@function
_ZN9rocsparseL20bsrxmvn_17_32_kernelILj19EdiidddEEvT2_20rocsparse_direction_NS_24const_host_device_scalarIT0_EES1_PKS1_PKT1_SA_S7_PKT3_PKT4_S5_PT5_21rocsparse_index_base_b: ; @_ZN9rocsparseL20bsrxmvn_17_32_kernelILj19EdiidddEEvT2_20rocsparse_direction_NS_24const_host_device_scalarIT0_EES1_PKS1_PKT1_SA_S7_PKT3_PKT4_S5_PT5_21rocsparse_index_base_b
; %bb.0:
	s_load_dwordx2 s[10:11], s[4:5], 0x58
	s_load_dwordx2 s[8:9], s[4:5], 0x8
	;; [unrolled: 1-line block ×3, first 2 shown]
	s_waitcnt lgkmcnt(0)
	s_bitcmp1_b32 s11, 0
	s_cselect_b64 s[12:13], -1, 0
	v_mov_b32_e32 v3, s8
	s_xor_b64 s[2:3], s[12:13], -1
	s_and_b64 vcc, exec, s[12:13]
	v_mov_b32_e32 v4, s9
	s_cbranch_vccnz .LBB18_2
; %bb.1:
	v_mov_b32_e32 v1, s8
	v_mov_b32_e32 v2, s9
	flat_load_dwordx2 v[3:4], v[1:2]
.LBB18_2:
	v_mov_b32_e32 v2, s1
	s_andn2_b64 vcc, exec, s[2:3]
	v_mov_b32_e32 v1, s0
	s_cbranch_vccnz .LBB18_4
; %bb.3:
	v_mov_b32_e32 v2, s1
	v_mov_b32_e32 v1, s0
	flat_load_dwordx2 v[1:2], v[1:2]
.LBB18_4:
	s_waitcnt vmcnt(0) lgkmcnt(0)
	v_cmp_neq_f64_e32 vcc, 0, v[3:4]
	v_cmp_neq_f64_e64 s[0:1], 1.0, v[1:2]
	s_or_b64 s[0:1], vcc, s[0:1]
	s_and_saveexec_b64 s[2:3], s[0:1]
	s_cbranch_execz .LBB18_41
; %bb.5:
	s_load_dwordx4 s[0:3], s[4:5], 0x18
	s_load_dwordx2 s[14:15], s[4:5], 0x28
	s_waitcnt lgkmcnt(0)
	s_cmp_eq_u64 s[0:1], 0
	s_cbranch_scc1 .LBB18_7
; %bb.6:
	s_ashr_i32 s7, s6, 31
	s_lshl_b64 s[6:7], s[6:7], 2
	s_add_u32 s0, s0, s6
	s_addc_u32 s1, s1, s7
	s_load_dword s0, s[0:1], 0x0
	s_waitcnt lgkmcnt(0)
	s_sub_i32 s6, s0, s10
.LBB18_7:
	s_load_dword s0, s[4:5], 0x4
	s_load_dwordx2 s[8:9], s[4:5], 0x50
	v_mul_u32_u24_e32 v7, 0xd7a, v0
	v_mov_b32_e32 v8, 19
	v_mul_lo_u16_sdwa v5, v7, v8 dst_sel:DWORD dst_unused:UNUSED_PAD src0_sel:WORD_1 src1_sel:DWORD
	s_waitcnt lgkmcnt(0)
	s_cmp_eq_u32 s0, 1
	s_cselect_b64 vcc, -1, 0
	s_cmp_lg_u32 s0, 1
	s_cselect_b64 s[12:13], -1, 0
	s_ashr_i32 s7, s6, 31
	s_lshl_b64 s[0:1], s[6:7], 2
	s_add_u32 s2, s2, s0
	s_addc_u32 s3, s3, s1
	s_load_dword s7, s[2:3], 0x0
	s_add_u32 s2, s2, 4
	s_addc_u32 s3, s3, 0
	s_add_u32 s0, s14, s0
	s_addc_u32 s1, s15, s1
	s_cmp_eq_u64 s[14:15], 0
	s_cselect_b32 s1, s3, s1
	s_cselect_b32 s0, s2, s0
	s_load_dword s11, s[0:1], 0x0
	v_sub_u16_e32 v13, v0, v5
	v_mov_b32_e32 v5, 0
	v_mov_b32_e32 v6, 0
	v_lshlrev_b32_e32 v12, 3, v0
	s_waitcnt lgkmcnt(0)
	s_cmp_ge_i32 s7, s11
	s_cbranch_scc1 .LBB18_12
; %bb.8:
	s_load_dwordx4 s[0:3], s[4:5], 0x30
	s_load_dwordx2 s[14:15], s[4:5], 0x40
	v_mov_b32_e32 v5, 14
	v_mul_lo_u16_sdwa v5, v7, v5 dst_sel:DWORD dst_unused:UNUSED_PAD src0_sel:WORD_1 src1_sel:DWORD
	s_sub_i32 s5, s7, s10
	s_sub_i32 s4, s11, s10
	v_mul_lo_u16_sdwa v5, v5, v8 dst_sel:DWORD dst_unused:UNUSED_PAD src0_sel:BYTE_1 src1_sel:DWORD
	s_mul_i32 s11, s5, 0xb48
	v_sub_u16_sdwa v5, v7, v5 dst_sel:DWORD dst_unused:UNUSED_PAD src0_sel:WORD_1 src1_sel:DWORD
	s_mul_hi_i32 s7, s5, 0xb48
	s_waitcnt lgkmcnt(0)
	s_add_u32 s2, s2, s11
	v_and_b32_e32 v5, 0xff, v5
	s_addc_u32 s3, s3, s7
	v_cndmask_b32_e32 v7, v13, v5, vcc
	v_mov_b32_e32 v5, s3
	v_add_co_u32_e32 v8, vcc, s2, v12
	v_addc_co_u32_e32 v9, vcc, 0, v5, vcc
	s_movk_i32 s2, 0xb6
	v_mov_b32_e32 v5, 0
	v_mov_b32_e32 v6, 0
	v_mul_u32_u24_sdwa v14, v0, s2 dst_sel:DWORD dst_unused:UNUSED_PAD src0_sel:WORD_0 src1_sel:DWORD
	s_branch .LBB18_10
.LBB18_9:                               ;   in Loop: Header=BB18_10 Depth=1
	s_or_b64 exec, exec, s[2:3]
	s_add_i32 s5, s5, 1
	s_cmp_lt_i32 s5, s4
	s_cbranch_scc0 .LBB18_12
.LBB18_10:                              ; =>This Inner Loop Header: Depth=1
	v_add_u32_sdwa v10, v14, s5 dst_sel:DWORD dst_unused:UNUSED_PAD src0_sel:WORD_1 src1_sel:DWORD
	v_cmp_gt_i32_e32 vcc, s4, v10
	s_and_saveexec_b64 s[2:3], vcc
	s_cbranch_execz .LBB18_9
; %bb.11:                               ;   in Loop: Header=BB18_10 Depth=1
	v_ashrrev_i32_e32 v11, 31, v10
	v_lshlrev_b64 v[10:11], 2, v[10:11]
	v_mov_b32_e32 v15, s1
	v_add_co_u32_e32 v10, vcc, s0, v10
	v_addc_co_u32_e32 v11, vcc, v15, v11, vcc
	global_load_dword v10, v[10:11], off
	v_mov_b32_e32 v17, s15
	global_load_dwordx2 v[15:16], v[8:9], off
	s_waitcnt vmcnt(1)
	v_subrev_u32_e32 v10, s10, v10
	v_mad_u64_u32 v[10:11], s[16:17], v10, 19, v[7:8]
	v_ashrrev_i32_e32 v11, 31, v10
	v_lshlrev_b64 v[10:11], 3, v[10:11]
	v_add_co_u32_e32 v10, vcc, s14, v10
	v_addc_co_u32_e32 v11, vcc, v17, v11, vcc
	global_load_dwordx2 v[10:11], v[10:11], off
	v_add_co_u32_e32 v8, vcc, 0xb48, v8
	v_addc_co_u32_e32 v9, vcc, 0, v9, vcc
	s_waitcnt vmcnt(0)
	v_fma_f64 v[5:6], v[15:16], v[10:11], v[5:6]
	s_branch .LBB18_9
.LBB18_12:
	s_and_b64 vcc, exec, s[12:13]
	ds_write_b64 v12, v[5:6]
	s_waitcnt lgkmcnt(0)
	s_barrier
	s_cbranch_vccz .LBB18_24
; %bb.13:
	v_cmp_gt_u16_e32 vcc, 3, v13
	s_and_saveexec_b64 s[0:1], vcc
	s_cbranch_execz .LBB18_15
; %bb.14:
	ds_read2_b64 v[7:10], v12 offset1:16
	s_waitcnt lgkmcnt(0)
	v_add_f64 v[7:8], v[9:10], v[7:8]
	ds_write_b64 v12, v[7:8]
.LBB18_15:
	s_or_b64 exec, exec, s[0:1]
	v_cmp_gt_u16_e32 vcc, 8, v13
	s_waitcnt lgkmcnt(0)
	s_barrier
	s_and_saveexec_b64 s[0:1], vcc
	s_cbranch_execz .LBB18_17
; %bb.16:
	ds_read2_b64 v[7:10], v12 offset1:8
	s_waitcnt lgkmcnt(0)
	v_add_f64 v[7:8], v[9:10], v[7:8]
	ds_write_b64 v12, v[7:8]
.LBB18_17:
	s_or_b64 exec, exec, s[0:1]
	v_cmp_gt_u16_e32 vcc, 4, v13
	s_waitcnt lgkmcnt(0)
	s_barrier
	;; [unrolled: 12-line block ×3, first 2 shown]
	s_and_saveexec_b64 s[0:1], vcc
	s_cbranch_execz .LBB18_21
; %bb.20:
	ds_read2_b64 v[7:10], v12 offset1:2
	s_waitcnt lgkmcnt(0)
	v_add_f64 v[7:8], v[9:10], v[7:8]
	ds_write_b64 v12, v[7:8]
.LBB18_21:
	s_or_b64 exec, exec, s[0:1]
	v_mov_b32_e32 v8, v6
	v_cmp_gt_u32_e32 vcc, 19, v0
	v_mov_b32_e32 v7, v5
	s_waitcnt lgkmcnt(0)
	s_barrier
	s_and_saveexec_b64 s[0:1], vcc
	s_cbranch_execz .LBB18_23
; %bb.22:
	s_movk_i32 s2, 0x90
	v_mad_u32_u24 v7, v0, s2, v12
	ds_read2_b64 v[7:10], v7 offset1:1
	s_waitcnt lgkmcnt(0)
	v_add_f64 v[7:8], v[7:8], v[9:10]
.LBB18_23:
	s_or_b64 exec, exec, s[0:1]
	s_branch .LBB18_36
.LBB18_24:
                                        ; implicit-def: $vgpr7_vgpr8
	s_cbranch_execz .LBB18_36
; %bb.25:
	v_cmp_gt_u32_e32 vcc, 57, v0
	s_and_saveexec_b64 s[0:1], vcc
	s_cbranch_execz .LBB18_27
; %bb.26:
	ds_read_b64 v[7:8], v12 offset:2432
	ds_read_b64 v[9:10], v12
	s_waitcnt lgkmcnt(0)
	v_add_f64 v[7:8], v[7:8], v[9:10]
	ds_write_b64 v12, v[7:8]
.LBB18_27:
	s_or_b64 exec, exec, s[0:1]
	s_movk_i32 s0, 0x98
	v_cmp_gt_u32_e32 vcc, s0, v0
	s_waitcnt lgkmcnt(0)
	s_barrier
	s_and_saveexec_b64 s[0:1], vcc
	s_cbranch_execz .LBB18_29
; %bb.28:
	ds_read2_b64 v[7:10], v12 offset1:152
	s_waitcnt lgkmcnt(0)
	v_add_f64 v[7:8], v[9:10], v[7:8]
	ds_write_b64 v12, v[7:8]
.LBB18_29:
	s_or_b64 exec, exec, s[0:1]
	s_movk_i32 s0, 0x4c
	v_cmp_gt_u32_e32 vcc, s0, v0
	s_waitcnt lgkmcnt(0)
	s_barrier
	s_and_saveexec_b64 s[0:1], vcc
	s_cbranch_execz .LBB18_31
; %bb.30:
	ds_read2_b64 v[7:10], v12 offset1:76
	s_waitcnt lgkmcnt(0)
	v_add_f64 v[7:8], v[9:10], v[7:8]
	ds_write_b64 v12, v[7:8]
.LBB18_31:
	s_or_b64 exec, exec, s[0:1]
	v_cmp_gt_u32_e32 vcc, 38, v0
	s_waitcnt lgkmcnt(0)
	s_barrier
	s_and_saveexec_b64 s[0:1], vcc
	s_cbranch_execz .LBB18_33
; %bb.32:
	ds_read2_b64 v[7:10], v12 offset1:38
	s_waitcnt lgkmcnt(0)
	v_add_f64 v[7:8], v[9:10], v[7:8]
	ds_write_b64 v12, v[7:8]
.LBB18_33:
	s_or_b64 exec, exec, s[0:1]
	v_cmp_gt_u32_e32 vcc, 19, v0
	s_waitcnt lgkmcnt(0)
	s_and_saveexec_b64 s[0:1], vcc
	s_cbranch_execz .LBB18_35
; %bb.34:
	ds_read2_b64 v[5:8], v12 offset1:19
	s_waitcnt lgkmcnt(0)
	v_add_f64 v[5:6], v[5:6], v[7:8]
.LBB18_35:
	s_or_b64 exec, exec, s[0:1]
	v_mov_b32_e32 v8, v6
	v_mov_b32_e32 v7, v5
.LBB18_36:
	v_cmp_gt_u32_e32 vcc, 19, v0
	s_and_b64 exec, exec, vcc
	s_cbranch_execz .LBB18_41
; %bb.37:
	v_cmp_eq_f64_e32 vcc, 0, v[1:2]
	v_mul_f64 v[3:4], v[3:4], v[7:8]
	s_and_saveexec_b64 s[0:1], vcc
	s_xor_b64 s[0:1], exec, s[0:1]
	s_cbranch_execz .LBB18_39
; %bb.38:
	v_mad_u64_u32 v[0:1], s[2:3], s6, 19, v[0:1]
	v_mov_b32_e32 v1, 0
	v_mov_b32_e32 v2, s9
	v_lshlrev_b64 v[0:1], 3, v[0:1]
	v_add_co_u32_e32 v0, vcc, s8, v0
	v_addc_co_u32_e32 v1, vcc, v2, v1, vcc
	global_store_dwordx2 v[0:1], v[3:4], off
                                        ; implicit-def: $vgpr0
                                        ; implicit-def: $vgpr1_vgpr2
                                        ; implicit-def: $vgpr3_vgpr4
.LBB18_39:
	s_andn2_saveexec_b64 s[0:1], s[0:1]
	s_cbranch_execz .LBB18_41
; %bb.40:
	v_mad_u64_u32 v[5:6], s[0:1], s6, 19, v[0:1]
	v_mov_b32_e32 v6, 0
	v_mov_b32_e32 v0, s9
	v_lshlrev_b64 v[5:6], 3, v[5:6]
	v_add_co_u32_e32 v5, vcc, s8, v5
	v_addc_co_u32_e32 v6, vcc, v0, v6, vcc
	global_load_dwordx2 v[7:8], v[5:6], off
	s_waitcnt vmcnt(0)
	v_fma_f64 v[0:1], v[1:2], v[7:8], v[3:4]
	global_store_dwordx2 v[5:6], v[0:1], off
.LBB18_41:
	s_endpgm
	.section	.rodata,"a",@progbits
	.p2align	6, 0x0
	.amdhsa_kernel _ZN9rocsparseL20bsrxmvn_17_32_kernelILj19EdiidddEEvT2_20rocsparse_direction_NS_24const_host_device_scalarIT0_EES1_PKS1_PKT1_SA_S7_PKT3_PKT4_S5_PT5_21rocsparse_index_base_b
		.amdhsa_group_segment_fixed_size 2888
		.amdhsa_private_segment_fixed_size 0
		.amdhsa_kernarg_size 96
		.amdhsa_user_sgpr_count 6
		.amdhsa_user_sgpr_private_segment_buffer 1
		.amdhsa_user_sgpr_dispatch_ptr 0
		.amdhsa_user_sgpr_queue_ptr 0
		.amdhsa_user_sgpr_kernarg_segment_ptr 1
		.amdhsa_user_sgpr_dispatch_id 0
		.amdhsa_user_sgpr_flat_scratch_init 0
		.amdhsa_user_sgpr_private_segment_size 0
		.amdhsa_uses_dynamic_stack 0
		.amdhsa_system_sgpr_private_segment_wavefront_offset 0
		.amdhsa_system_sgpr_workgroup_id_x 1
		.amdhsa_system_sgpr_workgroup_id_y 0
		.amdhsa_system_sgpr_workgroup_id_z 0
		.amdhsa_system_sgpr_workgroup_info 0
		.amdhsa_system_vgpr_workitem_id 0
		.amdhsa_next_free_vgpr 25
		.amdhsa_next_free_sgpr 61
		.amdhsa_reserve_vcc 1
		.amdhsa_reserve_flat_scratch 0
		.amdhsa_float_round_mode_32 0
		.amdhsa_float_round_mode_16_64 0
		.amdhsa_float_denorm_mode_32 3
		.amdhsa_float_denorm_mode_16_64 3
		.amdhsa_dx10_clamp 1
		.amdhsa_ieee_mode 1
		.amdhsa_fp16_overflow 0
		.amdhsa_exception_fp_ieee_invalid_op 0
		.amdhsa_exception_fp_denorm_src 0
		.amdhsa_exception_fp_ieee_div_zero 0
		.amdhsa_exception_fp_ieee_overflow 0
		.amdhsa_exception_fp_ieee_underflow 0
		.amdhsa_exception_fp_ieee_inexact 0
		.amdhsa_exception_int_div_zero 0
	.end_amdhsa_kernel
	.section	.text._ZN9rocsparseL20bsrxmvn_17_32_kernelILj19EdiidddEEvT2_20rocsparse_direction_NS_24const_host_device_scalarIT0_EES1_PKS1_PKT1_SA_S7_PKT3_PKT4_S5_PT5_21rocsparse_index_base_b,"axG",@progbits,_ZN9rocsparseL20bsrxmvn_17_32_kernelILj19EdiidddEEvT2_20rocsparse_direction_NS_24const_host_device_scalarIT0_EES1_PKS1_PKT1_SA_S7_PKT3_PKT4_S5_PT5_21rocsparse_index_base_b,comdat
.Lfunc_end18:
	.size	_ZN9rocsparseL20bsrxmvn_17_32_kernelILj19EdiidddEEvT2_20rocsparse_direction_NS_24const_host_device_scalarIT0_EES1_PKS1_PKT1_SA_S7_PKT3_PKT4_S5_PT5_21rocsparse_index_base_b, .Lfunc_end18-_ZN9rocsparseL20bsrxmvn_17_32_kernelILj19EdiidddEEvT2_20rocsparse_direction_NS_24const_host_device_scalarIT0_EES1_PKS1_PKT1_SA_S7_PKT3_PKT4_S5_PT5_21rocsparse_index_base_b
                                        ; -- End function
	.set _ZN9rocsparseL20bsrxmvn_17_32_kernelILj19EdiidddEEvT2_20rocsparse_direction_NS_24const_host_device_scalarIT0_EES1_PKS1_PKT1_SA_S7_PKT3_PKT4_S5_PT5_21rocsparse_index_base_b.num_vgpr, 18
	.set _ZN9rocsparseL20bsrxmvn_17_32_kernelILj19EdiidddEEvT2_20rocsparse_direction_NS_24const_host_device_scalarIT0_EES1_PKS1_PKT1_SA_S7_PKT3_PKT4_S5_PT5_21rocsparse_index_base_b.num_agpr, 0
	.set _ZN9rocsparseL20bsrxmvn_17_32_kernelILj19EdiidddEEvT2_20rocsparse_direction_NS_24const_host_device_scalarIT0_EES1_PKS1_PKT1_SA_S7_PKT3_PKT4_S5_PT5_21rocsparse_index_base_b.numbered_sgpr, 18
	.set _ZN9rocsparseL20bsrxmvn_17_32_kernelILj19EdiidddEEvT2_20rocsparse_direction_NS_24const_host_device_scalarIT0_EES1_PKS1_PKT1_SA_S7_PKT3_PKT4_S5_PT5_21rocsparse_index_base_b.num_named_barrier, 0
	.set _ZN9rocsparseL20bsrxmvn_17_32_kernelILj19EdiidddEEvT2_20rocsparse_direction_NS_24const_host_device_scalarIT0_EES1_PKS1_PKT1_SA_S7_PKT3_PKT4_S5_PT5_21rocsparse_index_base_b.private_seg_size, 0
	.set _ZN9rocsparseL20bsrxmvn_17_32_kernelILj19EdiidddEEvT2_20rocsparse_direction_NS_24const_host_device_scalarIT0_EES1_PKS1_PKT1_SA_S7_PKT3_PKT4_S5_PT5_21rocsparse_index_base_b.uses_vcc, 1
	.set _ZN9rocsparseL20bsrxmvn_17_32_kernelILj19EdiidddEEvT2_20rocsparse_direction_NS_24const_host_device_scalarIT0_EES1_PKS1_PKT1_SA_S7_PKT3_PKT4_S5_PT5_21rocsparse_index_base_b.uses_flat_scratch, 0
	.set _ZN9rocsparseL20bsrxmvn_17_32_kernelILj19EdiidddEEvT2_20rocsparse_direction_NS_24const_host_device_scalarIT0_EES1_PKS1_PKT1_SA_S7_PKT3_PKT4_S5_PT5_21rocsparse_index_base_b.has_dyn_sized_stack, 0
	.set _ZN9rocsparseL20bsrxmvn_17_32_kernelILj19EdiidddEEvT2_20rocsparse_direction_NS_24const_host_device_scalarIT0_EES1_PKS1_PKT1_SA_S7_PKT3_PKT4_S5_PT5_21rocsparse_index_base_b.has_recursion, 0
	.set _ZN9rocsparseL20bsrxmvn_17_32_kernelILj19EdiidddEEvT2_20rocsparse_direction_NS_24const_host_device_scalarIT0_EES1_PKS1_PKT1_SA_S7_PKT3_PKT4_S5_PT5_21rocsparse_index_base_b.has_indirect_call, 0
	.section	.AMDGPU.csdata,"",@progbits
; Kernel info:
; codeLenInByte = 1324
; TotalNumSgprs: 22
; NumVgprs: 18
; ScratchSize: 0
; MemoryBound: 0
; FloatMode: 240
; IeeeMode: 1
; LDSByteSize: 2888 bytes/workgroup (compile time only)
; SGPRBlocks: 8
; VGPRBlocks: 6
; NumSGPRsForWavesPerEU: 65
; NumVGPRsForWavesPerEU: 25
; Occupancy: 9
; WaveLimiterHint : 1
; COMPUTE_PGM_RSRC2:SCRATCH_EN: 0
; COMPUTE_PGM_RSRC2:USER_SGPR: 6
; COMPUTE_PGM_RSRC2:TRAP_HANDLER: 0
; COMPUTE_PGM_RSRC2:TGID_X_EN: 1
; COMPUTE_PGM_RSRC2:TGID_Y_EN: 0
; COMPUTE_PGM_RSRC2:TGID_Z_EN: 0
; COMPUTE_PGM_RSRC2:TIDIG_COMP_CNT: 0
	.section	.text._ZN9rocsparseL20bsrxmvn_17_32_kernelILj20EdiidddEEvT2_20rocsparse_direction_NS_24const_host_device_scalarIT0_EES1_PKS1_PKT1_SA_S7_PKT3_PKT4_S5_PT5_21rocsparse_index_base_b,"axG",@progbits,_ZN9rocsparseL20bsrxmvn_17_32_kernelILj20EdiidddEEvT2_20rocsparse_direction_NS_24const_host_device_scalarIT0_EES1_PKS1_PKT1_SA_S7_PKT3_PKT4_S5_PT5_21rocsparse_index_base_b,comdat
	.globl	_ZN9rocsparseL20bsrxmvn_17_32_kernelILj20EdiidddEEvT2_20rocsparse_direction_NS_24const_host_device_scalarIT0_EES1_PKS1_PKT1_SA_S7_PKT3_PKT4_S5_PT5_21rocsparse_index_base_b ; -- Begin function _ZN9rocsparseL20bsrxmvn_17_32_kernelILj20EdiidddEEvT2_20rocsparse_direction_NS_24const_host_device_scalarIT0_EES1_PKS1_PKT1_SA_S7_PKT3_PKT4_S5_PT5_21rocsparse_index_base_b
	.p2align	8
	.type	_ZN9rocsparseL20bsrxmvn_17_32_kernelILj20EdiidddEEvT2_20rocsparse_direction_NS_24const_host_device_scalarIT0_EES1_PKS1_PKT1_SA_S7_PKT3_PKT4_S5_PT5_21rocsparse_index_base_b,@function
_ZN9rocsparseL20bsrxmvn_17_32_kernelILj20EdiidddEEvT2_20rocsparse_direction_NS_24const_host_device_scalarIT0_EES1_PKS1_PKT1_SA_S7_PKT3_PKT4_S5_PT5_21rocsparse_index_base_b: ; @_ZN9rocsparseL20bsrxmvn_17_32_kernelILj20EdiidddEEvT2_20rocsparse_direction_NS_24const_host_device_scalarIT0_EES1_PKS1_PKT1_SA_S7_PKT3_PKT4_S5_PT5_21rocsparse_index_base_b
; %bb.0:
	s_load_dwordx2 s[10:11], s[4:5], 0x58
	s_load_dwordx2 s[8:9], s[4:5], 0x8
	;; [unrolled: 1-line block ×3, first 2 shown]
	s_waitcnt lgkmcnt(0)
	s_bitcmp1_b32 s11, 0
	s_cselect_b64 s[12:13], -1, 0
	v_mov_b32_e32 v3, s8
	s_xor_b64 s[2:3], s[12:13], -1
	s_and_b64 vcc, exec, s[12:13]
	v_mov_b32_e32 v4, s9
	s_cbranch_vccnz .LBB19_2
; %bb.1:
	v_mov_b32_e32 v1, s8
	v_mov_b32_e32 v2, s9
	flat_load_dwordx2 v[3:4], v[1:2]
.LBB19_2:
	v_mov_b32_e32 v2, s1
	s_andn2_b64 vcc, exec, s[2:3]
	v_mov_b32_e32 v1, s0
	s_cbranch_vccnz .LBB19_4
; %bb.3:
	v_mov_b32_e32 v2, s1
	v_mov_b32_e32 v1, s0
	flat_load_dwordx2 v[1:2], v[1:2]
.LBB19_4:
	s_waitcnt vmcnt(0) lgkmcnt(0)
	v_cmp_neq_f64_e32 vcc, 0, v[3:4]
	v_cmp_neq_f64_e64 s[0:1], 1.0, v[1:2]
	s_or_b64 s[0:1], vcc, s[0:1]
	s_and_saveexec_b64 s[2:3], s[0:1]
	s_cbranch_execz .LBB19_41
; %bb.5:
	s_load_dwordx4 s[0:3], s[4:5], 0x18
	s_load_dwordx2 s[14:15], s[4:5], 0x28
	s_waitcnt lgkmcnt(0)
	s_cmp_eq_u64 s[0:1], 0
	s_cbranch_scc1 .LBB19_7
; %bb.6:
	s_ashr_i32 s7, s6, 31
	s_lshl_b64 s[6:7], s[6:7], 2
	s_add_u32 s0, s0, s6
	s_addc_u32 s1, s1, s7
	s_load_dword s0, s[0:1], 0x0
	s_waitcnt lgkmcnt(0)
	s_sub_i32 s6, s0, s10
.LBB19_7:
	s_load_dword s0, s[4:5], 0x4
	s_load_dwordx2 s[8:9], s[4:5], 0x50
	v_mul_u32_u24_e32 v7, 0xccd, v0
	v_mov_b32_e32 v8, 20
	v_mul_lo_u16_sdwa v5, v7, v8 dst_sel:DWORD dst_unused:UNUSED_PAD src0_sel:WORD_1 src1_sel:DWORD
	s_waitcnt lgkmcnt(0)
	s_cmp_eq_u32 s0, 1
	s_cselect_b64 vcc, -1, 0
	s_cmp_lg_u32 s0, 1
	s_cselect_b64 s[12:13], -1, 0
	s_ashr_i32 s7, s6, 31
	s_lshl_b64 s[0:1], s[6:7], 2
	s_add_u32 s2, s2, s0
	s_addc_u32 s3, s3, s1
	s_load_dword s7, s[2:3], 0x0
	s_add_u32 s2, s2, 4
	s_addc_u32 s3, s3, 0
	s_add_u32 s0, s14, s0
	s_addc_u32 s1, s15, s1
	s_cmp_eq_u64 s[14:15], 0
	s_cselect_b32 s1, s3, s1
	s_cselect_b32 s0, s2, s0
	s_load_dword s11, s[0:1], 0x0
	v_sub_u16_e32 v13, v0, v5
	v_mov_b32_e32 v5, 0
	v_mov_b32_e32 v6, 0
	v_lshlrev_b32_e32 v12, 3, v0
	s_waitcnt lgkmcnt(0)
	s_cmp_ge_i32 s7, s11
	s_cbranch_scc1 .LBB19_12
; %bb.8:
	s_load_dwordx4 s[0:3], s[4:5], 0x30
	s_load_dwordx2 s[14:15], s[4:5], 0x40
	v_mov_b32_e32 v5, 13
	v_mul_lo_u16_sdwa v5, v7, v5 dst_sel:DWORD dst_unused:UNUSED_PAD src0_sel:WORD_1 src1_sel:DWORD
	s_sub_i32 s5, s7, s10
	s_sub_i32 s4, s11, s10
	v_mul_lo_u16_sdwa v5, v5, v8 dst_sel:DWORD dst_unused:UNUSED_PAD src0_sel:BYTE_1 src1_sel:DWORD
	s_mul_i32 s11, s5, 0xc80
	v_sub_u16_sdwa v5, v7, v5 dst_sel:DWORD dst_unused:UNUSED_PAD src0_sel:WORD_1 src1_sel:DWORD
	s_mul_hi_i32 s7, s5, 0xc80
	s_waitcnt lgkmcnt(0)
	s_add_u32 s2, s2, s11
	v_and_b32_e32 v5, 0xff, v5
	s_addc_u32 s3, s3, s7
	v_cndmask_b32_e32 v7, v13, v5, vcc
	v_mov_b32_e32 v5, s3
	v_add_co_u32_e32 v8, vcc, s2, v12
	v_addc_co_u32_e32 v9, vcc, 0, v5, vcc
	s_movk_i32 s2, 0xa4
	v_mov_b32_e32 v5, 0
	v_mov_b32_e32 v6, 0
	v_mul_u32_u24_sdwa v14, v0, s2 dst_sel:DWORD dst_unused:UNUSED_PAD src0_sel:WORD_0 src1_sel:DWORD
	s_branch .LBB19_10
.LBB19_9:                               ;   in Loop: Header=BB19_10 Depth=1
	s_or_b64 exec, exec, s[2:3]
	s_add_i32 s5, s5, 1
	s_cmp_lt_i32 s5, s4
	s_cbranch_scc0 .LBB19_12
.LBB19_10:                              ; =>This Inner Loop Header: Depth=1
	v_add_u32_sdwa v10, v14, s5 dst_sel:DWORD dst_unused:UNUSED_PAD src0_sel:WORD_1 src1_sel:DWORD
	v_cmp_gt_i32_e32 vcc, s4, v10
	s_and_saveexec_b64 s[2:3], vcc
	s_cbranch_execz .LBB19_9
; %bb.11:                               ;   in Loop: Header=BB19_10 Depth=1
	v_ashrrev_i32_e32 v11, 31, v10
	v_lshlrev_b64 v[10:11], 2, v[10:11]
	v_mov_b32_e32 v15, s1
	v_add_co_u32_e32 v10, vcc, s0, v10
	v_addc_co_u32_e32 v11, vcc, v15, v11, vcc
	global_load_dword v10, v[10:11], off
	v_mov_b32_e32 v17, s15
	global_load_dwordx2 v[15:16], v[8:9], off
	s_waitcnt vmcnt(1)
	v_subrev_u32_e32 v10, s10, v10
	v_mad_u64_u32 v[10:11], s[16:17], v10, 20, v[7:8]
	v_ashrrev_i32_e32 v11, 31, v10
	v_lshlrev_b64 v[10:11], 3, v[10:11]
	v_add_co_u32_e32 v10, vcc, s14, v10
	v_addc_co_u32_e32 v11, vcc, v17, v11, vcc
	global_load_dwordx2 v[10:11], v[10:11], off
	v_add_co_u32_e32 v8, vcc, 0xc80, v8
	v_addc_co_u32_e32 v9, vcc, 0, v9, vcc
	s_waitcnt vmcnt(0)
	v_fma_f64 v[5:6], v[15:16], v[10:11], v[5:6]
	s_branch .LBB19_9
.LBB19_12:
	s_and_b64 vcc, exec, s[12:13]
	ds_write_b64 v12, v[5:6]
	s_waitcnt lgkmcnt(0)
	s_barrier
	s_cbranch_vccz .LBB19_24
; %bb.13:
	v_cmp_gt_u16_e32 vcc, 4, v13
	s_and_saveexec_b64 s[0:1], vcc
	s_cbranch_execz .LBB19_15
; %bb.14:
	ds_read2_b64 v[7:10], v12 offset1:16
	s_waitcnt lgkmcnt(0)
	v_add_f64 v[7:8], v[9:10], v[7:8]
	ds_write_b64 v12, v[7:8]
.LBB19_15:
	s_or_b64 exec, exec, s[0:1]
	v_cmp_gt_u16_e64 s[0:1], 8, v13
	s_waitcnt lgkmcnt(0)
	s_barrier
	s_and_saveexec_b64 s[2:3], s[0:1]
	s_cbranch_execz .LBB19_17
; %bb.16:
	ds_read2_b64 v[7:10], v12 offset1:8
	s_waitcnt lgkmcnt(0)
	v_add_f64 v[7:8], v[9:10], v[7:8]
	ds_write_b64 v12, v[7:8]
.LBB19_17:
	s_or_b64 exec, exec, s[2:3]
	s_waitcnt lgkmcnt(0)
	s_barrier
	s_and_saveexec_b64 s[0:1], vcc
	s_cbranch_execz .LBB19_19
; %bb.18:
	ds_read2_b64 v[7:10], v12 offset1:4
	s_waitcnt lgkmcnt(0)
	v_add_f64 v[7:8], v[9:10], v[7:8]
	ds_write_b64 v12, v[7:8]
.LBB19_19:
	s_or_b64 exec, exec, s[0:1]
	v_cmp_gt_u16_e32 vcc, 2, v13
	s_waitcnt lgkmcnt(0)
	s_barrier
	s_and_saveexec_b64 s[0:1], vcc
	s_cbranch_execz .LBB19_21
; %bb.20:
	ds_read2_b64 v[7:10], v12 offset1:2
	s_waitcnt lgkmcnt(0)
	v_add_f64 v[7:8], v[9:10], v[7:8]
	ds_write_b64 v12, v[7:8]
.LBB19_21:
	s_or_b64 exec, exec, s[0:1]
	v_mov_b32_e32 v8, v6
	v_cmp_gt_u32_e32 vcc, 20, v0
	v_mov_b32_e32 v7, v5
	s_waitcnt lgkmcnt(0)
	s_barrier
	s_and_saveexec_b64 s[0:1], vcc
	s_cbranch_execz .LBB19_23
; %bb.22:
	s_movk_i32 s2, 0x98
	v_mad_u32_u24 v7, v0, s2, v12
	ds_read_b128 v[7:10], v7
	s_waitcnt lgkmcnt(0)
	v_add_f64 v[7:8], v[7:8], v[9:10]
.LBB19_23:
	s_or_b64 exec, exec, s[0:1]
	s_branch .LBB19_36
.LBB19_24:
                                        ; implicit-def: $vgpr7_vgpr8
	s_cbranch_execz .LBB19_36
; %bb.25:
	s_movk_i32 s0, 0x50
	v_cmp_gt_u32_e32 vcc, s0, v0
	s_and_saveexec_b64 s[0:1], vcc
	s_cbranch_execz .LBB19_27
; %bb.26:
	ds_read2st64_b64 v[7:10], v12 offset1:5
	s_waitcnt lgkmcnt(0)
	v_add_f64 v[7:8], v[9:10], v[7:8]
	ds_write_b64 v12, v[7:8]
.LBB19_27:
	s_or_b64 exec, exec, s[0:1]
	s_movk_i32 s0, 0xa0
	v_cmp_gt_u32_e64 s[0:1], s0, v0
	s_waitcnt lgkmcnt(0)
	s_barrier
	s_and_saveexec_b64 s[2:3], s[0:1]
	s_cbranch_execz .LBB19_29
; %bb.28:
	ds_read2_b64 v[7:10], v12 offset1:160
	s_waitcnt lgkmcnt(0)
	v_add_f64 v[7:8], v[9:10], v[7:8]
	ds_write_b64 v12, v[7:8]
.LBB19_29:
	s_or_b64 exec, exec, s[2:3]
	s_waitcnt lgkmcnt(0)
	s_barrier
	s_and_saveexec_b64 s[0:1], vcc
	s_cbranch_execz .LBB19_31
; %bb.30:
	ds_read2_b64 v[7:10], v12 offset1:80
	s_waitcnt lgkmcnt(0)
	v_add_f64 v[7:8], v[9:10], v[7:8]
	ds_write_b64 v12, v[7:8]
.LBB19_31:
	s_or_b64 exec, exec, s[0:1]
	v_cmp_gt_u32_e32 vcc, 40, v0
	s_waitcnt lgkmcnt(0)
	s_barrier
	s_and_saveexec_b64 s[0:1], vcc
	s_cbranch_execz .LBB19_33
; %bb.32:
	ds_read2_b64 v[7:10], v12 offset1:40
	s_waitcnt lgkmcnt(0)
	v_add_f64 v[7:8], v[9:10], v[7:8]
	ds_write_b64 v12, v[7:8]
.LBB19_33:
	s_or_b64 exec, exec, s[0:1]
	v_cmp_gt_u32_e32 vcc, 20, v0
	s_waitcnt lgkmcnt(0)
	s_and_saveexec_b64 s[0:1], vcc
	s_cbranch_execz .LBB19_35
; %bb.34:
	ds_read2_b64 v[5:8], v12 offset1:20
	s_waitcnt lgkmcnt(0)
	v_add_f64 v[5:6], v[5:6], v[7:8]
.LBB19_35:
	s_or_b64 exec, exec, s[0:1]
	v_mov_b32_e32 v8, v6
	v_mov_b32_e32 v7, v5
.LBB19_36:
	v_cmp_gt_u32_e32 vcc, 20, v0
	s_and_b64 exec, exec, vcc
	s_cbranch_execz .LBB19_41
; %bb.37:
	v_cmp_eq_f64_e32 vcc, 0, v[1:2]
	v_mul_f64 v[3:4], v[3:4], v[7:8]
	s_and_saveexec_b64 s[0:1], vcc
	s_xor_b64 s[0:1], exec, s[0:1]
	s_cbranch_execz .LBB19_39
; %bb.38:
	v_mad_u64_u32 v[0:1], s[2:3], s6, 20, v[0:1]
	v_mov_b32_e32 v1, 0
	v_mov_b32_e32 v2, s9
	v_lshlrev_b64 v[0:1], 3, v[0:1]
	v_add_co_u32_e32 v0, vcc, s8, v0
	v_addc_co_u32_e32 v1, vcc, v2, v1, vcc
	global_store_dwordx2 v[0:1], v[3:4], off
                                        ; implicit-def: $vgpr0
                                        ; implicit-def: $vgpr1_vgpr2
                                        ; implicit-def: $vgpr3_vgpr4
.LBB19_39:
	s_andn2_saveexec_b64 s[0:1], s[0:1]
	s_cbranch_execz .LBB19_41
; %bb.40:
	v_mad_u64_u32 v[5:6], s[0:1], s6, 20, v[0:1]
	v_mov_b32_e32 v6, 0
	v_mov_b32_e32 v0, s9
	v_lshlrev_b64 v[5:6], 3, v[5:6]
	v_add_co_u32_e32 v5, vcc, s8, v5
	v_addc_co_u32_e32 v6, vcc, v0, v6, vcc
	global_load_dwordx2 v[7:8], v[5:6], off
	s_waitcnt vmcnt(0)
	v_fma_f64 v[0:1], v[1:2], v[7:8], v[3:4]
	global_store_dwordx2 v[5:6], v[0:1], off
.LBB19_41:
	s_endpgm
	.section	.rodata,"a",@progbits
	.p2align	6, 0x0
	.amdhsa_kernel _ZN9rocsparseL20bsrxmvn_17_32_kernelILj20EdiidddEEvT2_20rocsparse_direction_NS_24const_host_device_scalarIT0_EES1_PKS1_PKT1_SA_S7_PKT3_PKT4_S5_PT5_21rocsparse_index_base_b
		.amdhsa_group_segment_fixed_size 3200
		.amdhsa_private_segment_fixed_size 0
		.amdhsa_kernarg_size 96
		.amdhsa_user_sgpr_count 6
		.amdhsa_user_sgpr_private_segment_buffer 1
		.amdhsa_user_sgpr_dispatch_ptr 0
		.amdhsa_user_sgpr_queue_ptr 0
		.amdhsa_user_sgpr_kernarg_segment_ptr 1
		.amdhsa_user_sgpr_dispatch_id 0
		.amdhsa_user_sgpr_flat_scratch_init 0
		.amdhsa_user_sgpr_private_segment_size 0
		.amdhsa_uses_dynamic_stack 0
		.amdhsa_system_sgpr_private_segment_wavefront_offset 0
		.amdhsa_system_sgpr_workgroup_id_x 1
		.amdhsa_system_sgpr_workgroup_id_y 0
		.amdhsa_system_sgpr_workgroup_id_z 0
		.amdhsa_system_sgpr_workgroup_info 0
		.amdhsa_system_vgpr_workitem_id 0
		.amdhsa_next_free_vgpr 25
		.amdhsa_next_free_sgpr 61
		.amdhsa_reserve_vcc 1
		.amdhsa_reserve_flat_scratch 0
		.amdhsa_float_round_mode_32 0
		.amdhsa_float_round_mode_16_64 0
		.amdhsa_float_denorm_mode_32 3
		.amdhsa_float_denorm_mode_16_64 3
		.amdhsa_dx10_clamp 1
		.amdhsa_ieee_mode 1
		.amdhsa_fp16_overflow 0
		.amdhsa_exception_fp_ieee_invalid_op 0
		.amdhsa_exception_fp_denorm_src 0
		.amdhsa_exception_fp_ieee_div_zero 0
		.amdhsa_exception_fp_ieee_overflow 0
		.amdhsa_exception_fp_ieee_underflow 0
		.amdhsa_exception_fp_ieee_inexact 0
		.amdhsa_exception_int_div_zero 0
	.end_amdhsa_kernel
	.section	.text._ZN9rocsparseL20bsrxmvn_17_32_kernelILj20EdiidddEEvT2_20rocsparse_direction_NS_24const_host_device_scalarIT0_EES1_PKS1_PKT1_SA_S7_PKT3_PKT4_S5_PT5_21rocsparse_index_base_b,"axG",@progbits,_ZN9rocsparseL20bsrxmvn_17_32_kernelILj20EdiidddEEvT2_20rocsparse_direction_NS_24const_host_device_scalarIT0_EES1_PKS1_PKT1_SA_S7_PKT3_PKT4_S5_PT5_21rocsparse_index_base_b,comdat
.Lfunc_end19:
	.size	_ZN9rocsparseL20bsrxmvn_17_32_kernelILj20EdiidddEEvT2_20rocsparse_direction_NS_24const_host_device_scalarIT0_EES1_PKS1_PKT1_SA_S7_PKT3_PKT4_S5_PT5_21rocsparse_index_base_b, .Lfunc_end19-_ZN9rocsparseL20bsrxmvn_17_32_kernelILj20EdiidddEEvT2_20rocsparse_direction_NS_24const_host_device_scalarIT0_EES1_PKS1_PKT1_SA_S7_PKT3_PKT4_S5_PT5_21rocsparse_index_base_b
                                        ; -- End function
	.set _ZN9rocsparseL20bsrxmvn_17_32_kernelILj20EdiidddEEvT2_20rocsparse_direction_NS_24const_host_device_scalarIT0_EES1_PKS1_PKT1_SA_S7_PKT3_PKT4_S5_PT5_21rocsparse_index_base_b.num_vgpr, 18
	.set _ZN9rocsparseL20bsrxmvn_17_32_kernelILj20EdiidddEEvT2_20rocsparse_direction_NS_24const_host_device_scalarIT0_EES1_PKS1_PKT1_SA_S7_PKT3_PKT4_S5_PT5_21rocsparse_index_base_b.num_agpr, 0
	.set _ZN9rocsparseL20bsrxmvn_17_32_kernelILj20EdiidddEEvT2_20rocsparse_direction_NS_24const_host_device_scalarIT0_EES1_PKS1_PKT1_SA_S7_PKT3_PKT4_S5_PT5_21rocsparse_index_base_b.numbered_sgpr, 18
	.set _ZN9rocsparseL20bsrxmvn_17_32_kernelILj20EdiidddEEvT2_20rocsparse_direction_NS_24const_host_device_scalarIT0_EES1_PKS1_PKT1_SA_S7_PKT3_PKT4_S5_PT5_21rocsparse_index_base_b.num_named_barrier, 0
	.set _ZN9rocsparseL20bsrxmvn_17_32_kernelILj20EdiidddEEvT2_20rocsparse_direction_NS_24const_host_device_scalarIT0_EES1_PKS1_PKT1_SA_S7_PKT3_PKT4_S5_PT5_21rocsparse_index_base_b.private_seg_size, 0
	.set _ZN9rocsparseL20bsrxmvn_17_32_kernelILj20EdiidddEEvT2_20rocsparse_direction_NS_24const_host_device_scalarIT0_EES1_PKS1_PKT1_SA_S7_PKT3_PKT4_S5_PT5_21rocsparse_index_base_b.uses_vcc, 1
	.set _ZN9rocsparseL20bsrxmvn_17_32_kernelILj20EdiidddEEvT2_20rocsparse_direction_NS_24const_host_device_scalarIT0_EES1_PKS1_PKT1_SA_S7_PKT3_PKT4_S5_PT5_21rocsparse_index_base_b.uses_flat_scratch, 0
	.set _ZN9rocsparseL20bsrxmvn_17_32_kernelILj20EdiidddEEvT2_20rocsparse_direction_NS_24const_host_device_scalarIT0_EES1_PKS1_PKT1_SA_S7_PKT3_PKT4_S5_PT5_21rocsparse_index_base_b.has_dyn_sized_stack, 0
	.set _ZN9rocsparseL20bsrxmvn_17_32_kernelILj20EdiidddEEvT2_20rocsparse_direction_NS_24const_host_device_scalarIT0_EES1_PKS1_PKT1_SA_S7_PKT3_PKT4_S5_PT5_21rocsparse_index_base_b.has_recursion, 0
	.set _ZN9rocsparseL20bsrxmvn_17_32_kernelILj20EdiidddEEvT2_20rocsparse_direction_NS_24const_host_device_scalarIT0_EES1_PKS1_PKT1_SA_S7_PKT3_PKT4_S5_PT5_21rocsparse_index_base_b.has_indirect_call, 0
	.section	.AMDGPU.csdata,"",@progbits
; Kernel info:
; codeLenInByte = 1316
; TotalNumSgprs: 22
; NumVgprs: 18
; ScratchSize: 0
; MemoryBound: 0
; FloatMode: 240
; IeeeMode: 1
; LDSByteSize: 3200 bytes/workgroup (compile time only)
; SGPRBlocks: 8
; VGPRBlocks: 6
; NumSGPRsForWavesPerEU: 65
; NumVGPRsForWavesPerEU: 25
; Occupancy: 9
; WaveLimiterHint : 1
; COMPUTE_PGM_RSRC2:SCRATCH_EN: 0
; COMPUTE_PGM_RSRC2:USER_SGPR: 6
; COMPUTE_PGM_RSRC2:TRAP_HANDLER: 0
; COMPUTE_PGM_RSRC2:TGID_X_EN: 1
; COMPUTE_PGM_RSRC2:TGID_Y_EN: 0
; COMPUTE_PGM_RSRC2:TGID_Z_EN: 0
; COMPUTE_PGM_RSRC2:TIDIG_COMP_CNT: 0
	.section	.text._ZN9rocsparseL20bsrxmvn_17_32_kernelILj21EdiidddEEvT2_20rocsparse_direction_NS_24const_host_device_scalarIT0_EES1_PKS1_PKT1_SA_S7_PKT3_PKT4_S5_PT5_21rocsparse_index_base_b,"axG",@progbits,_ZN9rocsparseL20bsrxmvn_17_32_kernelILj21EdiidddEEvT2_20rocsparse_direction_NS_24const_host_device_scalarIT0_EES1_PKS1_PKT1_SA_S7_PKT3_PKT4_S5_PT5_21rocsparse_index_base_b,comdat
	.globl	_ZN9rocsparseL20bsrxmvn_17_32_kernelILj21EdiidddEEvT2_20rocsparse_direction_NS_24const_host_device_scalarIT0_EES1_PKS1_PKT1_SA_S7_PKT3_PKT4_S5_PT5_21rocsparse_index_base_b ; -- Begin function _ZN9rocsparseL20bsrxmvn_17_32_kernelILj21EdiidddEEvT2_20rocsparse_direction_NS_24const_host_device_scalarIT0_EES1_PKS1_PKT1_SA_S7_PKT3_PKT4_S5_PT5_21rocsparse_index_base_b
	.p2align	8
	.type	_ZN9rocsparseL20bsrxmvn_17_32_kernelILj21EdiidddEEvT2_20rocsparse_direction_NS_24const_host_device_scalarIT0_EES1_PKS1_PKT1_SA_S7_PKT3_PKT4_S5_PT5_21rocsparse_index_base_b,@function
_ZN9rocsparseL20bsrxmvn_17_32_kernelILj21EdiidddEEvT2_20rocsparse_direction_NS_24const_host_device_scalarIT0_EES1_PKS1_PKT1_SA_S7_PKT3_PKT4_S5_PT5_21rocsparse_index_base_b: ; @_ZN9rocsparseL20bsrxmvn_17_32_kernelILj21EdiidddEEvT2_20rocsparse_direction_NS_24const_host_device_scalarIT0_EES1_PKS1_PKT1_SA_S7_PKT3_PKT4_S5_PT5_21rocsparse_index_base_b
; %bb.0:
	s_load_dwordx2 s[10:11], s[4:5], 0x58
	s_load_dwordx2 s[8:9], s[4:5], 0x8
	;; [unrolled: 1-line block ×3, first 2 shown]
	s_waitcnt lgkmcnt(0)
	s_bitcmp1_b32 s11, 0
	s_cselect_b64 s[12:13], -1, 0
	v_mov_b32_e32 v3, s8
	s_xor_b64 s[2:3], s[12:13], -1
	s_and_b64 vcc, exec, s[12:13]
	v_mov_b32_e32 v4, s9
	s_cbranch_vccnz .LBB20_2
; %bb.1:
	v_mov_b32_e32 v1, s8
	v_mov_b32_e32 v2, s9
	flat_load_dwordx2 v[3:4], v[1:2]
.LBB20_2:
	v_mov_b32_e32 v2, s1
	s_andn2_b64 vcc, exec, s[2:3]
	v_mov_b32_e32 v1, s0
	s_cbranch_vccnz .LBB20_4
; %bb.3:
	v_mov_b32_e32 v2, s1
	v_mov_b32_e32 v1, s0
	flat_load_dwordx2 v[1:2], v[1:2]
.LBB20_4:
	s_waitcnt vmcnt(0) lgkmcnt(0)
	v_cmp_neq_f64_e32 vcc, 0, v[3:4]
	v_cmp_neq_f64_e64 s[0:1], 1.0, v[1:2]
	s_or_b64 s[0:1], vcc, s[0:1]
	s_and_saveexec_b64 s[2:3], s[0:1]
	s_cbranch_execz .LBB20_41
; %bb.5:
	s_load_dwordx4 s[0:3], s[4:5], 0x18
	s_load_dwordx2 s[14:15], s[4:5], 0x28
	s_waitcnt lgkmcnt(0)
	s_cmp_eq_u64 s[0:1], 0
	s_cbranch_scc1 .LBB20_7
; %bb.6:
	s_ashr_i32 s7, s6, 31
	s_lshl_b64 s[6:7], s[6:7], 2
	s_add_u32 s0, s0, s6
	s_addc_u32 s1, s1, s7
	s_load_dword s0, s[0:1], 0x0
	s_waitcnt lgkmcnt(0)
	s_sub_i32 s6, s0, s10
.LBB20_7:
	s_load_dword s0, s[4:5], 0x4
	s_load_dwordx2 s[8:9], s[4:5], 0x50
	v_mul_u32_u24_e32 v7, 0xc31, v0
	v_mov_b32_e32 v5, 21
	v_mul_lo_u16_sdwa v5, v7, v5 dst_sel:DWORD dst_unused:UNUSED_PAD src0_sel:WORD_1 src1_sel:DWORD
	s_waitcnt lgkmcnt(0)
	s_cmp_eq_u32 s0, 1
	s_cselect_b64 vcc, -1, 0
	s_cmp_lg_u32 s0, 1
	s_cselect_b64 s[12:13], -1, 0
	s_ashr_i32 s7, s6, 31
	s_lshl_b64 s[0:1], s[6:7], 2
	s_add_u32 s2, s2, s0
	s_addc_u32 s3, s3, s1
	s_load_dword s7, s[2:3], 0x0
	s_add_u32 s2, s2, 4
	s_addc_u32 s3, s3, 0
	s_add_u32 s0, s14, s0
	s_addc_u32 s1, s15, s1
	s_cmp_eq_u64 s[14:15], 0
	s_cselect_b32 s1, s3, s1
	s_cselect_b32 s0, s2, s0
	s_load_dword s11, s[0:1], 0x0
	v_sub_u16_e32 v13, v0, v5
	v_mov_b32_e32 v5, 0
	v_mov_b32_e32 v6, 0
	v_lshlrev_b32_e32 v12, 3, v0
	s_waitcnt lgkmcnt(0)
	s_cmp_ge_i32 s7, s11
	s_cbranch_scc1 .LBB20_12
; %bb.8:
	s_load_dwordx4 s[0:3], s[4:5], 0x30
	s_load_dwordx2 s[14:15], s[4:5], 0x40
	v_mov_b32_e32 v5, 25
	v_mul_lo_u16_sdwa v5, v7, v5 dst_sel:DWORD dst_unused:UNUSED_PAD src0_sel:WORD_1 src1_sel:DWORD
	v_lshrrev_b16_e32 v5, 9, v5
	s_sub_i32 s5, s7, s10
	s_sub_i32 s4, s11, s10
	v_mul_lo_u16_e32 v5, 21, v5
	s_mul_i32 s11, s5, 0xdc8
	v_sub_u16_sdwa v5, v7, v5 dst_sel:DWORD dst_unused:UNUSED_PAD src0_sel:WORD_1 src1_sel:DWORD
	s_mul_hi_i32 s7, s5, 0xdc8
	s_waitcnt lgkmcnt(0)
	s_add_u32 s2, s2, s11
	v_and_b32_e32 v5, 0xff, v5
	s_addc_u32 s3, s3, s7
	v_cndmask_b32_e32 v7, v13, v5, vcc
	v_mov_b32_e32 v5, s3
	v_add_co_u32_e32 v8, vcc, s2, v12
	s_movk_i32 s2, 0x253
	v_addc_co_u32_e32 v9, vcc, 0, v5, vcc
	v_mul_u32_u24_sdwa v10, v0, s2 dst_sel:DWORD dst_unused:UNUSED_PAD src0_sel:WORD_0 src1_sel:DWORD
	v_mov_b32_e32 v5, 0
	v_mov_b32_e32 v6, 0
	v_lshrrev_b32_e32 v14, 18, v10
	s_branch .LBB20_10
.LBB20_9:                               ;   in Loop: Header=BB20_10 Depth=1
	s_or_b64 exec, exec, s[2:3]
	s_add_i32 s5, s5, 1
	s_cmp_lt_i32 s5, s4
	s_cbranch_scc0 .LBB20_12
.LBB20_10:                              ; =>This Inner Loop Header: Depth=1
	v_add_u32_e32 v10, s5, v14
	v_cmp_gt_i32_e32 vcc, s4, v10
	s_and_saveexec_b64 s[2:3], vcc
	s_cbranch_execz .LBB20_9
; %bb.11:                               ;   in Loop: Header=BB20_10 Depth=1
	v_ashrrev_i32_e32 v11, 31, v10
	v_lshlrev_b64 v[10:11], 2, v[10:11]
	v_mov_b32_e32 v15, s1
	v_add_co_u32_e32 v10, vcc, s0, v10
	v_addc_co_u32_e32 v11, vcc, v15, v11, vcc
	global_load_dword v10, v[10:11], off
	v_mov_b32_e32 v17, s15
	global_load_dwordx2 v[15:16], v[8:9], off
	s_waitcnt vmcnt(1)
	v_subrev_u32_e32 v10, s10, v10
	v_mad_u64_u32 v[10:11], s[16:17], v10, 21, v[7:8]
	v_ashrrev_i32_e32 v11, 31, v10
	v_lshlrev_b64 v[10:11], 3, v[10:11]
	v_add_co_u32_e32 v10, vcc, s14, v10
	v_addc_co_u32_e32 v11, vcc, v17, v11, vcc
	global_load_dwordx2 v[10:11], v[10:11], off
	v_add_co_u32_e32 v8, vcc, 0xdc8, v8
	v_addc_co_u32_e32 v9, vcc, 0, v9, vcc
	s_waitcnt vmcnt(0)
	v_fma_f64 v[5:6], v[15:16], v[10:11], v[5:6]
	s_branch .LBB20_9
.LBB20_12:
	s_and_b64 vcc, exec, s[12:13]
	ds_write_b64 v12, v[5:6]
	s_waitcnt lgkmcnt(0)
	s_barrier
	s_cbranch_vccz .LBB20_24
; %bb.13:
	v_cmp_gt_u16_e32 vcc, 5, v13
	s_and_saveexec_b64 s[0:1], vcc
	s_cbranch_execz .LBB20_15
; %bb.14:
	ds_read2_b64 v[7:10], v12 offset1:16
	s_waitcnt lgkmcnt(0)
	v_add_f64 v[7:8], v[9:10], v[7:8]
	ds_write_b64 v12, v[7:8]
.LBB20_15:
	s_or_b64 exec, exec, s[0:1]
	v_cmp_gt_u16_e32 vcc, 8, v13
	s_waitcnt lgkmcnt(0)
	s_barrier
	s_and_saveexec_b64 s[0:1], vcc
	s_cbranch_execz .LBB20_17
; %bb.16:
	ds_read2_b64 v[7:10], v12 offset1:8
	s_waitcnt lgkmcnt(0)
	v_add_f64 v[7:8], v[9:10], v[7:8]
	ds_write_b64 v12, v[7:8]
.LBB20_17:
	s_or_b64 exec, exec, s[0:1]
	v_cmp_gt_u16_e32 vcc, 4, v13
	s_waitcnt lgkmcnt(0)
	s_barrier
	;; [unrolled: 12-line block ×3, first 2 shown]
	s_and_saveexec_b64 s[0:1], vcc
	s_cbranch_execz .LBB20_21
; %bb.20:
	ds_read2_b64 v[7:10], v12 offset1:2
	s_waitcnt lgkmcnt(0)
	v_add_f64 v[7:8], v[9:10], v[7:8]
	ds_write_b64 v12, v[7:8]
.LBB20_21:
	s_or_b64 exec, exec, s[0:1]
	v_mov_b32_e32 v8, v6
	v_cmp_gt_u32_e32 vcc, 21, v0
	v_mov_b32_e32 v7, v5
	s_waitcnt lgkmcnt(0)
	s_barrier
	s_and_saveexec_b64 s[0:1], vcc
	s_cbranch_execz .LBB20_23
; %bb.22:
	s_movk_i32 s2, 0xa0
	v_mad_u32_u24 v7, v0, s2, v12
	ds_read2_b64 v[7:10], v7 offset1:1
	s_waitcnt lgkmcnt(0)
	v_add_f64 v[7:8], v[7:8], v[9:10]
.LBB20_23:
	s_or_b64 exec, exec, s[0:1]
	s_branch .LBB20_36
.LBB20_24:
                                        ; implicit-def: $vgpr7_vgpr8
	s_cbranch_execz .LBB20_36
; %bb.25:
	s_movk_i32 s0, 0x69
	v_cmp_gt_u32_e32 vcc, s0, v0
	s_and_saveexec_b64 s[0:1], vcc
	s_cbranch_execz .LBB20_27
; %bb.26:
	ds_read_b64 v[7:8], v12 offset:2688
	ds_read_b64 v[9:10], v12
	s_waitcnt lgkmcnt(0)
	v_add_f64 v[7:8], v[7:8], v[9:10]
	ds_write_b64 v12, v[7:8]
.LBB20_27:
	s_or_b64 exec, exec, s[0:1]
	s_movk_i32 s0, 0xa8
	v_cmp_gt_u32_e32 vcc, s0, v0
	s_waitcnt lgkmcnt(0)
	s_barrier
	s_and_saveexec_b64 s[0:1], vcc
	s_cbranch_execz .LBB20_29
; %bb.28:
	ds_read2_b64 v[7:10], v12 offset1:168
	s_waitcnt lgkmcnt(0)
	v_add_f64 v[7:8], v[9:10], v[7:8]
	ds_write_b64 v12, v[7:8]
.LBB20_29:
	s_or_b64 exec, exec, s[0:1]
	s_movk_i32 s0, 0x54
	v_cmp_gt_u32_e32 vcc, s0, v0
	s_waitcnt lgkmcnt(0)
	s_barrier
	s_and_saveexec_b64 s[0:1], vcc
	s_cbranch_execz .LBB20_31
; %bb.30:
	ds_read2_b64 v[7:10], v12 offset1:84
	s_waitcnt lgkmcnt(0)
	v_add_f64 v[7:8], v[9:10], v[7:8]
	ds_write_b64 v12, v[7:8]
.LBB20_31:
	s_or_b64 exec, exec, s[0:1]
	v_cmp_gt_u32_e32 vcc, 42, v0
	s_waitcnt lgkmcnt(0)
	s_barrier
	s_and_saveexec_b64 s[0:1], vcc
	s_cbranch_execz .LBB20_33
; %bb.32:
	ds_read2_b64 v[7:10], v12 offset1:42
	s_waitcnt lgkmcnt(0)
	v_add_f64 v[7:8], v[9:10], v[7:8]
	ds_write_b64 v12, v[7:8]
.LBB20_33:
	s_or_b64 exec, exec, s[0:1]
	v_cmp_gt_u32_e32 vcc, 21, v0
	s_waitcnt lgkmcnt(0)
	s_and_saveexec_b64 s[0:1], vcc
	s_cbranch_execz .LBB20_35
; %bb.34:
	ds_read2_b64 v[5:8], v12 offset1:21
	s_waitcnt lgkmcnt(0)
	v_add_f64 v[5:6], v[5:6], v[7:8]
.LBB20_35:
	s_or_b64 exec, exec, s[0:1]
	v_mov_b32_e32 v8, v6
	v_mov_b32_e32 v7, v5
.LBB20_36:
	v_cmp_gt_u32_e32 vcc, 21, v0
	s_and_b64 exec, exec, vcc
	s_cbranch_execz .LBB20_41
; %bb.37:
	v_cmp_eq_f64_e32 vcc, 0, v[1:2]
	v_mul_f64 v[3:4], v[3:4], v[7:8]
	s_and_saveexec_b64 s[0:1], vcc
	s_xor_b64 s[0:1], exec, s[0:1]
	s_cbranch_execz .LBB20_39
; %bb.38:
	v_mad_u64_u32 v[0:1], s[2:3], s6, 21, v[0:1]
	v_mov_b32_e32 v1, 0
	v_mov_b32_e32 v2, s9
	v_lshlrev_b64 v[0:1], 3, v[0:1]
	v_add_co_u32_e32 v0, vcc, s8, v0
	v_addc_co_u32_e32 v1, vcc, v2, v1, vcc
	global_store_dwordx2 v[0:1], v[3:4], off
                                        ; implicit-def: $vgpr0
                                        ; implicit-def: $vgpr1_vgpr2
                                        ; implicit-def: $vgpr3_vgpr4
.LBB20_39:
	s_andn2_saveexec_b64 s[0:1], s[0:1]
	s_cbranch_execz .LBB20_41
; %bb.40:
	v_mad_u64_u32 v[5:6], s[0:1], s6, 21, v[0:1]
	v_mov_b32_e32 v6, 0
	v_mov_b32_e32 v0, s9
	v_lshlrev_b64 v[5:6], 3, v[5:6]
	v_add_co_u32_e32 v5, vcc, s8, v5
	v_addc_co_u32_e32 v6, vcc, v0, v6, vcc
	global_load_dwordx2 v[7:8], v[5:6], off
	s_waitcnt vmcnt(0)
	v_fma_f64 v[0:1], v[1:2], v[7:8], v[3:4]
	global_store_dwordx2 v[5:6], v[0:1], off
.LBB20_41:
	s_endpgm
	.section	.rodata,"a",@progbits
	.p2align	6, 0x0
	.amdhsa_kernel _ZN9rocsparseL20bsrxmvn_17_32_kernelILj21EdiidddEEvT2_20rocsparse_direction_NS_24const_host_device_scalarIT0_EES1_PKS1_PKT1_SA_S7_PKT3_PKT4_S5_PT5_21rocsparse_index_base_b
		.amdhsa_group_segment_fixed_size 3528
		.amdhsa_private_segment_fixed_size 0
		.amdhsa_kernarg_size 96
		.amdhsa_user_sgpr_count 6
		.amdhsa_user_sgpr_private_segment_buffer 1
		.amdhsa_user_sgpr_dispatch_ptr 0
		.amdhsa_user_sgpr_queue_ptr 0
		.amdhsa_user_sgpr_kernarg_segment_ptr 1
		.amdhsa_user_sgpr_dispatch_id 0
		.amdhsa_user_sgpr_flat_scratch_init 0
		.amdhsa_user_sgpr_private_segment_size 0
		.amdhsa_uses_dynamic_stack 0
		.amdhsa_system_sgpr_private_segment_wavefront_offset 0
		.amdhsa_system_sgpr_workgroup_id_x 1
		.amdhsa_system_sgpr_workgroup_id_y 0
		.amdhsa_system_sgpr_workgroup_id_z 0
		.amdhsa_system_sgpr_workgroup_info 0
		.amdhsa_system_vgpr_workitem_id 0
		.amdhsa_next_free_vgpr 25
		.amdhsa_next_free_sgpr 61
		.amdhsa_reserve_vcc 1
		.amdhsa_reserve_flat_scratch 0
		.amdhsa_float_round_mode_32 0
		.amdhsa_float_round_mode_16_64 0
		.amdhsa_float_denorm_mode_32 3
		.amdhsa_float_denorm_mode_16_64 3
		.amdhsa_dx10_clamp 1
		.amdhsa_ieee_mode 1
		.amdhsa_fp16_overflow 0
		.amdhsa_exception_fp_ieee_invalid_op 0
		.amdhsa_exception_fp_denorm_src 0
		.amdhsa_exception_fp_ieee_div_zero 0
		.amdhsa_exception_fp_ieee_overflow 0
		.amdhsa_exception_fp_ieee_underflow 0
		.amdhsa_exception_fp_ieee_inexact 0
		.amdhsa_exception_int_div_zero 0
	.end_amdhsa_kernel
	.section	.text._ZN9rocsparseL20bsrxmvn_17_32_kernelILj21EdiidddEEvT2_20rocsparse_direction_NS_24const_host_device_scalarIT0_EES1_PKS1_PKT1_SA_S7_PKT3_PKT4_S5_PT5_21rocsparse_index_base_b,"axG",@progbits,_ZN9rocsparseL20bsrxmvn_17_32_kernelILj21EdiidddEEvT2_20rocsparse_direction_NS_24const_host_device_scalarIT0_EES1_PKS1_PKT1_SA_S7_PKT3_PKT4_S5_PT5_21rocsparse_index_base_b,comdat
.Lfunc_end20:
	.size	_ZN9rocsparseL20bsrxmvn_17_32_kernelILj21EdiidddEEvT2_20rocsparse_direction_NS_24const_host_device_scalarIT0_EES1_PKS1_PKT1_SA_S7_PKT3_PKT4_S5_PT5_21rocsparse_index_base_b, .Lfunc_end20-_ZN9rocsparseL20bsrxmvn_17_32_kernelILj21EdiidddEEvT2_20rocsparse_direction_NS_24const_host_device_scalarIT0_EES1_PKS1_PKT1_SA_S7_PKT3_PKT4_S5_PT5_21rocsparse_index_base_b
                                        ; -- End function
	.set _ZN9rocsparseL20bsrxmvn_17_32_kernelILj21EdiidddEEvT2_20rocsparse_direction_NS_24const_host_device_scalarIT0_EES1_PKS1_PKT1_SA_S7_PKT3_PKT4_S5_PT5_21rocsparse_index_base_b.num_vgpr, 18
	.set _ZN9rocsparseL20bsrxmvn_17_32_kernelILj21EdiidddEEvT2_20rocsparse_direction_NS_24const_host_device_scalarIT0_EES1_PKS1_PKT1_SA_S7_PKT3_PKT4_S5_PT5_21rocsparse_index_base_b.num_agpr, 0
	.set _ZN9rocsparseL20bsrxmvn_17_32_kernelILj21EdiidddEEvT2_20rocsparse_direction_NS_24const_host_device_scalarIT0_EES1_PKS1_PKT1_SA_S7_PKT3_PKT4_S5_PT5_21rocsparse_index_base_b.numbered_sgpr, 18
	.set _ZN9rocsparseL20bsrxmvn_17_32_kernelILj21EdiidddEEvT2_20rocsparse_direction_NS_24const_host_device_scalarIT0_EES1_PKS1_PKT1_SA_S7_PKT3_PKT4_S5_PT5_21rocsparse_index_base_b.num_named_barrier, 0
	.set _ZN9rocsparseL20bsrxmvn_17_32_kernelILj21EdiidddEEvT2_20rocsparse_direction_NS_24const_host_device_scalarIT0_EES1_PKS1_PKT1_SA_S7_PKT3_PKT4_S5_PT5_21rocsparse_index_base_b.private_seg_size, 0
	.set _ZN9rocsparseL20bsrxmvn_17_32_kernelILj21EdiidddEEvT2_20rocsparse_direction_NS_24const_host_device_scalarIT0_EES1_PKS1_PKT1_SA_S7_PKT3_PKT4_S5_PT5_21rocsparse_index_base_b.uses_vcc, 1
	.set _ZN9rocsparseL20bsrxmvn_17_32_kernelILj21EdiidddEEvT2_20rocsparse_direction_NS_24const_host_device_scalarIT0_EES1_PKS1_PKT1_SA_S7_PKT3_PKT4_S5_PT5_21rocsparse_index_base_b.uses_flat_scratch, 0
	.set _ZN9rocsparseL20bsrxmvn_17_32_kernelILj21EdiidddEEvT2_20rocsparse_direction_NS_24const_host_device_scalarIT0_EES1_PKS1_PKT1_SA_S7_PKT3_PKT4_S5_PT5_21rocsparse_index_base_b.has_dyn_sized_stack, 0
	.set _ZN9rocsparseL20bsrxmvn_17_32_kernelILj21EdiidddEEvT2_20rocsparse_direction_NS_24const_host_device_scalarIT0_EES1_PKS1_PKT1_SA_S7_PKT3_PKT4_S5_PT5_21rocsparse_index_base_b.has_recursion, 0
	.set _ZN9rocsparseL20bsrxmvn_17_32_kernelILj21EdiidddEEvT2_20rocsparse_direction_NS_24const_host_device_scalarIT0_EES1_PKS1_PKT1_SA_S7_PKT3_PKT4_S5_PT5_21rocsparse_index_base_b.has_indirect_call, 0
	.section	.AMDGPU.csdata,"",@progbits
; Kernel info:
; codeLenInByte = 1328
; TotalNumSgprs: 22
; NumVgprs: 18
; ScratchSize: 0
; MemoryBound: 0
; FloatMode: 240
; IeeeMode: 1
; LDSByteSize: 3528 bytes/workgroup (compile time only)
; SGPRBlocks: 8
; VGPRBlocks: 6
; NumSGPRsForWavesPerEU: 65
; NumVGPRsForWavesPerEU: 25
; Occupancy: 9
; WaveLimiterHint : 1
; COMPUTE_PGM_RSRC2:SCRATCH_EN: 0
; COMPUTE_PGM_RSRC2:USER_SGPR: 6
; COMPUTE_PGM_RSRC2:TRAP_HANDLER: 0
; COMPUTE_PGM_RSRC2:TGID_X_EN: 1
; COMPUTE_PGM_RSRC2:TGID_Y_EN: 0
; COMPUTE_PGM_RSRC2:TGID_Z_EN: 0
; COMPUTE_PGM_RSRC2:TIDIG_COMP_CNT: 0
	.section	.text._ZN9rocsparseL20bsrxmvn_17_32_kernelILj22EdiidddEEvT2_20rocsparse_direction_NS_24const_host_device_scalarIT0_EES1_PKS1_PKT1_SA_S7_PKT3_PKT4_S5_PT5_21rocsparse_index_base_b,"axG",@progbits,_ZN9rocsparseL20bsrxmvn_17_32_kernelILj22EdiidddEEvT2_20rocsparse_direction_NS_24const_host_device_scalarIT0_EES1_PKS1_PKT1_SA_S7_PKT3_PKT4_S5_PT5_21rocsparse_index_base_b,comdat
	.globl	_ZN9rocsparseL20bsrxmvn_17_32_kernelILj22EdiidddEEvT2_20rocsparse_direction_NS_24const_host_device_scalarIT0_EES1_PKS1_PKT1_SA_S7_PKT3_PKT4_S5_PT5_21rocsparse_index_base_b ; -- Begin function _ZN9rocsparseL20bsrxmvn_17_32_kernelILj22EdiidddEEvT2_20rocsparse_direction_NS_24const_host_device_scalarIT0_EES1_PKS1_PKT1_SA_S7_PKT3_PKT4_S5_PT5_21rocsparse_index_base_b
	.p2align	8
	.type	_ZN9rocsparseL20bsrxmvn_17_32_kernelILj22EdiidddEEvT2_20rocsparse_direction_NS_24const_host_device_scalarIT0_EES1_PKS1_PKT1_SA_S7_PKT3_PKT4_S5_PT5_21rocsparse_index_base_b,@function
_ZN9rocsparseL20bsrxmvn_17_32_kernelILj22EdiidddEEvT2_20rocsparse_direction_NS_24const_host_device_scalarIT0_EES1_PKS1_PKT1_SA_S7_PKT3_PKT4_S5_PT5_21rocsparse_index_base_b: ; @_ZN9rocsparseL20bsrxmvn_17_32_kernelILj22EdiidddEEvT2_20rocsparse_direction_NS_24const_host_device_scalarIT0_EES1_PKS1_PKT1_SA_S7_PKT3_PKT4_S5_PT5_21rocsparse_index_base_b
; %bb.0:
	s_load_dwordx2 s[10:11], s[4:5], 0x58
	s_load_dwordx2 s[8:9], s[4:5], 0x8
	;; [unrolled: 1-line block ×3, first 2 shown]
	s_waitcnt lgkmcnt(0)
	s_bitcmp1_b32 s11, 0
	s_cselect_b64 s[12:13], -1, 0
	v_mov_b32_e32 v3, s8
	s_xor_b64 s[2:3], s[12:13], -1
	s_and_b64 vcc, exec, s[12:13]
	v_mov_b32_e32 v4, s9
	s_cbranch_vccnz .LBB21_2
; %bb.1:
	v_mov_b32_e32 v1, s8
	v_mov_b32_e32 v2, s9
	flat_load_dwordx2 v[3:4], v[1:2]
.LBB21_2:
	v_mov_b32_e32 v2, s1
	s_andn2_b64 vcc, exec, s[2:3]
	v_mov_b32_e32 v1, s0
	s_cbranch_vccnz .LBB21_4
; %bb.3:
	v_mov_b32_e32 v2, s1
	v_mov_b32_e32 v1, s0
	flat_load_dwordx2 v[1:2], v[1:2]
.LBB21_4:
	s_waitcnt vmcnt(0) lgkmcnt(0)
	v_cmp_neq_f64_e32 vcc, 0, v[3:4]
	v_cmp_neq_f64_e64 s[0:1], 1.0, v[1:2]
	s_or_b64 s[0:1], vcc, s[0:1]
	s_and_saveexec_b64 s[2:3], s[0:1]
	s_cbranch_execz .LBB21_41
; %bb.5:
	s_load_dwordx4 s[0:3], s[4:5], 0x18
	s_load_dwordx2 s[14:15], s[4:5], 0x28
	s_waitcnt lgkmcnt(0)
	s_cmp_eq_u64 s[0:1], 0
	s_cbranch_scc1 .LBB21_7
; %bb.6:
	s_ashr_i32 s7, s6, 31
	s_lshl_b64 s[6:7], s[6:7], 2
	s_add_u32 s0, s0, s6
	s_addc_u32 s1, s1, s7
	s_load_dword s0, s[0:1], 0x0
	s_waitcnt lgkmcnt(0)
	s_sub_i32 s6, s0, s10
.LBB21_7:
	s_load_dword s0, s[4:5], 0x4
	s_load_dwordx2 s[8:9], s[4:5], 0x50
	v_mul_u32_u24_e32 v7, 0xba3, v0
	v_mov_b32_e32 v8, 22
	v_mul_lo_u16_sdwa v5, v7, v8 dst_sel:DWORD dst_unused:UNUSED_PAD src0_sel:WORD_1 src1_sel:DWORD
	s_waitcnt lgkmcnt(0)
	s_cmp_eq_u32 s0, 1
	s_cselect_b64 vcc, -1, 0
	s_cmp_lg_u32 s0, 1
	s_cselect_b64 s[12:13], -1, 0
	s_ashr_i32 s7, s6, 31
	s_lshl_b64 s[0:1], s[6:7], 2
	s_add_u32 s2, s2, s0
	s_addc_u32 s3, s3, s1
	s_load_dword s7, s[2:3], 0x0
	s_add_u32 s2, s2, 4
	s_addc_u32 s3, s3, 0
	s_add_u32 s0, s14, s0
	s_addc_u32 s1, s15, s1
	s_cmp_eq_u64 s[14:15], 0
	s_cselect_b32 s1, s3, s1
	s_cselect_b32 s0, s2, s0
	s_load_dword s11, s[0:1], 0x0
	v_sub_u16_e32 v13, v0, v5
	v_mov_b32_e32 v5, 0
	v_mov_b32_e32 v6, 0
	v_lshlrev_b32_e32 v12, 3, v0
	s_waitcnt lgkmcnt(0)
	s_cmp_ge_i32 s7, s11
	s_cbranch_scc1 .LBB21_12
; %bb.8:
	s_load_dwordx4 s[0:3], s[4:5], 0x30
	s_load_dwordx2 s[14:15], s[4:5], 0x40
	v_mov_b32_e32 v5, 12
	v_mul_lo_u16_sdwa v5, v7, v5 dst_sel:DWORD dst_unused:UNUSED_PAD src0_sel:WORD_1 src1_sel:DWORD
	s_sub_i32 s5, s7, s10
	s_sub_i32 s4, s11, s10
	v_mul_lo_u16_sdwa v5, v5, v8 dst_sel:DWORD dst_unused:UNUSED_PAD src0_sel:BYTE_1 src1_sel:DWORD
	s_mul_i32 s11, s5, 0xf20
	v_sub_u16_sdwa v5, v7, v5 dst_sel:DWORD dst_unused:UNUSED_PAD src0_sel:WORD_1 src1_sel:DWORD
	s_mul_hi_i32 s7, s5, 0xf20
	s_waitcnt lgkmcnt(0)
	s_add_u32 s2, s2, s11
	v_and_b32_e32 v5, 0xff, v5
	s_addc_u32 s3, s3, s7
	v_cndmask_b32_e32 v7, v13, v5, vcc
	v_mov_b32_e32 v5, s3
	v_add_co_u32_e32 v8, vcc, s2, v12
	s_movk_i32 s2, 0x10f
	v_addc_co_u32_e32 v9, vcc, 0, v5, vcc
	v_mul_u32_u24_sdwa v10, v0, s2 dst_sel:DWORD dst_unused:UNUSED_PAD src0_sel:WORD_0 src1_sel:DWORD
	v_mov_b32_e32 v5, 0
	v_mov_b32_e32 v6, 0
	v_lshrrev_b32_e32 v14, 17, v10
	s_branch .LBB21_10
.LBB21_9:                               ;   in Loop: Header=BB21_10 Depth=1
	s_or_b64 exec, exec, s[2:3]
	s_add_i32 s5, s5, 1
	s_cmp_lt_i32 s5, s4
	s_cbranch_scc0 .LBB21_12
.LBB21_10:                              ; =>This Inner Loop Header: Depth=1
	v_add_u32_e32 v10, s5, v14
	v_cmp_gt_i32_e32 vcc, s4, v10
	s_and_saveexec_b64 s[2:3], vcc
	s_cbranch_execz .LBB21_9
; %bb.11:                               ;   in Loop: Header=BB21_10 Depth=1
	v_ashrrev_i32_e32 v11, 31, v10
	v_lshlrev_b64 v[10:11], 2, v[10:11]
	v_mov_b32_e32 v15, s1
	v_add_co_u32_e32 v10, vcc, s0, v10
	v_addc_co_u32_e32 v11, vcc, v15, v11, vcc
	global_load_dword v10, v[10:11], off
	v_mov_b32_e32 v17, s15
	global_load_dwordx2 v[15:16], v[8:9], off
	s_waitcnt vmcnt(1)
	v_subrev_u32_e32 v10, s10, v10
	v_mad_u64_u32 v[10:11], s[16:17], v10, 22, v[7:8]
	v_ashrrev_i32_e32 v11, 31, v10
	v_lshlrev_b64 v[10:11], 3, v[10:11]
	v_add_co_u32_e32 v10, vcc, s14, v10
	v_addc_co_u32_e32 v11, vcc, v17, v11, vcc
	global_load_dwordx2 v[10:11], v[10:11], off
	v_add_co_u32_e32 v8, vcc, 0xf20, v8
	v_addc_co_u32_e32 v9, vcc, 0, v9, vcc
	s_waitcnt vmcnt(0)
	v_fma_f64 v[5:6], v[15:16], v[10:11], v[5:6]
	s_branch .LBB21_9
.LBB21_12:
	s_and_b64 vcc, exec, s[12:13]
	ds_write_b64 v12, v[5:6]
	s_waitcnt lgkmcnt(0)
	s_barrier
	s_cbranch_vccz .LBB21_24
; %bb.13:
	v_cmp_gt_u16_e32 vcc, 6, v13
	s_and_saveexec_b64 s[0:1], vcc
	s_cbranch_execz .LBB21_15
; %bb.14:
	ds_read2_b64 v[7:10], v12 offset1:16
	s_waitcnt lgkmcnt(0)
	v_add_f64 v[7:8], v[9:10], v[7:8]
	ds_write_b64 v12, v[7:8]
.LBB21_15:
	s_or_b64 exec, exec, s[0:1]
	v_cmp_gt_u16_e32 vcc, 8, v13
	s_waitcnt lgkmcnt(0)
	s_barrier
	s_and_saveexec_b64 s[0:1], vcc
	s_cbranch_execz .LBB21_17
; %bb.16:
	ds_read2_b64 v[7:10], v12 offset1:8
	s_waitcnt lgkmcnt(0)
	v_add_f64 v[7:8], v[9:10], v[7:8]
	ds_write_b64 v12, v[7:8]
.LBB21_17:
	s_or_b64 exec, exec, s[0:1]
	v_cmp_gt_u16_e32 vcc, 4, v13
	s_waitcnt lgkmcnt(0)
	s_barrier
	;; [unrolled: 12-line block ×3, first 2 shown]
	s_and_saveexec_b64 s[0:1], vcc
	s_cbranch_execz .LBB21_21
; %bb.20:
	ds_read2_b64 v[7:10], v12 offset1:2
	s_waitcnt lgkmcnt(0)
	v_add_f64 v[7:8], v[9:10], v[7:8]
	ds_write_b64 v12, v[7:8]
.LBB21_21:
	s_or_b64 exec, exec, s[0:1]
	v_mov_b32_e32 v8, v6
	v_cmp_gt_u32_e32 vcc, 22, v0
	v_mov_b32_e32 v7, v5
	s_waitcnt lgkmcnt(0)
	s_barrier
	s_and_saveexec_b64 s[0:1], vcc
	s_cbranch_execz .LBB21_23
; %bb.22:
	s_movk_i32 s2, 0xa8
	v_mad_u32_u24 v7, v0, s2, v12
	ds_read_b128 v[7:10], v7
	s_waitcnt lgkmcnt(0)
	v_add_f64 v[7:8], v[7:8], v[9:10]
.LBB21_23:
	s_or_b64 exec, exec, s[0:1]
	s_branch .LBB21_36
.LBB21_24:
                                        ; implicit-def: $vgpr7_vgpr8
	s_cbranch_execz .LBB21_36
; %bb.25:
	s_movk_i32 s0, 0x84
	v_cmp_gt_u32_e32 vcc, s0, v0
	s_and_saveexec_b64 s[0:1], vcc
	s_cbranch_execz .LBB21_27
; %bb.26:
	ds_read_b64 v[7:8], v12 offset:2816
	ds_read_b64 v[9:10], v12
	s_waitcnt lgkmcnt(0)
	v_add_f64 v[7:8], v[7:8], v[9:10]
	ds_write_b64 v12, v[7:8]
.LBB21_27:
	s_or_b64 exec, exec, s[0:1]
	s_movk_i32 s0, 0xb0
	v_cmp_gt_u32_e32 vcc, s0, v0
	s_waitcnt lgkmcnt(0)
	s_barrier
	s_and_saveexec_b64 s[0:1], vcc
	s_cbranch_execz .LBB21_29
; %bb.28:
	ds_read2_b64 v[7:10], v12 offset1:176
	s_waitcnt lgkmcnt(0)
	v_add_f64 v[7:8], v[9:10], v[7:8]
	ds_write_b64 v12, v[7:8]
.LBB21_29:
	s_or_b64 exec, exec, s[0:1]
	s_movk_i32 s0, 0x58
	v_cmp_gt_u32_e32 vcc, s0, v0
	s_waitcnt lgkmcnt(0)
	s_barrier
	s_and_saveexec_b64 s[0:1], vcc
	s_cbranch_execz .LBB21_31
; %bb.30:
	ds_read2_b64 v[7:10], v12 offset1:88
	s_waitcnt lgkmcnt(0)
	v_add_f64 v[7:8], v[9:10], v[7:8]
	ds_write_b64 v12, v[7:8]
.LBB21_31:
	s_or_b64 exec, exec, s[0:1]
	v_cmp_gt_u32_e32 vcc, 44, v0
	s_waitcnt lgkmcnt(0)
	s_barrier
	s_and_saveexec_b64 s[0:1], vcc
	s_cbranch_execz .LBB21_33
; %bb.32:
	ds_read2_b64 v[7:10], v12 offset1:44
	s_waitcnt lgkmcnt(0)
	v_add_f64 v[7:8], v[9:10], v[7:8]
	ds_write_b64 v12, v[7:8]
.LBB21_33:
	s_or_b64 exec, exec, s[0:1]
	v_cmp_gt_u32_e32 vcc, 22, v0
	s_waitcnt lgkmcnt(0)
	s_and_saveexec_b64 s[0:1], vcc
	s_cbranch_execz .LBB21_35
; %bb.34:
	ds_read2_b64 v[5:8], v12 offset1:22
	s_waitcnt lgkmcnt(0)
	v_add_f64 v[5:6], v[5:6], v[7:8]
.LBB21_35:
	s_or_b64 exec, exec, s[0:1]
	v_mov_b32_e32 v8, v6
	v_mov_b32_e32 v7, v5
.LBB21_36:
	v_cmp_gt_u32_e32 vcc, 22, v0
	s_and_b64 exec, exec, vcc
	s_cbranch_execz .LBB21_41
; %bb.37:
	v_cmp_eq_f64_e32 vcc, 0, v[1:2]
	v_mul_f64 v[3:4], v[3:4], v[7:8]
	s_and_saveexec_b64 s[0:1], vcc
	s_xor_b64 s[0:1], exec, s[0:1]
	s_cbranch_execz .LBB21_39
; %bb.38:
	v_mad_u64_u32 v[0:1], s[2:3], s6, 22, v[0:1]
	v_mov_b32_e32 v1, 0
	v_mov_b32_e32 v2, s9
	v_lshlrev_b64 v[0:1], 3, v[0:1]
	v_add_co_u32_e32 v0, vcc, s8, v0
	v_addc_co_u32_e32 v1, vcc, v2, v1, vcc
	global_store_dwordx2 v[0:1], v[3:4], off
                                        ; implicit-def: $vgpr0
                                        ; implicit-def: $vgpr1_vgpr2
                                        ; implicit-def: $vgpr3_vgpr4
.LBB21_39:
	s_andn2_saveexec_b64 s[0:1], s[0:1]
	s_cbranch_execz .LBB21_41
; %bb.40:
	v_mad_u64_u32 v[5:6], s[0:1], s6, 22, v[0:1]
	v_mov_b32_e32 v6, 0
	v_mov_b32_e32 v0, s9
	v_lshlrev_b64 v[5:6], 3, v[5:6]
	v_add_co_u32_e32 v5, vcc, s8, v5
	v_addc_co_u32_e32 v6, vcc, v0, v6, vcc
	global_load_dwordx2 v[7:8], v[5:6], off
	s_waitcnt vmcnt(0)
	v_fma_f64 v[0:1], v[1:2], v[7:8], v[3:4]
	global_store_dwordx2 v[5:6], v[0:1], off
.LBB21_41:
	s_endpgm
	.section	.rodata,"a",@progbits
	.p2align	6, 0x0
	.amdhsa_kernel _ZN9rocsparseL20bsrxmvn_17_32_kernelILj22EdiidddEEvT2_20rocsparse_direction_NS_24const_host_device_scalarIT0_EES1_PKS1_PKT1_SA_S7_PKT3_PKT4_S5_PT5_21rocsparse_index_base_b
		.amdhsa_group_segment_fixed_size 3872
		.amdhsa_private_segment_fixed_size 0
		.amdhsa_kernarg_size 96
		.amdhsa_user_sgpr_count 6
		.amdhsa_user_sgpr_private_segment_buffer 1
		.amdhsa_user_sgpr_dispatch_ptr 0
		.amdhsa_user_sgpr_queue_ptr 0
		.amdhsa_user_sgpr_kernarg_segment_ptr 1
		.amdhsa_user_sgpr_dispatch_id 0
		.amdhsa_user_sgpr_flat_scratch_init 0
		.amdhsa_user_sgpr_private_segment_size 0
		.amdhsa_uses_dynamic_stack 0
		.amdhsa_system_sgpr_private_segment_wavefront_offset 0
		.amdhsa_system_sgpr_workgroup_id_x 1
		.amdhsa_system_sgpr_workgroup_id_y 0
		.amdhsa_system_sgpr_workgroup_id_z 0
		.amdhsa_system_sgpr_workgroup_info 0
		.amdhsa_system_vgpr_workitem_id 0
		.amdhsa_next_free_vgpr 18
		.amdhsa_next_free_sgpr 18
		.amdhsa_reserve_vcc 1
		.amdhsa_reserve_flat_scratch 0
		.amdhsa_float_round_mode_32 0
		.amdhsa_float_round_mode_16_64 0
		.amdhsa_float_denorm_mode_32 3
		.amdhsa_float_denorm_mode_16_64 3
		.amdhsa_dx10_clamp 1
		.amdhsa_ieee_mode 1
		.amdhsa_fp16_overflow 0
		.amdhsa_exception_fp_ieee_invalid_op 0
		.amdhsa_exception_fp_denorm_src 0
		.amdhsa_exception_fp_ieee_div_zero 0
		.amdhsa_exception_fp_ieee_overflow 0
		.amdhsa_exception_fp_ieee_underflow 0
		.amdhsa_exception_fp_ieee_inexact 0
		.amdhsa_exception_int_div_zero 0
	.end_amdhsa_kernel
	.section	.text._ZN9rocsparseL20bsrxmvn_17_32_kernelILj22EdiidddEEvT2_20rocsparse_direction_NS_24const_host_device_scalarIT0_EES1_PKS1_PKT1_SA_S7_PKT3_PKT4_S5_PT5_21rocsparse_index_base_b,"axG",@progbits,_ZN9rocsparseL20bsrxmvn_17_32_kernelILj22EdiidddEEvT2_20rocsparse_direction_NS_24const_host_device_scalarIT0_EES1_PKS1_PKT1_SA_S7_PKT3_PKT4_S5_PT5_21rocsparse_index_base_b,comdat
.Lfunc_end21:
	.size	_ZN9rocsparseL20bsrxmvn_17_32_kernelILj22EdiidddEEvT2_20rocsparse_direction_NS_24const_host_device_scalarIT0_EES1_PKS1_PKT1_SA_S7_PKT3_PKT4_S5_PT5_21rocsparse_index_base_b, .Lfunc_end21-_ZN9rocsparseL20bsrxmvn_17_32_kernelILj22EdiidddEEvT2_20rocsparse_direction_NS_24const_host_device_scalarIT0_EES1_PKS1_PKT1_SA_S7_PKT3_PKT4_S5_PT5_21rocsparse_index_base_b
                                        ; -- End function
	.set _ZN9rocsparseL20bsrxmvn_17_32_kernelILj22EdiidddEEvT2_20rocsparse_direction_NS_24const_host_device_scalarIT0_EES1_PKS1_PKT1_SA_S7_PKT3_PKT4_S5_PT5_21rocsparse_index_base_b.num_vgpr, 18
	.set _ZN9rocsparseL20bsrxmvn_17_32_kernelILj22EdiidddEEvT2_20rocsparse_direction_NS_24const_host_device_scalarIT0_EES1_PKS1_PKT1_SA_S7_PKT3_PKT4_S5_PT5_21rocsparse_index_base_b.num_agpr, 0
	.set _ZN9rocsparseL20bsrxmvn_17_32_kernelILj22EdiidddEEvT2_20rocsparse_direction_NS_24const_host_device_scalarIT0_EES1_PKS1_PKT1_SA_S7_PKT3_PKT4_S5_PT5_21rocsparse_index_base_b.numbered_sgpr, 18
	.set _ZN9rocsparseL20bsrxmvn_17_32_kernelILj22EdiidddEEvT2_20rocsparse_direction_NS_24const_host_device_scalarIT0_EES1_PKS1_PKT1_SA_S7_PKT3_PKT4_S5_PT5_21rocsparse_index_base_b.num_named_barrier, 0
	.set _ZN9rocsparseL20bsrxmvn_17_32_kernelILj22EdiidddEEvT2_20rocsparse_direction_NS_24const_host_device_scalarIT0_EES1_PKS1_PKT1_SA_S7_PKT3_PKT4_S5_PT5_21rocsparse_index_base_b.private_seg_size, 0
	.set _ZN9rocsparseL20bsrxmvn_17_32_kernelILj22EdiidddEEvT2_20rocsparse_direction_NS_24const_host_device_scalarIT0_EES1_PKS1_PKT1_SA_S7_PKT3_PKT4_S5_PT5_21rocsparse_index_base_b.uses_vcc, 1
	.set _ZN9rocsparseL20bsrxmvn_17_32_kernelILj22EdiidddEEvT2_20rocsparse_direction_NS_24const_host_device_scalarIT0_EES1_PKS1_PKT1_SA_S7_PKT3_PKT4_S5_PT5_21rocsparse_index_base_b.uses_flat_scratch, 0
	.set _ZN9rocsparseL20bsrxmvn_17_32_kernelILj22EdiidddEEvT2_20rocsparse_direction_NS_24const_host_device_scalarIT0_EES1_PKS1_PKT1_SA_S7_PKT3_PKT4_S5_PT5_21rocsparse_index_base_b.has_dyn_sized_stack, 0
	.set _ZN9rocsparseL20bsrxmvn_17_32_kernelILj22EdiidddEEvT2_20rocsparse_direction_NS_24const_host_device_scalarIT0_EES1_PKS1_PKT1_SA_S7_PKT3_PKT4_S5_PT5_21rocsparse_index_base_b.has_recursion, 0
	.set _ZN9rocsparseL20bsrxmvn_17_32_kernelILj22EdiidddEEvT2_20rocsparse_direction_NS_24const_host_device_scalarIT0_EES1_PKS1_PKT1_SA_S7_PKT3_PKT4_S5_PT5_21rocsparse_index_base_b.has_indirect_call, 0
	.section	.AMDGPU.csdata,"",@progbits
; Kernel info:
; codeLenInByte = 1328
; TotalNumSgprs: 22
; NumVgprs: 18
; ScratchSize: 0
; MemoryBound: 0
; FloatMode: 240
; IeeeMode: 1
; LDSByteSize: 3872 bytes/workgroup (compile time only)
; SGPRBlocks: 2
; VGPRBlocks: 4
; NumSGPRsForWavesPerEU: 22
; NumVGPRsForWavesPerEU: 18
; Occupancy: 10
; WaveLimiterHint : 1
; COMPUTE_PGM_RSRC2:SCRATCH_EN: 0
; COMPUTE_PGM_RSRC2:USER_SGPR: 6
; COMPUTE_PGM_RSRC2:TRAP_HANDLER: 0
; COMPUTE_PGM_RSRC2:TGID_X_EN: 1
; COMPUTE_PGM_RSRC2:TGID_Y_EN: 0
; COMPUTE_PGM_RSRC2:TGID_Z_EN: 0
; COMPUTE_PGM_RSRC2:TIDIG_COMP_CNT: 0
	.section	.text._ZN9rocsparseL20bsrxmvn_17_32_kernelILj23EdiidddEEvT2_20rocsparse_direction_NS_24const_host_device_scalarIT0_EES1_PKS1_PKT1_SA_S7_PKT3_PKT4_S5_PT5_21rocsparse_index_base_b,"axG",@progbits,_ZN9rocsparseL20bsrxmvn_17_32_kernelILj23EdiidddEEvT2_20rocsparse_direction_NS_24const_host_device_scalarIT0_EES1_PKS1_PKT1_SA_S7_PKT3_PKT4_S5_PT5_21rocsparse_index_base_b,comdat
	.globl	_ZN9rocsparseL20bsrxmvn_17_32_kernelILj23EdiidddEEvT2_20rocsparse_direction_NS_24const_host_device_scalarIT0_EES1_PKS1_PKT1_SA_S7_PKT3_PKT4_S5_PT5_21rocsparse_index_base_b ; -- Begin function _ZN9rocsparseL20bsrxmvn_17_32_kernelILj23EdiidddEEvT2_20rocsparse_direction_NS_24const_host_device_scalarIT0_EES1_PKS1_PKT1_SA_S7_PKT3_PKT4_S5_PT5_21rocsparse_index_base_b
	.p2align	8
	.type	_ZN9rocsparseL20bsrxmvn_17_32_kernelILj23EdiidddEEvT2_20rocsparse_direction_NS_24const_host_device_scalarIT0_EES1_PKS1_PKT1_SA_S7_PKT3_PKT4_S5_PT5_21rocsparse_index_base_b,@function
_ZN9rocsparseL20bsrxmvn_17_32_kernelILj23EdiidddEEvT2_20rocsparse_direction_NS_24const_host_device_scalarIT0_EES1_PKS1_PKT1_SA_S7_PKT3_PKT4_S5_PT5_21rocsparse_index_base_b: ; @_ZN9rocsparseL20bsrxmvn_17_32_kernelILj23EdiidddEEvT2_20rocsparse_direction_NS_24const_host_device_scalarIT0_EES1_PKS1_PKT1_SA_S7_PKT3_PKT4_S5_PT5_21rocsparse_index_base_b
; %bb.0:
	s_load_dwordx2 s[14:15], s[4:5], 0x58
	s_load_dwordx2 s[8:9], s[4:5], 0x8
	;; [unrolled: 1-line block ×3, first 2 shown]
	s_waitcnt lgkmcnt(0)
	s_bitcmp1_b32 s15, 0
	s_cselect_b64 s[10:11], -1, 0
	v_mov_b32_e32 v3, s8
	s_xor_b64 s[2:3], s[10:11], -1
	s_and_b64 vcc, exec, s[10:11]
	v_mov_b32_e32 v4, s9
	s_cbranch_vccnz .LBB22_2
; %bb.1:
	v_mov_b32_e32 v1, s8
	v_mov_b32_e32 v2, s9
	flat_load_dwordx2 v[3:4], v[1:2]
.LBB22_2:
	v_mov_b32_e32 v2, s1
	s_andn2_b64 vcc, exec, s[2:3]
	v_mov_b32_e32 v1, s0
	s_cbranch_vccnz .LBB22_4
; %bb.3:
	v_mov_b32_e32 v2, s1
	v_mov_b32_e32 v1, s0
	flat_load_dwordx2 v[1:2], v[1:2]
.LBB22_4:
	s_waitcnt vmcnt(0) lgkmcnt(0)
	v_cmp_neq_f64_e32 vcc, 0, v[3:4]
	v_cmp_neq_f64_e64 s[0:1], 1.0, v[1:2]
	s_or_b64 s[0:1], vcc, s[0:1]
	s_and_saveexec_b64 s[2:3], s[0:1]
	s_cbranch_execz .LBB22_41
; %bb.5:
	s_load_dwordx4 s[0:3], s[4:5], 0x18
	s_load_dwordx2 s[8:9], s[4:5], 0x28
	s_waitcnt lgkmcnt(0)
	s_cmp_eq_u64 s[0:1], 0
	s_cbranch_scc1 .LBB22_7
; %bb.6:
	s_ashr_i32 s7, s6, 31
	s_lshl_b64 s[6:7], s[6:7], 2
	s_add_u32 s0, s0, s6
	s_addc_u32 s1, s1, s7
	s_load_dword s0, s[0:1], 0x0
	s_waitcnt lgkmcnt(0)
	s_sub_i32 s6, s0, s14
.LBB22_7:
	s_load_dword s0, s[4:5], 0x4
	s_load_dwordx2 s[12:13], s[4:5], 0x50
	v_mul_u32_u24_e32 v7, 0xb22, v0
	v_mov_b32_e32 v5, 23
	v_mul_lo_u16_sdwa v5, v7, v5 dst_sel:DWORD dst_unused:UNUSED_PAD src0_sel:WORD_1 src1_sel:DWORD
	s_waitcnt lgkmcnt(0)
	s_cmp_eq_u32 s0, 1
	s_cselect_b64 vcc, -1, 0
	s_cmp_lg_u32 s0, 1
	s_cselect_b64 s[16:17], -1, 0
	s_ashr_i32 s7, s6, 31
	s_lshl_b64 s[0:1], s[6:7], 2
	s_add_u32 s2, s2, s0
	s_addc_u32 s3, s3, s1
	s_load_dword s7, s[2:3], 0x0
	s_add_u32 s2, s2, 4
	s_addc_u32 s3, s3, 0
	s_add_u32 s0, s8, s0
	s_addc_u32 s1, s9, s1
	s_cmp_eq_u64 s[8:9], 0
	s_cselect_b32 s1, s3, s1
	s_cselect_b32 s0, s2, s0
	s_load_dword s0, s[0:1], 0x0
	v_sub_u16_e32 v13, v0, v5
	v_mov_b32_e32 v5, 0
	v_mov_b32_e32 v6, 0
	v_lshlrev_b32_e32 v12, 3, v0
	s_waitcnt lgkmcnt(0)
	s_cmp_ge_i32 s7, s0
	s_cbranch_scc1 .LBB22_12
; %bb.8:
	s_load_dwordx4 s[8:11], s[4:5], 0x30
	s_load_dwordx2 s[2:3], s[4:5], 0x40
	s_sub_i32 s4, s0, s14
	s_mov_b32 s0, 0xffff
	s_movk_i32 s1, 0x211
	v_and_b32_sdwa v5, s0, v7 dst_sel:DWORD dst_unused:UNUSED_PAD src0_sel:DWORD src1_sel:WORD_1
	v_subrev_u32_e32 v6, 23, v5
	v_cmp_gt_u32_e64 s[0:1], s1, v0
	s_sub_i32 s5, s7, s14
	v_cndmask_b32_e64 v5, v6, v5, s[0:1]
	s_mul_i32 s1, s5, 0x1088
	s_mul_hi_i32 s0, s5, 0x1088
	s_waitcnt lgkmcnt(0)
	s_add_u32 s1, s10, s1
	s_addc_u32 s0, s11, s0
	v_cndmask_b32_e32 v7, v13, v5, vcc
	v_mov_b32_e32 v5, s0
	v_add_co_u32_e32 v8, vcc, s1, v12
	v_addc_co_u32_e32 v9, vcc, 0, v5, vcc
	s_movk_i32 s0, 0x210
	v_mov_b32_e32 v5, 0
	v_cmp_lt_u32_e32 vcc, s0, v0
	v_mov_b32_e32 v6, 0
	v_cndmask_b32_e64 v14, 0, 1, vcc
	s_branch .LBB22_10
.LBB22_9:                               ;   in Loop: Header=BB22_10 Depth=1
	s_or_b64 exec, exec, s[0:1]
	s_add_i32 s5, s5, 1
	s_cmp_lt_i32 s5, s4
	s_cbranch_scc0 .LBB22_12
.LBB22_10:                              ; =>This Inner Loop Header: Depth=1
	v_add_u32_e32 v10, s5, v14
	v_cmp_gt_i32_e32 vcc, s4, v10
	s_and_saveexec_b64 s[0:1], vcc
	s_cbranch_execz .LBB22_9
; %bb.11:                               ;   in Loop: Header=BB22_10 Depth=1
	v_ashrrev_i32_e32 v11, 31, v10
	v_lshlrev_b64 v[10:11], 2, v[10:11]
	v_mov_b32_e32 v15, s9
	v_add_co_u32_e32 v10, vcc, s8, v10
	v_addc_co_u32_e32 v11, vcc, v15, v11, vcc
	global_load_dword v10, v[10:11], off
	v_mov_b32_e32 v17, s3
	global_load_dwordx2 v[15:16], v[8:9], off
	s_waitcnt vmcnt(1)
	v_subrev_u32_e32 v10, s14, v10
	v_mad_u64_u32 v[10:11], s[10:11], v10, 23, v[7:8]
	v_ashrrev_i32_e32 v11, 31, v10
	v_lshlrev_b64 v[10:11], 3, v[10:11]
	v_add_co_u32_e32 v10, vcc, s2, v10
	v_addc_co_u32_e32 v11, vcc, v17, v11, vcc
	global_load_dwordx2 v[10:11], v[10:11], off
	v_add_co_u32_e32 v8, vcc, 0x1088, v8
	v_addc_co_u32_e32 v9, vcc, 0, v9, vcc
	s_waitcnt vmcnt(0)
	v_fma_f64 v[5:6], v[15:16], v[10:11], v[5:6]
	s_branch .LBB22_9
.LBB22_12:
	s_and_b64 vcc, exec, s[16:17]
	ds_write_b64 v12, v[5:6]
	s_waitcnt lgkmcnt(0)
	s_barrier
	s_cbranch_vccz .LBB22_24
; %bb.13:
	v_cmp_gt_u16_e32 vcc, 7, v13
	s_and_saveexec_b64 s[0:1], vcc
	s_cbranch_execz .LBB22_15
; %bb.14:
	ds_read2_b64 v[7:10], v12 offset1:16
	s_waitcnt lgkmcnt(0)
	v_add_f64 v[7:8], v[9:10], v[7:8]
	ds_write_b64 v12, v[7:8]
.LBB22_15:
	s_or_b64 exec, exec, s[0:1]
	v_cmp_gt_u16_e32 vcc, 8, v13
	s_waitcnt lgkmcnt(0)
	s_barrier
	s_and_saveexec_b64 s[0:1], vcc
	s_cbranch_execz .LBB22_17
; %bb.16:
	ds_read2_b64 v[7:10], v12 offset1:8
	s_waitcnt lgkmcnt(0)
	v_add_f64 v[7:8], v[9:10], v[7:8]
	ds_write_b64 v12, v[7:8]
.LBB22_17:
	s_or_b64 exec, exec, s[0:1]
	v_cmp_gt_u16_e32 vcc, 4, v13
	s_waitcnt lgkmcnt(0)
	s_barrier
	;; [unrolled: 12-line block ×3, first 2 shown]
	s_and_saveexec_b64 s[0:1], vcc
	s_cbranch_execz .LBB22_21
; %bb.20:
	ds_read2_b64 v[7:10], v12 offset1:2
	s_waitcnt lgkmcnt(0)
	v_add_f64 v[7:8], v[9:10], v[7:8]
	ds_write_b64 v12, v[7:8]
.LBB22_21:
	s_or_b64 exec, exec, s[0:1]
	v_mov_b32_e32 v8, v6
	v_cmp_gt_u32_e32 vcc, 23, v0
	v_mov_b32_e32 v7, v5
	s_waitcnt lgkmcnt(0)
	s_barrier
	s_and_saveexec_b64 s[0:1], vcc
	s_cbranch_execz .LBB22_23
; %bb.22:
	s_movk_i32 s2, 0xb0
	v_mad_u32_u24 v7, v0, s2, v12
	ds_read2_b64 v[7:10], v7 offset1:1
	s_waitcnt lgkmcnt(0)
	v_add_f64 v[7:8], v[7:8], v[9:10]
.LBB22_23:
	s_or_b64 exec, exec, s[0:1]
	s_branch .LBB22_36
.LBB22_24:
                                        ; implicit-def: $vgpr7_vgpr8
	s_cbranch_execz .LBB22_36
; %bb.25:
	s_movk_i32 s0, 0xa1
	v_cmp_gt_u32_e32 vcc, s0, v0
	s_and_saveexec_b64 s[0:1], vcc
	s_cbranch_execz .LBB22_27
; %bb.26:
	ds_read_b64 v[7:8], v12 offset:2944
	ds_read_b64 v[9:10], v12
	s_waitcnt lgkmcnt(0)
	v_add_f64 v[7:8], v[7:8], v[9:10]
	ds_write_b64 v12, v[7:8]
.LBB22_27:
	s_or_b64 exec, exec, s[0:1]
	s_movk_i32 s0, 0xb8
	v_cmp_gt_u32_e32 vcc, s0, v0
	s_waitcnt lgkmcnt(0)
	s_barrier
	s_and_saveexec_b64 s[0:1], vcc
	s_cbranch_execz .LBB22_29
; %bb.28:
	ds_read2_b64 v[7:10], v12 offset1:184
	s_waitcnt lgkmcnt(0)
	v_add_f64 v[7:8], v[9:10], v[7:8]
	ds_write_b64 v12, v[7:8]
.LBB22_29:
	s_or_b64 exec, exec, s[0:1]
	s_movk_i32 s0, 0x5c
	v_cmp_gt_u32_e32 vcc, s0, v0
	s_waitcnt lgkmcnt(0)
	s_barrier
	s_and_saveexec_b64 s[0:1], vcc
	s_cbranch_execz .LBB22_31
; %bb.30:
	ds_read2_b64 v[7:10], v12 offset1:92
	s_waitcnt lgkmcnt(0)
	v_add_f64 v[7:8], v[9:10], v[7:8]
	ds_write_b64 v12, v[7:8]
.LBB22_31:
	s_or_b64 exec, exec, s[0:1]
	v_cmp_gt_u32_e32 vcc, 46, v0
	s_waitcnt lgkmcnt(0)
	s_barrier
	s_and_saveexec_b64 s[0:1], vcc
	s_cbranch_execz .LBB22_33
; %bb.32:
	ds_read2_b64 v[7:10], v12 offset1:46
	s_waitcnt lgkmcnt(0)
	v_add_f64 v[7:8], v[9:10], v[7:8]
	ds_write_b64 v12, v[7:8]
.LBB22_33:
	s_or_b64 exec, exec, s[0:1]
	v_cmp_gt_u32_e32 vcc, 23, v0
	s_waitcnt lgkmcnt(0)
	s_and_saveexec_b64 s[0:1], vcc
	s_cbranch_execz .LBB22_35
; %bb.34:
	ds_read2_b64 v[5:8], v12 offset1:23
	s_waitcnt lgkmcnt(0)
	v_add_f64 v[5:6], v[5:6], v[7:8]
.LBB22_35:
	s_or_b64 exec, exec, s[0:1]
	v_mov_b32_e32 v8, v6
	v_mov_b32_e32 v7, v5
.LBB22_36:
	v_cmp_gt_u32_e32 vcc, 23, v0
	s_and_b64 exec, exec, vcc
	s_cbranch_execz .LBB22_41
; %bb.37:
	v_cmp_eq_f64_e32 vcc, 0, v[1:2]
	v_mul_f64 v[3:4], v[3:4], v[7:8]
	s_and_saveexec_b64 s[0:1], vcc
	s_xor_b64 s[0:1], exec, s[0:1]
	s_cbranch_execz .LBB22_39
; %bb.38:
	v_mad_u64_u32 v[0:1], s[2:3], s6, 23, v[0:1]
	v_mov_b32_e32 v1, 0
	v_mov_b32_e32 v2, s13
	v_lshlrev_b64 v[0:1], 3, v[0:1]
	v_add_co_u32_e32 v0, vcc, s12, v0
	v_addc_co_u32_e32 v1, vcc, v2, v1, vcc
	global_store_dwordx2 v[0:1], v[3:4], off
                                        ; implicit-def: $vgpr0
                                        ; implicit-def: $vgpr1_vgpr2
                                        ; implicit-def: $vgpr3_vgpr4
.LBB22_39:
	s_andn2_saveexec_b64 s[0:1], s[0:1]
	s_cbranch_execz .LBB22_41
; %bb.40:
	v_mad_u64_u32 v[5:6], s[0:1], s6, 23, v[0:1]
	v_mov_b32_e32 v6, 0
	v_mov_b32_e32 v0, s13
	v_lshlrev_b64 v[5:6], 3, v[5:6]
	v_add_co_u32_e32 v5, vcc, s12, v5
	v_addc_co_u32_e32 v6, vcc, v0, v6, vcc
	global_load_dwordx2 v[7:8], v[5:6], off
	s_waitcnt vmcnt(0)
	v_fma_f64 v[0:1], v[1:2], v[7:8], v[3:4]
	global_store_dwordx2 v[5:6], v[0:1], off
.LBB22_41:
	s_endpgm
	.section	.rodata,"a",@progbits
	.p2align	6, 0x0
	.amdhsa_kernel _ZN9rocsparseL20bsrxmvn_17_32_kernelILj23EdiidddEEvT2_20rocsparse_direction_NS_24const_host_device_scalarIT0_EES1_PKS1_PKT1_SA_S7_PKT3_PKT4_S5_PT5_21rocsparse_index_base_b
		.amdhsa_group_segment_fixed_size 4232
		.amdhsa_private_segment_fixed_size 0
		.amdhsa_kernarg_size 96
		.amdhsa_user_sgpr_count 6
		.amdhsa_user_sgpr_private_segment_buffer 1
		.amdhsa_user_sgpr_dispatch_ptr 0
		.amdhsa_user_sgpr_queue_ptr 0
		.amdhsa_user_sgpr_kernarg_segment_ptr 1
		.amdhsa_user_sgpr_dispatch_id 0
		.amdhsa_user_sgpr_flat_scratch_init 0
		.amdhsa_user_sgpr_private_segment_size 0
		.amdhsa_uses_dynamic_stack 0
		.amdhsa_system_sgpr_private_segment_wavefront_offset 0
		.amdhsa_system_sgpr_workgroup_id_x 1
		.amdhsa_system_sgpr_workgroup_id_y 0
		.amdhsa_system_sgpr_workgroup_id_z 0
		.amdhsa_system_sgpr_workgroup_info 0
		.amdhsa_system_vgpr_workitem_id 0
		.amdhsa_next_free_vgpr 25
		.amdhsa_next_free_sgpr 61
		.amdhsa_reserve_vcc 1
		.amdhsa_reserve_flat_scratch 0
		.amdhsa_float_round_mode_32 0
		.amdhsa_float_round_mode_16_64 0
		.amdhsa_float_denorm_mode_32 3
		.amdhsa_float_denorm_mode_16_64 3
		.amdhsa_dx10_clamp 1
		.amdhsa_ieee_mode 1
		.amdhsa_fp16_overflow 0
		.amdhsa_exception_fp_ieee_invalid_op 0
		.amdhsa_exception_fp_denorm_src 0
		.amdhsa_exception_fp_ieee_div_zero 0
		.amdhsa_exception_fp_ieee_overflow 0
		.amdhsa_exception_fp_ieee_underflow 0
		.amdhsa_exception_fp_ieee_inexact 0
		.amdhsa_exception_int_div_zero 0
	.end_amdhsa_kernel
	.section	.text._ZN9rocsparseL20bsrxmvn_17_32_kernelILj23EdiidddEEvT2_20rocsparse_direction_NS_24const_host_device_scalarIT0_EES1_PKS1_PKT1_SA_S7_PKT3_PKT4_S5_PT5_21rocsparse_index_base_b,"axG",@progbits,_ZN9rocsparseL20bsrxmvn_17_32_kernelILj23EdiidddEEvT2_20rocsparse_direction_NS_24const_host_device_scalarIT0_EES1_PKS1_PKT1_SA_S7_PKT3_PKT4_S5_PT5_21rocsparse_index_base_b,comdat
.Lfunc_end22:
	.size	_ZN9rocsparseL20bsrxmvn_17_32_kernelILj23EdiidddEEvT2_20rocsparse_direction_NS_24const_host_device_scalarIT0_EES1_PKS1_PKT1_SA_S7_PKT3_PKT4_S5_PT5_21rocsparse_index_base_b, .Lfunc_end22-_ZN9rocsparseL20bsrxmvn_17_32_kernelILj23EdiidddEEvT2_20rocsparse_direction_NS_24const_host_device_scalarIT0_EES1_PKS1_PKT1_SA_S7_PKT3_PKT4_S5_PT5_21rocsparse_index_base_b
                                        ; -- End function
	.set _ZN9rocsparseL20bsrxmvn_17_32_kernelILj23EdiidddEEvT2_20rocsparse_direction_NS_24const_host_device_scalarIT0_EES1_PKS1_PKT1_SA_S7_PKT3_PKT4_S5_PT5_21rocsparse_index_base_b.num_vgpr, 18
	.set _ZN9rocsparseL20bsrxmvn_17_32_kernelILj23EdiidddEEvT2_20rocsparse_direction_NS_24const_host_device_scalarIT0_EES1_PKS1_PKT1_SA_S7_PKT3_PKT4_S5_PT5_21rocsparse_index_base_b.num_agpr, 0
	.set _ZN9rocsparseL20bsrxmvn_17_32_kernelILj23EdiidddEEvT2_20rocsparse_direction_NS_24const_host_device_scalarIT0_EES1_PKS1_PKT1_SA_S7_PKT3_PKT4_S5_PT5_21rocsparse_index_base_b.numbered_sgpr, 18
	.set _ZN9rocsparseL20bsrxmvn_17_32_kernelILj23EdiidddEEvT2_20rocsparse_direction_NS_24const_host_device_scalarIT0_EES1_PKS1_PKT1_SA_S7_PKT3_PKT4_S5_PT5_21rocsparse_index_base_b.num_named_barrier, 0
	.set _ZN9rocsparseL20bsrxmvn_17_32_kernelILj23EdiidddEEvT2_20rocsparse_direction_NS_24const_host_device_scalarIT0_EES1_PKS1_PKT1_SA_S7_PKT3_PKT4_S5_PT5_21rocsparse_index_base_b.private_seg_size, 0
	.set _ZN9rocsparseL20bsrxmvn_17_32_kernelILj23EdiidddEEvT2_20rocsparse_direction_NS_24const_host_device_scalarIT0_EES1_PKS1_PKT1_SA_S7_PKT3_PKT4_S5_PT5_21rocsparse_index_base_b.uses_vcc, 1
	.set _ZN9rocsparseL20bsrxmvn_17_32_kernelILj23EdiidddEEvT2_20rocsparse_direction_NS_24const_host_device_scalarIT0_EES1_PKS1_PKT1_SA_S7_PKT3_PKT4_S5_PT5_21rocsparse_index_base_b.uses_flat_scratch, 0
	.set _ZN9rocsparseL20bsrxmvn_17_32_kernelILj23EdiidddEEvT2_20rocsparse_direction_NS_24const_host_device_scalarIT0_EES1_PKS1_PKT1_SA_S7_PKT3_PKT4_S5_PT5_21rocsparse_index_base_b.has_dyn_sized_stack, 0
	.set _ZN9rocsparseL20bsrxmvn_17_32_kernelILj23EdiidddEEvT2_20rocsparse_direction_NS_24const_host_device_scalarIT0_EES1_PKS1_PKT1_SA_S7_PKT3_PKT4_S5_PT5_21rocsparse_index_base_b.has_recursion, 0
	.set _ZN9rocsparseL20bsrxmvn_17_32_kernelILj23EdiidddEEvT2_20rocsparse_direction_NS_24const_host_device_scalarIT0_EES1_PKS1_PKT1_SA_S7_PKT3_PKT4_S5_PT5_21rocsparse_index_base_b.has_indirect_call, 0
	.section	.AMDGPU.csdata,"",@progbits
; Kernel info:
; codeLenInByte = 1332
; TotalNumSgprs: 22
; NumVgprs: 18
; ScratchSize: 0
; MemoryBound: 0
; FloatMode: 240
; IeeeMode: 1
; LDSByteSize: 4232 bytes/workgroup (compile time only)
; SGPRBlocks: 8
; VGPRBlocks: 6
; NumSGPRsForWavesPerEU: 65
; NumVGPRsForWavesPerEU: 25
; Occupancy: 9
; WaveLimiterHint : 1
; COMPUTE_PGM_RSRC2:SCRATCH_EN: 0
; COMPUTE_PGM_RSRC2:USER_SGPR: 6
; COMPUTE_PGM_RSRC2:TRAP_HANDLER: 0
; COMPUTE_PGM_RSRC2:TGID_X_EN: 1
; COMPUTE_PGM_RSRC2:TGID_Y_EN: 0
; COMPUTE_PGM_RSRC2:TGID_Z_EN: 0
; COMPUTE_PGM_RSRC2:TIDIG_COMP_CNT: 0
	.section	.text._ZN9rocsparseL20bsrxmvn_17_32_kernelILj24EdiidddEEvT2_20rocsparse_direction_NS_24const_host_device_scalarIT0_EES1_PKS1_PKT1_SA_S7_PKT3_PKT4_S5_PT5_21rocsparse_index_base_b,"axG",@progbits,_ZN9rocsparseL20bsrxmvn_17_32_kernelILj24EdiidddEEvT2_20rocsparse_direction_NS_24const_host_device_scalarIT0_EES1_PKS1_PKT1_SA_S7_PKT3_PKT4_S5_PT5_21rocsparse_index_base_b,comdat
	.globl	_ZN9rocsparseL20bsrxmvn_17_32_kernelILj24EdiidddEEvT2_20rocsparse_direction_NS_24const_host_device_scalarIT0_EES1_PKS1_PKT1_SA_S7_PKT3_PKT4_S5_PT5_21rocsparse_index_base_b ; -- Begin function _ZN9rocsparseL20bsrxmvn_17_32_kernelILj24EdiidddEEvT2_20rocsparse_direction_NS_24const_host_device_scalarIT0_EES1_PKS1_PKT1_SA_S7_PKT3_PKT4_S5_PT5_21rocsparse_index_base_b
	.p2align	8
	.type	_ZN9rocsparseL20bsrxmvn_17_32_kernelILj24EdiidddEEvT2_20rocsparse_direction_NS_24const_host_device_scalarIT0_EES1_PKS1_PKT1_SA_S7_PKT3_PKT4_S5_PT5_21rocsparse_index_base_b,@function
_ZN9rocsparseL20bsrxmvn_17_32_kernelILj24EdiidddEEvT2_20rocsparse_direction_NS_24const_host_device_scalarIT0_EES1_PKS1_PKT1_SA_S7_PKT3_PKT4_S5_PT5_21rocsparse_index_base_b: ; @_ZN9rocsparseL20bsrxmvn_17_32_kernelILj24EdiidddEEvT2_20rocsparse_direction_NS_24const_host_device_scalarIT0_EES1_PKS1_PKT1_SA_S7_PKT3_PKT4_S5_PT5_21rocsparse_index_base_b
; %bb.0:
	s_load_dwordx2 s[14:15], s[4:5], 0x58
	s_load_dwordx2 s[8:9], s[4:5], 0x8
	;; [unrolled: 1-line block ×3, first 2 shown]
	s_waitcnt lgkmcnt(0)
	s_bitcmp1_b32 s15, 0
	s_cselect_b64 s[10:11], -1, 0
	v_mov_b32_e32 v3, s8
	s_xor_b64 s[2:3], s[10:11], -1
	s_and_b64 vcc, exec, s[10:11]
	v_mov_b32_e32 v4, s9
	s_cbranch_vccnz .LBB23_2
; %bb.1:
	v_mov_b32_e32 v1, s8
	v_mov_b32_e32 v2, s9
	flat_load_dwordx2 v[3:4], v[1:2]
.LBB23_2:
	v_mov_b32_e32 v2, s1
	s_andn2_b64 vcc, exec, s[2:3]
	v_mov_b32_e32 v1, s0
	s_cbranch_vccnz .LBB23_4
; %bb.3:
	v_mov_b32_e32 v2, s1
	v_mov_b32_e32 v1, s0
	flat_load_dwordx2 v[1:2], v[1:2]
.LBB23_4:
	s_waitcnt vmcnt(0) lgkmcnt(0)
	v_cmp_neq_f64_e32 vcc, 0, v[3:4]
	v_cmp_neq_f64_e64 s[0:1], 1.0, v[1:2]
	s_or_b64 s[0:1], vcc, s[0:1]
	s_and_saveexec_b64 s[2:3], s[0:1]
	s_cbranch_execz .LBB23_41
; %bb.5:
	s_load_dwordx4 s[0:3], s[4:5], 0x18
	s_load_dwordx2 s[8:9], s[4:5], 0x28
	s_waitcnt lgkmcnt(0)
	s_cmp_eq_u64 s[0:1], 0
	s_cbranch_scc1 .LBB23_7
; %bb.6:
	s_ashr_i32 s7, s6, 31
	s_lshl_b64 s[6:7], s[6:7], 2
	s_add_u32 s0, s0, s6
	s_addc_u32 s1, s1, s7
	s_load_dword s0, s[0:1], 0x0
	s_waitcnt lgkmcnt(0)
	s_sub_i32 s6, s0, s14
.LBB23_7:
	s_load_dword s0, s[4:5], 0x4
	s_load_dwordx2 s[12:13], s[4:5], 0x50
	v_mul_u32_u24_e32 v7, 0xaab, v0
	v_mov_b32_e32 v5, 24
	v_mul_lo_u16_sdwa v5, v7, v5 dst_sel:DWORD dst_unused:UNUSED_PAD src0_sel:WORD_1 src1_sel:DWORD
	s_waitcnt lgkmcnt(0)
	s_cmp_eq_u32 s0, 1
	s_cselect_b64 vcc, -1, 0
	s_cmp_lg_u32 s0, 1
	s_cselect_b64 s[16:17], -1, 0
	s_ashr_i32 s7, s6, 31
	s_lshl_b64 s[0:1], s[6:7], 2
	s_add_u32 s2, s2, s0
	s_addc_u32 s3, s3, s1
	s_load_dword s7, s[2:3], 0x0
	s_add_u32 s2, s2, 4
	s_addc_u32 s3, s3, 0
	s_add_u32 s0, s8, s0
	s_addc_u32 s1, s9, s1
	s_cmp_eq_u64 s[8:9], 0
	s_cselect_b32 s1, s3, s1
	s_cselect_b32 s0, s2, s0
	s_load_dword s0, s[0:1], 0x0
	v_sub_u16_e32 v13, v0, v5
	v_mov_b32_e32 v5, 0
	v_mov_b32_e32 v6, 0
	v_lshlrev_b32_e32 v12, 3, v0
	s_waitcnt lgkmcnt(0)
	s_cmp_ge_i32 s7, s0
	s_cbranch_scc1 .LBB23_12
; %bb.8:
	s_load_dwordx4 s[8:11], s[4:5], 0x30
	s_load_dwordx2 s[2:3], s[4:5], 0x40
	s_sub_i32 s4, s0, s14
	s_mov_b32 s0, 0xffff
	s_movk_i32 s1, 0x240
	v_and_b32_sdwa v5, s0, v7 dst_sel:DWORD dst_unused:UNUSED_PAD src0_sel:DWORD src1_sel:WORD_1
	v_subrev_u32_e32 v6, 24, v5
	v_cmp_gt_u32_e64 s[0:1], s1, v0
	s_sub_i32 s5, s7, s14
	v_cndmask_b32_e64 v5, v6, v5, s[0:1]
	s_mul_i32 s1, s5, 0x1200
	s_mul_hi_i32 s0, s5, 0x1200
	s_waitcnt lgkmcnt(0)
	s_add_u32 s1, s10, s1
	s_addc_u32 s0, s11, s0
	v_cndmask_b32_e32 v7, v13, v5, vcc
	v_mov_b32_e32 v5, s0
	v_add_co_u32_e32 v8, vcc, s1, v12
	v_addc_co_u32_e32 v9, vcc, 0, v5, vcc
	s_movk_i32 s0, 0x23f
	v_mov_b32_e32 v5, 0
	v_cmp_lt_u32_e32 vcc, s0, v0
	v_mov_b32_e32 v6, 0
	v_cndmask_b32_e64 v14, 0, 1, vcc
	s_branch .LBB23_10
.LBB23_9:                               ;   in Loop: Header=BB23_10 Depth=1
	s_or_b64 exec, exec, s[0:1]
	s_add_i32 s5, s5, 1
	s_cmp_lt_i32 s5, s4
	s_cbranch_scc0 .LBB23_12
.LBB23_10:                              ; =>This Inner Loop Header: Depth=1
	v_add_u32_e32 v10, s5, v14
	v_cmp_gt_i32_e32 vcc, s4, v10
	s_and_saveexec_b64 s[0:1], vcc
	s_cbranch_execz .LBB23_9
; %bb.11:                               ;   in Loop: Header=BB23_10 Depth=1
	v_ashrrev_i32_e32 v11, 31, v10
	v_lshlrev_b64 v[10:11], 2, v[10:11]
	v_mov_b32_e32 v15, s9
	v_add_co_u32_e32 v10, vcc, s8, v10
	v_addc_co_u32_e32 v11, vcc, v15, v11, vcc
	global_load_dword v10, v[10:11], off
	v_mov_b32_e32 v17, s3
	global_load_dwordx2 v[15:16], v[8:9], off
	s_waitcnt vmcnt(1)
	v_subrev_u32_e32 v10, s14, v10
	v_mad_u64_u32 v[10:11], s[10:11], v10, 24, v[7:8]
	v_ashrrev_i32_e32 v11, 31, v10
	v_lshlrev_b64 v[10:11], 3, v[10:11]
	v_add_co_u32_e32 v10, vcc, s2, v10
	v_addc_co_u32_e32 v11, vcc, v17, v11, vcc
	global_load_dwordx2 v[10:11], v[10:11], off
	v_add_co_u32_e32 v8, vcc, 0x1200, v8
	v_addc_co_u32_e32 v9, vcc, 0, v9, vcc
	s_waitcnt vmcnt(0)
	v_fma_f64 v[5:6], v[15:16], v[10:11], v[5:6]
	s_branch .LBB23_9
.LBB23_12:
	s_and_b64 vcc, exec, s[16:17]
	ds_write_b64 v12, v[5:6]
	s_waitcnt lgkmcnt(0)
	s_barrier
	s_cbranch_vccz .LBB23_24
; %bb.13:
	v_cmp_gt_u16_e32 vcc, 8, v13
	s_and_saveexec_b64 s[0:1], vcc
	s_cbranch_execz .LBB23_15
; %bb.14:
	ds_read2_b64 v[7:10], v12 offset1:16
	s_waitcnt lgkmcnt(0)
	v_add_f64 v[7:8], v[9:10], v[7:8]
	ds_write_b64 v12, v[7:8]
.LBB23_15:
	s_or_b64 exec, exec, s[0:1]
	s_waitcnt lgkmcnt(0)
	s_barrier
	s_and_saveexec_b64 s[0:1], vcc
	s_cbranch_execz .LBB23_17
; %bb.16:
	ds_read2_b64 v[7:10], v12 offset1:8
	s_waitcnt lgkmcnt(0)
	v_add_f64 v[7:8], v[9:10], v[7:8]
	ds_write_b64 v12, v[7:8]
.LBB23_17:
	s_or_b64 exec, exec, s[0:1]
	v_cmp_gt_u16_e32 vcc, 4, v13
	s_waitcnt lgkmcnt(0)
	s_barrier
	s_and_saveexec_b64 s[0:1], vcc
	s_cbranch_execz .LBB23_19
; %bb.18:
	ds_read2_b64 v[7:10], v12 offset1:4
	s_waitcnt lgkmcnt(0)
	v_add_f64 v[7:8], v[9:10], v[7:8]
	ds_write_b64 v12, v[7:8]
.LBB23_19:
	s_or_b64 exec, exec, s[0:1]
	v_cmp_gt_u16_e32 vcc, 2, v13
	s_waitcnt lgkmcnt(0)
	s_barrier
	s_and_saveexec_b64 s[0:1], vcc
	s_cbranch_execz .LBB23_21
; %bb.20:
	ds_read2_b64 v[7:10], v12 offset1:2
	s_waitcnt lgkmcnt(0)
	v_add_f64 v[7:8], v[9:10], v[7:8]
	ds_write_b64 v12, v[7:8]
.LBB23_21:
	s_or_b64 exec, exec, s[0:1]
	v_mov_b32_e32 v8, v6
	v_cmp_gt_u32_e32 vcc, 24, v0
	v_mov_b32_e32 v7, v5
	s_waitcnt lgkmcnt(0)
	s_barrier
	s_and_saveexec_b64 s[0:1], vcc
	s_cbranch_execz .LBB23_23
; %bb.22:
	s_movk_i32 s2, 0xb8
	v_mad_u32_u24 v7, v0, s2, v12
	ds_read_b128 v[7:10], v7
	s_waitcnt lgkmcnt(0)
	v_add_f64 v[7:8], v[7:8], v[9:10]
.LBB23_23:
	s_or_b64 exec, exec, s[0:1]
	s_branch .LBB23_36
.LBB23_24:
                                        ; implicit-def: $vgpr7_vgpr8
	s_cbranch_execz .LBB23_36
; %bb.25:
	s_movk_i32 s0, 0xc0
	v_cmp_gt_u32_e32 vcc, s0, v0
	s_and_saveexec_b64 s[0:1], vcc
	s_cbranch_execz .LBB23_27
; %bb.26:
	ds_read2st64_b64 v[7:10], v12 offset1:6
	s_waitcnt lgkmcnt(0)
	v_add_f64 v[7:8], v[9:10], v[7:8]
	ds_write_b64 v12, v[7:8]
.LBB23_27:
	s_or_b64 exec, exec, s[0:1]
	s_waitcnt lgkmcnt(0)
	s_barrier
	s_and_saveexec_b64 s[0:1], vcc
	s_cbranch_execz .LBB23_29
; %bb.28:
	ds_read2st64_b64 v[7:10], v12 offset1:3
	s_waitcnt lgkmcnt(0)
	v_add_f64 v[7:8], v[9:10], v[7:8]
	ds_write_b64 v12, v[7:8]
.LBB23_29:
	s_or_b64 exec, exec, s[0:1]
	s_movk_i32 s0, 0x60
	v_cmp_gt_u32_e32 vcc, s0, v0
	s_waitcnt lgkmcnt(0)
	s_barrier
	s_and_saveexec_b64 s[0:1], vcc
	s_cbranch_execz .LBB23_31
; %bb.30:
	ds_read2_b64 v[7:10], v12 offset1:96
	s_waitcnt lgkmcnt(0)
	v_add_f64 v[7:8], v[9:10], v[7:8]
	ds_write_b64 v12, v[7:8]
.LBB23_31:
	s_or_b64 exec, exec, s[0:1]
	v_cmp_gt_u32_e32 vcc, 48, v0
	s_waitcnt lgkmcnt(0)
	s_barrier
	s_and_saveexec_b64 s[0:1], vcc
	s_cbranch_execz .LBB23_33
; %bb.32:
	ds_read2_b64 v[7:10], v12 offset1:48
	s_waitcnt lgkmcnt(0)
	v_add_f64 v[7:8], v[9:10], v[7:8]
	ds_write_b64 v12, v[7:8]
.LBB23_33:
	s_or_b64 exec, exec, s[0:1]
	v_cmp_gt_u32_e32 vcc, 24, v0
	s_waitcnt lgkmcnt(0)
	s_and_saveexec_b64 s[0:1], vcc
	s_cbranch_execz .LBB23_35
; %bb.34:
	ds_read2_b64 v[5:8], v12 offset1:24
	s_waitcnt lgkmcnt(0)
	v_add_f64 v[5:6], v[5:6], v[7:8]
.LBB23_35:
	s_or_b64 exec, exec, s[0:1]
	v_mov_b32_e32 v8, v6
	v_mov_b32_e32 v7, v5
.LBB23_36:
	v_cmp_gt_u32_e32 vcc, 24, v0
	s_and_b64 exec, exec, vcc
	s_cbranch_execz .LBB23_41
; %bb.37:
	v_cmp_eq_f64_e32 vcc, 0, v[1:2]
	v_mul_f64 v[3:4], v[3:4], v[7:8]
	s_and_saveexec_b64 s[0:1], vcc
	s_xor_b64 s[0:1], exec, s[0:1]
	s_cbranch_execz .LBB23_39
; %bb.38:
	v_mad_u64_u32 v[0:1], s[2:3], s6, 24, v[0:1]
	v_mov_b32_e32 v1, 0
	v_mov_b32_e32 v2, s13
	v_lshlrev_b64 v[0:1], 3, v[0:1]
	v_add_co_u32_e32 v0, vcc, s12, v0
	v_addc_co_u32_e32 v1, vcc, v2, v1, vcc
	global_store_dwordx2 v[0:1], v[3:4], off
                                        ; implicit-def: $vgpr0
                                        ; implicit-def: $vgpr1_vgpr2
                                        ; implicit-def: $vgpr3_vgpr4
.LBB23_39:
	s_andn2_saveexec_b64 s[0:1], s[0:1]
	s_cbranch_execz .LBB23_41
; %bb.40:
	v_mad_u64_u32 v[5:6], s[0:1], s6, 24, v[0:1]
	v_mov_b32_e32 v6, 0
	v_mov_b32_e32 v0, s13
	v_lshlrev_b64 v[5:6], 3, v[5:6]
	v_add_co_u32_e32 v5, vcc, s12, v5
	v_addc_co_u32_e32 v6, vcc, v0, v6, vcc
	global_load_dwordx2 v[7:8], v[5:6], off
	s_waitcnt vmcnt(0)
	v_fma_f64 v[0:1], v[1:2], v[7:8], v[3:4]
	global_store_dwordx2 v[5:6], v[0:1], off
.LBB23_41:
	s_endpgm
	.section	.rodata,"a",@progbits
	.p2align	6, 0x0
	.amdhsa_kernel _ZN9rocsparseL20bsrxmvn_17_32_kernelILj24EdiidddEEvT2_20rocsparse_direction_NS_24const_host_device_scalarIT0_EES1_PKS1_PKT1_SA_S7_PKT3_PKT4_S5_PT5_21rocsparse_index_base_b
		.amdhsa_group_segment_fixed_size 4608
		.amdhsa_private_segment_fixed_size 0
		.amdhsa_kernarg_size 96
		.amdhsa_user_sgpr_count 6
		.amdhsa_user_sgpr_private_segment_buffer 1
		.amdhsa_user_sgpr_dispatch_ptr 0
		.amdhsa_user_sgpr_queue_ptr 0
		.amdhsa_user_sgpr_kernarg_segment_ptr 1
		.amdhsa_user_sgpr_dispatch_id 0
		.amdhsa_user_sgpr_flat_scratch_init 0
		.amdhsa_user_sgpr_private_segment_size 0
		.amdhsa_uses_dynamic_stack 0
		.amdhsa_system_sgpr_private_segment_wavefront_offset 0
		.amdhsa_system_sgpr_workgroup_id_x 1
		.amdhsa_system_sgpr_workgroup_id_y 0
		.amdhsa_system_sgpr_workgroup_id_z 0
		.amdhsa_system_sgpr_workgroup_info 0
		.amdhsa_system_vgpr_workitem_id 0
		.amdhsa_next_free_vgpr 25
		.amdhsa_next_free_sgpr 61
		.amdhsa_reserve_vcc 1
		.amdhsa_reserve_flat_scratch 0
		.amdhsa_float_round_mode_32 0
		.amdhsa_float_round_mode_16_64 0
		.amdhsa_float_denorm_mode_32 3
		.amdhsa_float_denorm_mode_16_64 3
		.amdhsa_dx10_clamp 1
		.amdhsa_ieee_mode 1
		.amdhsa_fp16_overflow 0
		.amdhsa_exception_fp_ieee_invalid_op 0
		.amdhsa_exception_fp_denorm_src 0
		.amdhsa_exception_fp_ieee_div_zero 0
		.amdhsa_exception_fp_ieee_overflow 0
		.amdhsa_exception_fp_ieee_underflow 0
		.amdhsa_exception_fp_ieee_inexact 0
		.amdhsa_exception_int_div_zero 0
	.end_amdhsa_kernel
	.section	.text._ZN9rocsparseL20bsrxmvn_17_32_kernelILj24EdiidddEEvT2_20rocsparse_direction_NS_24const_host_device_scalarIT0_EES1_PKS1_PKT1_SA_S7_PKT3_PKT4_S5_PT5_21rocsparse_index_base_b,"axG",@progbits,_ZN9rocsparseL20bsrxmvn_17_32_kernelILj24EdiidddEEvT2_20rocsparse_direction_NS_24const_host_device_scalarIT0_EES1_PKS1_PKT1_SA_S7_PKT3_PKT4_S5_PT5_21rocsparse_index_base_b,comdat
.Lfunc_end23:
	.size	_ZN9rocsparseL20bsrxmvn_17_32_kernelILj24EdiidddEEvT2_20rocsparse_direction_NS_24const_host_device_scalarIT0_EES1_PKS1_PKT1_SA_S7_PKT3_PKT4_S5_PT5_21rocsparse_index_base_b, .Lfunc_end23-_ZN9rocsparseL20bsrxmvn_17_32_kernelILj24EdiidddEEvT2_20rocsparse_direction_NS_24const_host_device_scalarIT0_EES1_PKS1_PKT1_SA_S7_PKT3_PKT4_S5_PT5_21rocsparse_index_base_b
                                        ; -- End function
	.set _ZN9rocsparseL20bsrxmvn_17_32_kernelILj24EdiidddEEvT2_20rocsparse_direction_NS_24const_host_device_scalarIT0_EES1_PKS1_PKT1_SA_S7_PKT3_PKT4_S5_PT5_21rocsparse_index_base_b.num_vgpr, 18
	.set _ZN9rocsparseL20bsrxmvn_17_32_kernelILj24EdiidddEEvT2_20rocsparse_direction_NS_24const_host_device_scalarIT0_EES1_PKS1_PKT1_SA_S7_PKT3_PKT4_S5_PT5_21rocsparse_index_base_b.num_agpr, 0
	.set _ZN9rocsparseL20bsrxmvn_17_32_kernelILj24EdiidddEEvT2_20rocsparse_direction_NS_24const_host_device_scalarIT0_EES1_PKS1_PKT1_SA_S7_PKT3_PKT4_S5_PT5_21rocsparse_index_base_b.numbered_sgpr, 18
	.set _ZN9rocsparseL20bsrxmvn_17_32_kernelILj24EdiidddEEvT2_20rocsparse_direction_NS_24const_host_device_scalarIT0_EES1_PKS1_PKT1_SA_S7_PKT3_PKT4_S5_PT5_21rocsparse_index_base_b.num_named_barrier, 0
	.set _ZN9rocsparseL20bsrxmvn_17_32_kernelILj24EdiidddEEvT2_20rocsparse_direction_NS_24const_host_device_scalarIT0_EES1_PKS1_PKT1_SA_S7_PKT3_PKT4_S5_PT5_21rocsparse_index_base_b.private_seg_size, 0
	.set _ZN9rocsparseL20bsrxmvn_17_32_kernelILj24EdiidddEEvT2_20rocsparse_direction_NS_24const_host_device_scalarIT0_EES1_PKS1_PKT1_SA_S7_PKT3_PKT4_S5_PT5_21rocsparse_index_base_b.uses_vcc, 1
	.set _ZN9rocsparseL20bsrxmvn_17_32_kernelILj24EdiidddEEvT2_20rocsparse_direction_NS_24const_host_device_scalarIT0_EES1_PKS1_PKT1_SA_S7_PKT3_PKT4_S5_PT5_21rocsparse_index_base_b.uses_flat_scratch, 0
	.set _ZN9rocsparseL20bsrxmvn_17_32_kernelILj24EdiidddEEvT2_20rocsparse_direction_NS_24const_host_device_scalarIT0_EES1_PKS1_PKT1_SA_S7_PKT3_PKT4_S5_PT5_21rocsparse_index_base_b.has_dyn_sized_stack, 0
	.set _ZN9rocsparseL20bsrxmvn_17_32_kernelILj24EdiidddEEvT2_20rocsparse_direction_NS_24const_host_device_scalarIT0_EES1_PKS1_PKT1_SA_S7_PKT3_PKT4_S5_PT5_21rocsparse_index_base_b.has_recursion, 0
	.set _ZN9rocsparseL20bsrxmvn_17_32_kernelILj24EdiidddEEvT2_20rocsparse_direction_NS_24const_host_device_scalarIT0_EES1_PKS1_PKT1_SA_S7_PKT3_PKT4_S5_PT5_21rocsparse_index_base_b.has_indirect_call, 0
	.section	.AMDGPU.csdata,"",@progbits
; Kernel info:
; codeLenInByte = 1312
; TotalNumSgprs: 22
; NumVgprs: 18
; ScratchSize: 0
; MemoryBound: 0
; FloatMode: 240
; IeeeMode: 1
; LDSByteSize: 4608 bytes/workgroup (compile time only)
; SGPRBlocks: 8
; VGPRBlocks: 6
; NumSGPRsForWavesPerEU: 65
; NumVGPRsForWavesPerEU: 25
; Occupancy: 9
; WaveLimiterHint : 1
; COMPUTE_PGM_RSRC2:SCRATCH_EN: 0
; COMPUTE_PGM_RSRC2:USER_SGPR: 6
; COMPUTE_PGM_RSRC2:TRAP_HANDLER: 0
; COMPUTE_PGM_RSRC2:TGID_X_EN: 1
; COMPUTE_PGM_RSRC2:TGID_Y_EN: 0
; COMPUTE_PGM_RSRC2:TGID_Z_EN: 0
; COMPUTE_PGM_RSRC2:TIDIG_COMP_CNT: 0
	.section	.text._ZN9rocsparseL20bsrxmvn_17_32_kernelILj25EdiidddEEvT2_20rocsparse_direction_NS_24const_host_device_scalarIT0_EES1_PKS1_PKT1_SA_S7_PKT3_PKT4_S5_PT5_21rocsparse_index_base_b,"axG",@progbits,_ZN9rocsparseL20bsrxmvn_17_32_kernelILj25EdiidddEEvT2_20rocsparse_direction_NS_24const_host_device_scalarIT0_EES1_PKS1_PKT1_SA_S7_PKT3_PKT4_S5_PT5_21rocsparse_index_base_b,comdat
	.globl	_ZN9rocsparseL20bsrxmvn_17_32_kernelILj25EdiidddEEvT2_20rocsparse_direction_NS_24const_host_device_scalarIT0_EES1_PKS1_PKT1_SA_S7_PKT3_PKT4_S5_PT5_21rocsparse_index_base_b ; -- Begin function _ZN9rocsparseL20bsrxmvn_17_32_kernelILj25EdiidddEEvT2_20rocsparse_direction_NS_24const_host_device_scalarIT0_EES1_PKS1_PKT1_SA_S7_PKT3_PKT4_S5_PT5_21rocsparse_index_base_b
	.p2align	8
	.type	_ZN9rocsparseL20bsrxmvn_17_32_kernelILj25EdiidddEEvT2_20rocsparse_direction_NS_24const_host_device_scalarIT0_EES1_PKS1_PKT1_SA_S7_PKT3_PKT4_S5_PT5_21rocsparse_index_base_b,@function
_ZN9rocsparseL20bsrxmvn_17_32_kernelILj25EdiidddEEvT2_20rocsparse_direction_NS_24const_host_device_scalarIT0_EES1_PKS1_PKT1_SA_S7_PKT3_PKT4_S5_PT5_21rocsparse_index_base_b: ; @_ZN9rocsparseL20bsrxmvn_17_32_kernelILj25EdiidddEEvT2_20rocsparse_direction_NS_24const_host_device_scalarIT0_EES1_PKS1_PKT1_SA_S7_PKT3_PKT4_S5_PT5_21rocsparse_index_base_b
; %bb.0:
	s_load_dwordx2 s[14:15], s[4:5], 0x58
	s_load_dwordx2 s[8:9], s[4:5], 0x8
	;; [unrolled: 1-line block ×3, first 2 shown]
	s_waitcnt lgkmcnt(0)
	s_bitcmp1_b32 s15, 0
	s_cselect_b64 s[10:11], -1, 0
	v_mov_b32_e32 v3, s8
	s_xor_b64 s[2:3], s[10:11], -1
	s_and_b64 vcc, exec, s[10:11]
	v_mov_b32_e32 v4, s9
	s_cbranch_vccnz .LBB24_2
; %bb.1:
	v_mov_b32_e32 v1, s8
	v_mov_b32_e32 v2, s9
	flat_load_dwordx2 v[3:4], v[1:2]
.LBB24_2:
	v_mov_b32_e32 v2, s1
	s_andn2_b64 vcc, exec, s[2:3]
	v_mov_b32_e32 v1, s0
	s_cbranch_vccnz .LBB24_4
; %bb.3:
	v_mov_b32_e32 v2, s1
	v_mov_b32_e32 v1, s0
	flat_load_dwordx2 v[1:2], v[1:2]
.LBB24_4:
	s_waitcnt vmcnt(0) lgkmcnt(0)
	v_cmp_neq_f64_e32 vcc, 0, v[3:4]
	v_cmp_neq_f64_e64 s[0:1], 1.0, v[1:2]
	s_or_b64 s[0:1], vcc, s[0:1]
	s_and_saveexec_b64 s[2:3], s[0:1]
	s_cbranch_execz .LBB24_41
; %bb.5:
	s_load_dwordx4 s[0:3], s[4:5], 0x18
	s_load_dwordx2 s[8:9], s[4:5], 0x28
	s_waitcnt lgkmcnt(0)
	s_cmp_eq_u64 s[0:1], 0
	s_cbranch_scc1 .LBB24_7
; %bb.6:
	s_ashr_i32 s7, s6, 31
	s_lshl_b64 s[6:7], s[6:7], 2
	s_add_u32 s0, s0, s6
	s_addc_u32 s1, s1, s7
	s_load_dword s0, s[0:1], 0x0
	s_waitcnt lgkmcnt(0)
	s_sub_i32 s6, s0, s14
.LBB24_7:
	s_load_dword s0, s[4:5], 0x4
	s_load_dwordx2 s[12:13], s[4:5], 0x50
	v_mul_u32_u24_e32 v7, 0xa3e, v0
	v_mov_b32_e32 v5, 25
	v_mul_lo_u16_sdwa v5, v7, v5 dst_sel:DWORD dst_unused:UNUSED_PAD src0_sel:WORD_1 src1_sel:DWORD
	s_waitcnt lgkmcnt(0)
	s_cmp_eq_u32 s0, 1
	s_cselect_b64 vcc, -1, 0
	s_cmp_lg_u32 s0, 1
	s_cselect_b64 s[16:17], -1, 0
	s_ashr_i32 s7, s6, 31
	s_lshl_b64 s[0:1], s[6:7], 2
	s_add_u32 s2, s2, s0
	s_addc_u32 s3, s3, s1
	s_load_dword s7, s[2:3], 0x0
	s_add_u32 s2, s2, 4
	s_addc_u32 s3, s3, 0
	s_add_u32 s0, s8, s0
	s_addc_u32 s1, s9, s1
	s_cmp_eq_u64 s[8:9], 0
	s_cselect_b32 s1, s3, s1
	s_cselect_b32 s0, s2, s0
	s_load_dword s0, s[0:1], 0x0
	v_sub_u16_e32 v13, v0, v5
	v_mov_b32_e32 v5, 0
	v_mov_b32_e32 v6, 0
	v_lshlrev_b32_e32 v12, 3, v0
	s_waitcnt lgkmcnt(0)
	s_cmp_ge_i32 s7, s0
	s_cbranch_scc1 .LBB24_12
; %bb.8:
	s_load_dwordx4 s[8:11], s[4:5], 0x30
	s_load_dwordx2 s[2:3], s[4:5], 0x40
	s_sub_i32 s4, s0, s14
	s_mov_b32 s0, 0xffff
	s_movk_i32 s1, 0x271
	v_and_b32_sdwa v5, s0, v7 dst_sel:DWORD dst_unused:UNUSED_PAD src0_sel:DWORD src1_sel:WORD_1
	v_subrev_u32_e32 v6, 25, v5
	v_cmp_gt_u32_e64 s[0:1], s1, v0
	s_sub_i32 s5, s7, s14
	v_cndmask_b32_e64 v5, v6, v5, s[0:1]
	s_mul_i32 s1, s5, 0x1388
	s_mul_hi_i32 s0, s5, 0x1388
	s_waitcnt lgkmcnt(0)
	s_add_u32 s1, s10, s1
	s_addc_u32 s0, s11, s0
	v_cndmask_b32_e32 v7, v13, v5, vcc
	v_mov_b32_e32 v5, s0
	v_add_co_u32_e32 v8, vcc, s1, v12
	v_addc_co_u32_e32 v9, vcc, 0, v5, vcc
	s_movk_i32 s0, 0x270
	v_mov_b32_e32 v5, 0
	v_cmp_lt_u32_e32 vcc, s0, v0
	v_mov_b32_e32 v6, 0
	v_cndmask_b32_e64 v14, 0, 1, vcc
	s_branch .LBB24_10
.LBB24_9:                               ;   in Loop: Header=BB24_10 Depth=1
	s_or_b64 exec, exec, s[0:1]
	s_add_i32 s5, s5, 1
	s_cmp_lt_i32 s5, s4
	s_cbranch_scc0 .LBB24_12
.LBB24_10:                              ; =>This Inner Loop Header: Depth=1
	v_add_u32_e32 v10, s5, v14
	v_cmp_gt_i32_e32 vcc, s4, v10
	s_and_saveexec_b64 s[0:1], vcc
	s_cbranch_execz .LBB24_9
; %bb.11:                               ;   in Loop: Header=BB24_10 Depth=1
	v_ashrrev_i32_e32 v11, 31, v10
	v_lshlrev_b64 v[10:11], 2, v[10:11]
	v_mov_b32_e32 v15, s9
	v_add_co_u32_e32 v10, vcc, s8, v10
	v_addc_co_u32_e32 v11, vcc, v15, v11, vcc
	global_load_dword v10, v[10:11], off
	v_mov_b32_e32 v17, s3
	global_load_dwordx2 v[15:16], v[8:9], off
	s_waitcnt vmcnt(1)
	v_subrev_u32_e32 v10, s14, v10
	v_mad_u64_u32 v[10:11], s[10:11], v10, 25, v[7:8]
	v_ashrrev_i32_e32 v11, 31, v10
	v_lshlrev_b64 v[10:11], 3, v[10:11]
	v_add_co_u32_e32 v10, vcc, s2, v10
	v_addc_co_u32_e32 v11, vcc, v17, v11, vcc
	global_load_dwordx2 v[10:11], v[10:11], off
	v_add_co_u32_e32 v8, vcc, 0x1388, v8
	v_addc_co_u32_e32 v9, vcc, 0, v9, vcc
	s_waitcnt vmcnt(0)
	v_fma_f64 v[5:6], v[15:16], v[10:11], v[5:6]
	s_branch .LBB24_9
.LBB24_12:
	s_and_b64 vcc, exec, s[16:17]
	ds_write_b64 v12, v[5:6]
	s_waitcnt lgkmcnt(0)
	s_barrier
	s_cbranch_vccz .LBB24_24
; %bb.13:
	v_cmp_gt_u16_e32 vcc, 9, v13
	s_and_saveexec_b64 s[0:1], vcc
	s_cbranch_execz .LBB24_15
; %bb.14:
	ds_read2_b64 v[7:10], v12 offset1:16
	s_waitcnt lgkmcnt(0)
	v_add_f64 v[7:8], v[9:10], v[7:8]
	ds_write_b64 v12, v[7:8]
.LBB24_15:
	s_or_b64 exec, exec, s[0:1]
	v_cmp_gt_u16_e32 vcc, 8, v13
	s_waitcnt lgkmcnt(0)
	s_barrier
	s_and_saveexec_b64 s[0:1], vcc
	s_cbranch_execz .LBB24_17
; %bb.16:
	ds_read2_b64 v[7:10], v12 offset1:8
	s_waitcnt lgkmcnt(0)
	v_add_f64 v[7:8], v[9:10], v[7:8]
	ds_write_b64 v12, v[7:8]
.LBB24_17:
	s_or_b64 exec, exec, s[0:1]
	v_cmp_gt_u16_e32 vcc, 4, v13
	s_waitcnt lgkmcnt(0)
	s_barrier
	;; [unrolled: 12-line block ×3, first 2 shown]
	s_and_saveexec_b64 s[0:1], vcc
	s_cbranch_execz .LBB24_21
; %bb.20:
	ds_read2_b64 v[7:10], v12 offset1:2
	s_waitcnt lgkmcnt(0)
	v_add_f64 v[7:8], v[9:10], v[7:8]
	ds_write_b64 v12, v[7:8]
.LBB24_21:
	s_or_b64 exec, exec, s[0:1]
	v_mov_b32_e32 v8, v6
	v_cmp_gt_u32_e32 vcc, 25, v0
	v_mov_b32_e32 v7, v5
	s_waitcnt lgkmcnt(0)
	s_barrier
	s_and_saveexec_b64 s[0:1], vcc
	s_cbranch_execz .LBB24_23
; %bb.22:
	s_movk_i32 s2, 0xc0
	v_mad_u32_u24 v7, v0, s2, v12
	ds_read2_b64 v[7:10], v7 offset1:1
	s_waitcnt lgkmcnt(0)
	v_add_f64 v[7:8], v[7:8], v[9:10]
.LBB24_23:
	s_or_b64 exec, exec, s[0:1]
	s_branch .LBB24_36
.LBB24_24:
                                        ; implicit-def: $vgpr7_vgpr8
	s_cbranch_execz .LBB24_36
; %bb.25:
	s_movk_i32 s0, 0xe1
	v_cmp_gt_u32_e32 vcc, s0, v0
	s_and_saveexec_b64 s[0:1], vcc
	s_cbranch_execz .LBB24_27
; %bb.26:
	ds_read_b64 v[7:8], v12 offset:3200
	ds_read_b64 v[9:10], v12
	s_waitcnt lgkmcnt(0)
	v_add_f64 v[7:8], v[7:8], v[9:10]
	ds_write_b64 v12, v[7:8]
.LBB24_27:
	s_or_b64 exec, exec, s[0:1]
	s_movk_i32 s0, 0xc8
	v_cmp_gt_u32_e32 vcc, s0, v0
	s_waitcnt lgkmcnt(0)
	s_barrier
	s_and_saveexec_b64 s[0:1], vcc
	s_cbranch_execz .LBB24_29
; %bb.28:
	ds_read2_b64 v[7:10], v12 offset1:200
	s_waitcnt lgkmcnt(0)
	v_add_f64 v[7:8], v[9:10], v[7:8]
	ds_write_b64 v12, v[7:8]
.LBB24_29:
	s_or_b64 exec, exec, s[0:1]
	s_movk_i32 s0, 0x64
	v_cmp_gt_u32_e32 vcc, s0, v0
	s_waitcnt lgkmcnt(0)
	s_barrier
	s_and_saveexec_b64 s[0:1], vcc
	s_cbranch_execz .LBB24_31
; %bb.30:
	ds_read2_b64 v[7:10], v12 offset1:100
	s_waitcnt lgkmcnt(0)
	v_add_f64 v[7:8], v[9:10], v[7:8]
	ds_write_b64 v12, v[7:8]
.LBB24_31:
	s_or_b64 exec, exec, s[0:1]
	v_cmp_gt_u32_e32 vcc, 50, v0
	s_waitcnt lgkmcnt(0)
	s_barrier
	s_and_saveexec_b64 s[0:1], vcc
	s_cbranch_execz .LBB24_33
; %bb.32:
	ds_read2_b64 v[7:10], v12 offset1:50
	s_waitcnt lgkmcnt(0)
	v_add_f64 v[7:8], v[9:10], v[7:8]
	ds_write_b64 v12, v[7:8]
.LBB24_33:
	s_or_b64 exec, exec, s[0:1]
	v_cmp_gt_u32_e32 vcc, 25, v0
	s_waitcnt lgkmcnt(0)
	s_and_saveexec_b64 s[0:1], vcc
	s_cbranch_execz .LBB24_35
; %bb.34:
	ds_read2_b64 v[5:8], v12 offset1:25
	s_waitcnt lgkmcnt(0)
	v_add_f64 v[5:6], v[5:6], v[7:8]
.LBB24_35:
	s_or_b64 exec, exec, s[0:1]
	v_mov_b32_e32 v8, v6
	v_mov_b32_e32 v7, v5
.LBB24_36:
	v_cmp_gt_u32_e32 vcc, 25, v0
	s_and_b64 exec, exec, vcc
	s_cbranch_execz .LBB24_41
; %bb.37:
	v_cmp_eq_f64_e32 vcc, 0, v[1:2]
	v_mul_f64 v[3:4], v[3:4], v[7:8]
	s_and_saveexec_b64 s[0:1], vcc
	s_xor_b64 s[0:1], exec, s[0:1]
	s_cbranch_execz .LBB24_39
; %bb.38:
	v_mad_u64_u32 v[0:1], s[2:3], s6, 25, v[0:1]
	v_mov_b32_e32 v1, 0
	v_mov_b32_e32 v2, s13
	v_lshlrev_b64 v[0:1], 3, v[0:1]
	v_add_co_u32_e32 v0, vcc, s12, v0
	v_addc_co_u32_e32 v1, vcc, v2, v1, vcc
	global_store_dwordx2 v[0:1], v[3:4], off
                                        ; implicit-def: $vgpr0
                                        ; implicit-def: $vgpr1_vgpr2
                                        ; implicit-def: $vgpr3_vgpr4
.LBB24_39:
	s_andn2_saveexec_b64 s[0:1], s[0:1]
	s_cbranch_execz .LBB24_41
; %bb.40:
	v_mad_u64_u32 v[5:6], s[0:1], s6, 25, v[0:1]
	v_mov_b32_e32 v6, 0
	v_mov_b32_e32 v0, s13
	v_lshlrev_b64 v[5:6], 3, v[5:6]
	v_add_co_u32_e32 v5, vcc, s12, v5
	v_addc_co_u32_e32 v6, vcc, v0, v6, vcc
	global_load_dwordx2 v[7:8], v[5:6], off
	s_waitcnt vmcnt(0)
	v_fma_f64 v[0:1], v[1:2], v[7:8], v[3:4]
	global_store_dwordx2 v[5:6], v[0:1], off
.LBB24_41:
	s_endpgm
	.section	.rodata,"a",@progbits
	.p2align	6, 0x0
	.amdhsa_kernel _ZN9rocsparseL20bsrxmvn_17_32_kernelILj25EdiidddEEvT2_20rocsparse_direction_NS_24const_host_device_scalarIT0_EES1_PKS1_PKT1_SA_S7_PKT3_PKT4_S5_PT5_21rocsparse_index_base_b
		.amdhsa_group_segment_fixed_size 5000
		.amdhsa_private_segment_fixed_size 0
		.amdhsa_kernarg_size 96
		.amdhsa_user_sgpr_count 6
		.amdhsa_user_sgpr_private_segment_buffer 1
		.amdhsa_user_sgpr_dispatch_ptr 0
		.amdhsa_user_sgpr_queue_ptr 0
		.amdhsa_user_sgpr_kernarg_segment_ptr 1
		.amdhsa_user_sgpr_dispatch_id 0
		.amdhsa_user_sgpr_flat_scratch_init 0
		.amdhsa_user_sgpr_private_segment_size 0
		.amdhsa_uses_dynamic_stack 0
		.amdhsa_system_sgpr_private_segment_wavefront_offset 0
		.amdhsa_system_sgpr_workgroup_id_x 1
		.amdhsa_system_sgpr_workgroup_id_y 0
		.amdhsa_system_sgpr_workgroup_id_z 0
		.amdhsa_system_sgpr_workgroup_info 0
		.amdhsa_system_vgpr_workitem_id 0
		.amdhsa_next_free_vgpr 18
		.amdhsa_next_free_sgpr 18
		.amdhsa_reserve_vcc 1
		.amdhsa_reserve_flat_scratch 0
		.amdhsa_float_round_mode_32 0
		.amdhsa_float_round_mode_16_64 0
		.amdhsa_float_denorm_mode_32 3
		.amdhsa_float_denorm_mode_16_64 3
		.amdhsa_dx10_clamp 1
		.amdhsa_ieee_mode 1
		.amdhsa_fp16_overflow 0
		.amdhsa_exception_fp_ieee_invalid_op 0
		.amdhsa_exception_fp_denorm_src 0
		.amdhsa_exception_fp_ieee_div_zero 0
		.amdhsa_exception_fp_ieee_overflow 0
		.amdhsa_exception_fp_ieee_underflow 0
		.amdhsa_exception_fp_ieee_inexact 0
		.amdhsa_exception_int_div_zero 0
	.end_amdhsa_kernel
	.section	.text._ZN9rocsparseL20bsrxmvn_17_32_kernelILj25EdiidddEEvT2_20rocsparse_direction_NS_24const_host_device_scalarIT0_EES1_PKS1_PKT1_SA_S7_PKT3_PKT4_S5_PT5_21rocsparse_index_base_b,"axG",@progbits,_ZN9rocsparseL20bsrxmvn_17_32_kernelILj25EdiidddEEvT2_20rocsparse_direction_NS_24const_host_device_scalarIT0_EES1_PKS1_PKT1_SA_S7_PKT3_PKT4_S5_PT5_21rocsparse_index_base_b,comdat
.Lfunc_end24:
	.size	_ZN9rocsparseL20bsrxmvn_17_32_kernelILj25EdiidddEEvT2_20rocsparse_direction_NS_24const_host_device_scalarIT0_EES1_PKS1_PKT1_SA_S7_PKT3_PKT4_S5_PT5_21rocsparse_index_base_b, .Lfunc_end24-_ZN9rocsparseL20bsrxmvn_17_32_kernelILj25EdiidddEEvT2_20rocsparse_direction_NS_24const_host_device_scalarIT0_EES1_PKS1_PKT1_SA_S7_PKT3_PKT4_S5_PT5_21rocsparse_index_base_b
                                        ; -- End function
	.set _ZN9rocsparseL20bsrxmvn_17_32_kernelILj25EdiidddEEvT2_20rocsparse_direction_NS_24const_host_device_scalarIT0_EES1_PKS1_PKT1_SA_S7_PKT3_PKT4_S5_PT5_21rocsparse_index_base_b.num_vgpr, 18
	.set _ZN9rocsparseL20bsrxmvn_17_32_kernelILj25EdiidddEEvT2_20rocsparse_direction_NS_24const_host_device_scalarIT0_EES1_PKS1_PKT1_SA_S7_PKT3_PKT4_S5_PT5_21rocsparse_index_base_b.num_agpr, 0
	.set _ZN9rocsparseL20bsrxmvn_17_32_kernelILj25EdiidddEEvT2_20rocsparse_direction_NS_24const_host_device_scalarIT0_EES1_PKS1_PKT1_SA_S7_PKT3_PKT4_S5_PT5_21rocsparse_index_base_b.numbered_sgpr, 18
	.set _ZN9rocsparseL20bsrxmvn_17_32_kernelILj25EdiidddEEvT2_20rocsparse_direction_NS_24const_host_device_scalarIT0_EES1_PKS1_PKT1_SA_S7_PKT3_PKT4_S5_PT5_21rocsparse_index_base_b.num_named_barrier, 0
	.set _ZN9rocsparseL20bsrxmvn_17_32_kernelILj25EdiidddEEvT2_20rocsparse_direction_NS_24const_host_device_scalarIT0_EES1_PKS1_PKT1_SA_S7_PKT3_PKT4_S5_PT5_21rocsparse_index_base_b.private_seg_size, 0
	.set _ZN9rocsparseL20bsrxmvn_17_32_kernelILj25EdiidddEEvT2_20rocsparse_direction_NS_24const_host_device_scalarIT0_EES1_PKS1_PKT1_SA_S7_PKT3_PKT4_S5_PT5_21rocsparse_index_base_b.uses_vcc, 1
	.set _ZN9rocsparseL20bsrxmvn_17_32_kernelILj25EdiidddEEvT2_20rocsparse_direction_NS_24const_host_device_scalarIT0_EES1_PKS1_PKT1_SA_S7_PKT3_PKT4_S5_PT5_21rocsparse_index_base_b.uses_flat_scratch, 0
	.set _ZN9rocsparseL20bsrxmvn_17_32_kernelILj25EdiidddEEvT2_20rocsparse_direction_NS_24const_host_device_scalarIT0_EES1_PKS1_PKT1_SA_S7_PKT3_PKT4_S5_PT5_21rocsparse_index_base_b.has_dyn_sized_stack, 0
	.set _ZN9rocsparseL20bsrxmvn_17_32_kernelILj25EdiidddEEvT2_20rocsparse_direction_NS_24const_host_device_scalarIT0_EES1_PKS1_PKT1_SA_S7_PKT3_PKT4_S5_PT5_21rocsparse_index_base_b.has_recursion, 0
	.set _ZN9rocsparseL20bsrxmvn_17_32_kernelILj25EdiidddEEvT2_20rocsparse_direction_NS_24const_host_device_scalarIT0_EES1_PKS1_PKT1_SA_S7_PKT3_PKT4_S5_PT5_21rocsparse_index_base_b.has_indirect_call, 0
	.section	.AMDGPU.csdata,"",@progbits
; Kernel info:
; codeLenInByte = 1332
; TotalNumSgprs: 22
; NumVgprs: 18
; ScratchSize: 0
; MemoryBound: 0
; FloatMode: 240
; IeeeMode: 1
; LDSByteSize: 5000 bytes/workgroup (compile time only)
; SGPRBlocks: 2
; VGPRBlocks: 4
; NumSGPRsForWavesPerEU: 22
; NumVGPRsForWavesPerEU: 18
; Occupancy: 10
; WaveLimiterHint : 1
; COMPUTE_PGM_RSRC2:SCRATCH_EN: 0
; COMPUTE_PGM_RSRC2:USER_SGPR: 6
; COMPUTE_PGM_RSRC2:TRAP_HANDLER: 0
; COMPUTE_PGM_RSRC2:TGID_X_EN: 1
; COMPUTE_PGM_RSRC2:TGID_Y_EN: 0
; COMPUTE_PGM_RSRC2:TGID_Z_EN: 0
; COMPUTE_PGM_RSRC2:TIDIG_COMP_CNT: 0
	.section	.text._ZN9rocsparseL20bsrxmvn_17_32_kernelILj26EdiidddEEvT2_20rocsparse_direction_NS_24const_host_device_scalarIT0_EES1_PKS1_PKT1_SA_S7_PKT3_PKT4_S5_PT5_21rocsparse_index_base_b,"axG",@progbits,_ZN9rocsparseL20bsrxmvn_17_32_kernelILj26EdiidddEEvT2_20rocsparse_direction_NS_24const_host_device_scalarIT0_EES1_PKS1_PKT1_SA_S7_PKT3_PKT4_S5_PT5_21rocsparse_index_base_b,comdat
	.globl	_ZN9rocsparseL20bsrxmvn_17_32_kernelILj26EdiidddEEvT2_20rocsparse_direction_NS_24const_host_device_scalarIT0_EES1_PKS1_PKT1_SA_S7_PKT3_PKT4_S5_PT5_21rocsparse_index_base_b ; -- Begin function _ZN9rocsparseL20bsrxmvn_17_32_kernelILj26EdiidddEEvT2_20rocsparse_direction_NS_24const_host_device_scalarIT0_EES1_PKS1_PKT1_SA_S7_PKT3_PKT4_S5_PT5_21rocsparse_index_base_b
	.p2align	8
	.type	_ZN9rocsparseL20bsrxmvn_17_32_kernelILj26EdiidddEEvT2_20rocsparse_direction_NS_24const_host_device_scalarIT0_EES1_PKS1_PKT1_SA_S7_PKT3_PKT4_S5_PT5_21rocsparse_index_base_b,@function
_ZN9rocsparseL20bsrxmvn_17_32_kernelILj26EdiidddEEvT2_20rocsparse_direction_NS_24const_host_device_scalarIT0_EES1_PKS1_PKT1_SA_S7_PKT3_PKT4_S5_PT5_21rocsparse_index_base_b: ; @_ZN9rocsparseL20bsrxmvn_17_32_kernelILj26EdiidddEEvT2_20rocsparse_direction_NS_24const_host_device_scalarIT0_EES1_PKS1_PKT1_SA_S7_PKT3_PKT4_S5_PT5_21rocsparse_index_base_b
; %bb.0:
	s_load_dwordx2 s[14:15], s[4:5], 0x58
	s_load_dwordx2 s[8:9], s[4:5], 0x8
	;; [unrolled: 1-line block ×3, first 2 shown]
	s_waitcnt lgkmcnt(0)
	s_bitcmp1_b32 s15, 0
	s_cselect_b64 s[10:11], -1, 0
	v_mov_b32_e32 v3, s8
	s_xor_b64 s[2:3], s[10:11], -1
	s_and_b64 vcc, exec, s[10:11]
	v_mov_b32_e32 v4, s9
	s_cbranch_vccnz .LBB25_2
; %bb.1:
	v_mov_b32_e32 v1, s8
	v_mov_b32_e32 v2, s9
	flat_load_dwordx2 v[3:4], v[1:2]
.LBB25_2:
	v_mov_b32_e32 v2, s1
	s_andn2_b64 vcc, exec, s[2:3]
	v_mov_b32_e32 v1, s0
	s_cbranch_vccnz .LBB25_4
; %bb.3:
	v_mov_b32_e32 v2, s1
	v_mov_b32_e32 v1, s0
	flat_load_dwordx2 v[1:2], v[1:2]
.LBB25_4:
	s_waitcnt vmcnt(0) lgkmcnt(0)
	v_cmp_neq_f64_e32 vcc, 0, v[3:4]
	v_cmp_neq_f64_e64 s[0:1], 1.0, v[1:2]
	s_or_b64 s[0:1], vcc, s[0:1]
	s_and_saveexec_b64 s[2:3], s[0:1]
	s_cbranch_execz .LBB25_41
; %bb.5:
	s_load_dwordx4 s[0:3], s[4:5], 0x18
	s_load_dwordx2 s[8:9], s[4:5], 0x28
	s_waitcnt lgkmcnt(0)
	s_cmp_eq_u64 s[0:1], 0
	s_cbranch_scc1 .LBB25_7
; %bb.6:
	s_ashr_i32 s7, s6, 31
	s_lshl_b64 s[6:7], s[6:7], 2
	s_add_u32 s0, s0, s6
	s_addc_u32 s1, s1, s7
	s_load_dword s0, s[0:1], 0x0
	s_waitcnt lgkmcnt(0)
	s_sub_i32 s6, s0, s14
.LBB25_7:
	s_load_dword s0, s[4:5], 0x4
	s_load_dwordx2 s[12:13], s[4:5], 0x50
	v_mul_u32_u24_e32 v7, 0x9d9, v0
	v_mov_b32_e32 v5, 26
	v_mul_lo_u16_sdwa v5, v7, v5 dst_sel:DWORD dst_unused:UNUSED_PAD src0_sel:WORD_1 src1_sel:DWORD
	s_waitcnt lgkmcnt(0)
	s_cmp_eq_u32 s0, 1
	s_cselect_b64 vcc, -1, 0
	s_cmp_lg_u32 s0, 1
	s_cselect_b64 s[16:17], -1, 0
	s_ashr_i32 s7, s6, 31
	s_lshl_b64 s[0:1], s[6:7], 2
	s_add_u32 s2, s2, s0
	s_addc_u32 s3, s3, s1
	s_load_dword s7, s[2:3], 0x0
	s_add_u32 s2, s2, 4
	s_addc_u32 s3, s3, 0
	s_add_u32 s0, s8, s0
	s_addc_u32 s1, s9, s1
	s_cmp_eq_u64 s[8:9], 0
	s_cselect_b32 s1, s3, s1
	s_cselect_b32 s0, s2, s0
	s_load_dword s0, s[0:1], 0x0
	v_sub_u16_e32 v13, v0, v5
	v_mov_b32_e32 v5, 0
	v_mov_b32_e32 v6, 0
	v_lshlrev_b32_e32 v12, 3, v0
	s_waitcnt lgkmcnt(0)
	s_cmp_ge_i32 s7, s0
	s_cbranch_scc1 .LBB25_12
; %bb.8:
	s_load_dwordx4 s[8:11], s[4:5], 0x30
	s_load_dwordx2 s[2:3], s[4:5], 0x40
	s_sub_i32 s4, s0, s14
	s_mov_b32 s0, 0xffff
	s_movk_i32 s1, 0x2a4
	v_and_b32_sdwa v5, s0, v7 dst_sel:DWORD dst_unused:UNUSED_PAD src0_sel:DWORD src1_sel:WORD_1
	v_subrev_u32_e32 v6, 26, v5
	v_cmp_gt_u32_e64 s[0:1], s1, v0
	s_sub_i32 s5, s7, s14
	v_cndmask_b32_e64 v5, v6, v5, s[0:1]
	s_mul_i32 s1, s5, 0x1520
	s_mul_hi_i32 s0, s5, 0x1520
	s_waitcnt lgkmcnt(0)
	s_add_u32 s1, s10, s1
	s_addc_u32 s0, s11, s0
	v_cndmask_b32_e32 v7, v13, v5, vcc
	v_mov_b32_e32 v5, s0
	v_add_co_u32_e32 v8, vcc, s1, v12
	v_addc_co_u32_e32 v9, vcc, 0, v5, vcc
	s_movk_i32 s0, 0x2a3
	v_mov_b32_e32 v5, 0
	v_cmp_lt_u32_e32 vcc, s0, v0
	v_mov_b32_e32 v6, 0
	v_cndmask_b32_e64 v14, 0, 1, vcc
	s_branch .LBB25_10
.LBB25_9:                               ;   in Loop: Header=BB25_10 Depth=1
	s_or_b64 exec, exec, s[0:1]
	s_add_i32 s5, s5, 1
	s_cmp_lt_i32 s5, s4
	s_cbranch_scc0 .LBB25_12
.LBB25_10:                              ; =>This Inner Loop Header: Depth=1
	v_add_u32_e32 v10, s5, v14
	v_cmp_gt_i32_e32 vcc, s4, v10
	s_and_saveexec_b64 s[0:1], vcc
	s_cbranch_execz .LBB25_9
; %bb.11:                               ;   in Loop: Header=BB25_10 Depth=1
	v_ashrrev_i32_e32 v11, 31, v10
	v_lshlrev_b64 v[10:11], 2, v[10:11]
	v_mov_b32_e32 v15, s9
	v_add_co_u32_e32 v10, vcc, s8, v10
	v_addc_co_u32_e32 v11, vcc, v15, v11, vcc
	global_load_dword v10, v[10:11], off
	v_mov_b32_e32 v17, s3
	global_load_dwordx2 v[15:16], v[8:9], off
	s_waitcnt vmcnt(1)
	v_subrev_u32_e32 v10, s14, v10
	v_mad_u64_u32 v[10:11], s[10:11], v10, 26, v[7:8]
	v_ashrrev_i32_e32 v11, 31, v10
	v_lshlrev_b64 v[10:11], 3, v[10:11]
	v_add_co_u32_e32 v10, vcc, s2, v10
	v_addc_co_u32_e32 v11, vcc, v17, v11, vcc
	global_load_dwordx2 v[10:11], v[10:11], off
	v_add_co_u32_e32 v8, vcc, 0x1520, v8
	v_addc_co_u32_e32 v9, vcc, 0, v9, vcc
	s_waitcnt vmcnt(0)
	v_fma_f64 v[5:6], v[15:16], v[10:11], v[5:6]
	s_branch .LBB25_9
.LBB25_12:
	s_and_b64 vcc, exec, s[16:17]
	ds_write_b64 v12, v[5:6]
	s_waitcnt lgkmcnt(0)
	s_barrier
	s_cbranch_vccz .LBB25_24
; %bb.13:
	v_cmp_gt_u16_e32 vcc, 10, v13
	s_and_saveexec_b64 s[0:1], vcc
	s_cbranch_execz .LBB25_15
; %bb.14:
	ds_read2_b64 v[7:10], v12 offset1:16
	s_waitcnt lgkmcnt(0)
	v_add_f64 v[7:8], v[9:10], v[7:8]
	ds_write_b64 v12, v[7:8]
.LBB25_15:
	s_or_b64 exec, exec, s[0:1]
	v_cmp_gt_u16_e32 vcc, 8, v13
	s_waitcnt lgkmcnt(0)
	s_barrier
	s_and_saveexec_b64 s[0:1], vcc
	s_cbranch_execz .LBB25_17
; %bb.16:
	ds_read2_b64 v[7:10], v12 offset1:8
	s_waitcnt lgkmcnt(0)
	v_add_f64 v[7:8], v[9:10], v[7:8]
	ds_write_b64 v12, v[7:8]
.LBB25_17:
	s_or_b64 exec, exec, s[0:1]
	v_cmp_gt_u16_e32 vcc, 4, v13
	s_waitcnt lgkmcnt(0)
	s_barrier
	;; [unrolled: 12-line block ×3, first 2 shown]
	s_and_saveexec_b64 s[0:1], vcc
	s_cbranch_execz .LBB25_21
; %bb.20:
	ds_read2_b64 v[7:10], v12 offset1:2
	s_waitcnt lgkmcnt(0)
	v_add_f64 v[7:8], v[9:10], v[7:8]
	ds_write_b64 v12, v[7:8]
.LBB25_21:
	s_or_b64 exec, exec, s[0:1]
	v_mov_b32_e32 v8, v6
	v_cmp_gt_u32_e32 vcc, 26, v0
	v_mov_b32_e32 v7, v5
	s_waitcnt lgkmcnt(0)
	s_barrier
	s_and_saveexec_b64 s[0:1], vcc
	s_cbranch_execz .LBB25_23
; %bb.22:
	s_movk_i32 s2, 0xc8
	v_mad_u32_u24 v7, v0, s2, v12
	ds_read_b128 v[7:10], v7
	s_waitcnt lgkmcnt(0)
	v_add_f64 v[7:8], v[7:8], v[9:10]
.LBB25_23:
	s_or_b64 exec, exec, s[0:1]
	s_branch .LBB25_36
.LBB25_24:
                                        ; implicit-def: $vgpr7_vgpr8
	s_cbranch_execz .LBB25_36
; %bb.25:
	s_movk_i32 s0, 0x104
	v_cmp_gt_u32_e32 vcc, s0, v0
	s_and_saveexec_b64 s[0:1], vcc
	s_cbranch_execz .LBB25_27
; %bb.26:
	ds_read_b64 v[7:8], v12 offset:3328
	ds_read_b64 v[9:10], v12
	s_waitcnt lgkmcnt(0)
	v_add_f64 v[7:8], v[7:8], v[9:10]
	ds_write_b64 v12, v[7:8]
.LBB25_27:
	s_or_b64 exec, exec, s[0:1]
	s_movk_i32 s0, 0xd0
	v_cmp_gt_u32_e32 vcc, s0, v0
	s_waitcnt lgkmcnt(0)
	s_barrier
	s_and_saveexec_b64 s[0:1], vcc
	s_cbranch_execz .LBB25_29
; %bb.28:
	ds_read2_b64 v[7:10], v12 offset1:208
	s_waitcnt lgkmcnt(0)
	v_add_f64 v[7:8], v[9:10], v[7:8]
	ds_write_b64 v12, v[7:8]
.LBB25_29:
	s_or_b64 exec, exec, s[0:1]
	s_movk_i32 s0, 0x68
	v_cmp_gt_u32_e32 vcc, s0, v0
	s_waitcnt lgkmcnt(0)
	s_barrier
	s_and_saveexec_b64 s[0:1], vcc
	s_cbranch_execz .LBB25_31
; %bb.30:
	ds_read2_b64 v[7:10], v12 offset1:104
	s_waitcnt lgkmcnt(0)
	v_add_f64 v[7:8], v[9:10], v[7:8]
	ds_write_b64 v12, v[7:8]
.LBB25_31:
	s_or_b64 exec, exec, s[0:1]
	v_cmp_gt_u32_e32 vcc, 52, v0
	s_waitcnt lgkmcnt(0)
	s_barrier
	s_and_saveexec_b64 s[0:1], vcc
	s_cbranch_execz .LBB25_33
; %bb.32:
	ds_read2_b64 v[7:10], v12 offset1:52
	s_waitcnt lgkmcnt(0)
	v_add_f64 v[7:8], v[9:10], v[7:8]
	ds_write_b64 v12, v[7:8]
.LBB25_33:
	s_or_b64 exec, exec, s[0:1]
	v_cmp_gt_u32_e32 vcc, 26, v0
	s_waitcnt lgkmcnt(0)
	s_and_saveexec_b64 s[0:1], vcc
	s_cbranch_execz .LBB25_35
; %bb.34:
	ds_read2_b64 v[5:8], v12 offset1:26
	s_waitcnt lgkmcnt(0)
	v_add_f64 v[5:6], v[5:6], v[7:8]
.LBB25_35:
	s_or_b64 exec, exec, s[0:1]
	v_mov_b32_e32 v8, v6
	v_mov_b32_e32 v7, v5
.LBB25_36:
	v_cmp_gt_u32_e32 vcc, 26, v0
	s_and_b64 exec, exec, vcc
	s_cbranch_execz .LBB25_41
; %bb.37:
	v_cmp_eq_f64_e32 vcc, 0, v[1:2]
	v_mul_f64 v[3:4], v[3:4], v[7:8]
	s_and_saveexec_b64 s[0:1], vcc
	s_xor_b64 s[0:1], exec, s[0:1]
	s_cbranch_execz .LBB25_39
; %bb.38:
	v_mad_u64_u32 v[0:1], s[2:3], s6, 26, v[0:1]
	v_mov_b32_e32 v1, 0
	v_mov_b32_e32 v2, s13
	v_lshlrev_b64 v[0:1], 3, v[0:1]
	v_add_co_u32_e32 v0, vcc, s12, v0
	v_addc_co_u32_e32 v1, vcc, v2, v1, vcc
	global_store_dwordx2 v[0:1], v[3:4], off
                                        ; implicit-def: $vgpr0
                                        ; implicit-def: $vgpr1_vgpr2
                                        ; implicit-def: $vgpr3_vgpr4
.LBB25_39:
	s_andn2_saveexec_b64 s[0:1], s[0:1]
	s_cbranch_execz .LBB25_41
; %bb.40:
	v_mad_u64_u32 v[5:6], s[0:1], s6, 26, v[0:1]
	v_mov_b32_e32 v6, 0
	v_mov_b32_e32 v0, s13
	v_lshlrev_b64 v[5:6], 3, v[5:6]
	v_add_co_u32_e32 v5, vcc, s12, v5
	v_addc_co_u32_e32 v6, vcc, v0, v6, vcc
	global_load_dwordx2 v[7:8], v[5:6], off
	s_waitcnt vmcnt(0)
	v_fma_f64 v[0:1], v[1:2], v[7:8], v[3:4]
	global_store_dwordx2 v[5:6], v[0:1], off
.LBB25_41:
	s_endpgm
	.section	.rodata,"a",@progbits
	.p2align	6, 0x0
	.amdhsa_kernel _ZN9rocsparseL20bsrxmvn_17_32_kernelILj26EdiidddEEvT2_20rocsparse_direction_NS_24const_host_device_scalarIT0_EES1_PKS1_PKT1_SA_S7_PKT3_PKT4_S5_PT5_21rocsparse_index_base_b
		.amdhsa_group_segment_fixed_size 5408
		.amdhsa_private_segment_fixed_size 0
		.amdhsa_kernarg_size 96
		.amdhsa_user_sgpr_count 6
		.amdhsa_user_sgpr_private_segment_buffer 1
		.amdhsa_user_sgpr_dispatch_ptr 0
		.amdhsa_user_sgpr_queue_ptr 0
		.amdhsa_user_sgpr_kernarg_segment_ptr 1
		.amdhsa_user_sgpr_dispatch_id 0
		.amdhsa_user_sgpr_flat_scratch_init 0
		.amdhsa_user_sgpr_private_segment_size 0
		.amdhsa_uses_dynamic_stack 0
		.amdhsa_system_sgpr_private_segment_wavefront_offset 0
		.amdhsa_system_sgpr_workgroup_id_x 1
		.amdhsa_system_sgpr_workgroup_id_y 0
		.amdhsa_system_sgpr_workgroup_id_z 0
		.amdhsa_system_sgpr_workgroup_info 0
		.amdhsa_system_vgpr_workitem_id 0
		.amdhsa_next_free_vgpr 25
		.amdhsa_next_free_sgpr 61
		.amdhsa_reserve_vcc 1
		.amdhsa_reserve_flat_scratch 0
		.amdhsa_float_round_mode_32 0
		.amdhsa_float_round_mode_16_64 0
		.amdhsa_float_denorm_mode_32 3
		.amdhsa_float_denorm_mode_16_64 3
		.amdhsa_dx10_clamp 1
		.amdhsa_ieee_mode 1
		.amdhsa_fp16_overflow 0
		.amdhsa_exception_fp_ieee_invalid_op 0
		.amdhsa_exception_fp_denorm_src 0
		.amdhsa_exception_fp_ieee_div_zero 0
		.amdhsa_exception_fp_ieee_overflow 0
		.amdhsa_exception_fp_ieee_underflow 0
		.amdhsa_exception_fp_ieee_inexact 0
		.amdhsa_exception_int_div_zero 0
	.end_amdhsa_kernel
	.section	.text._ZN9rocsparseL20bsrxmvn_17_32_kernelILj26EdiidddEEvT2_20rocsparse_direction_NS_24const_host_device_scalarIT0_EES1_PKS1_PKT1_SA_S7_PKT3_PKT4_S5_PT5_21rocsparse_index_base_b,"axG",@progbits,_ZN9rocsparseL20bsrxmvn_17_32_kernelILj26EdiidddEEvT2_20rocsparse_direction_NS_24const_host_device_scalarIT0_EES1_PKS1_PKT1_SA_S7_PKT3_PKT4_S5_PT5_21rocsparse_index_base_b,comdat
.Lfunc_end25:
	.size	_ZN9rocsparseL20bsrxmvn_17_32_kernelILj26EdiidddEEvT2_20rocsparse_direction_NS_24const_host_device_scalarIT0_EES1_PKS1_PKT1_SA_S7_PKT3_PKT4_S5_PT5_21rocsparse_index_base_b, .Lfunc_end25-_ZN9rocsparseL20bsrxmvn_17_32_kernelILj26EdiidddEEvT2_20rocsparse_direction_NS_24const_host_device_scalarIT0_EES1_PKS1_PKT1_SA_S7_PKT3_PKT4_S5_PT5_21rocsparse_index_base_b
                                        ; -- End function
	.set _ZN9rocsparseL20bsrxmvn_17_32_kernelILj26EdiidddEEvT2_20rocsparse_direction_NS_24const_host_device_scalarIT0_EES1_PKS1_PKT1_SA_S7_PKT3_PKT4_S5_PT5_21rocsparse_index_base_b.num_vgpr, 18
	.set _ZN9rocsparseL20bsrxmvn_17_32_kernelILj26EdiidddEEvT2_20rocsparse_direction_NS_24const_host_device_scalarIT0_EES1_PKS1_PKT1_SA_S7_PKT3_PKT4_S5_PT5_21rocsparse_index_base_b.num_agpr, 0
	.set _ZN9rocsparseL20bsrxmvn_17_32_kernelILj26EdiidddEEvT2_20rocsparse_direction_NS_24const_host_device_scalarIT0_EES1_PKS1_PKT1_SA_S7_PKT3_PKT4_S5_PT5_21rocsparse_index_base_b.numbered_sgpr, 18
	.set _ZN9rocsparseL20bsrxmvn_17_32_kernelILj26EdiidddEEvT2_20rocsparse_direction_NS_24const_host_device_scalarIT0_EES1_PKS1_PKT1_SA_S7_PKT3_PKT4_S5_PT5_21rocsparse_index_base_b.num_named_barrier, 0
	.set _ZN9rocsparseL20bsrxmvn_17_32_kernelILj26EdiidddEEvT2_20rocsparse_direction_NS_24const_host_device_scalarIT0_EES1_PKS1_PKT1_SA_S7_PKT3_PKT4_S5_PT5_21rocsparse_index_base_b.private_seg_size, 0
	.set _ZN9rocsparseL20bsrxmvn_17_32_kernelILj26EdiidddEEvT2_20rocsparse_direction_NS_24const_host_device_scalarIT0_EES1_PKS1_PKT1_SA_S7_PKT3_PKT4_S5_PT5_21rocsparse_index_base_b.uses_vcc, 1
	.set _ZN9rocsparseL20bsrxmvn_17_32_kernelILj26EdiidddEEvT2_20rocsparse_direction_NS_24const_host_device_scalarIT0_EES1_PKS1_PKT1_SA_S7_PKT3_PKT4_S5_PT5_21rocsparse_index_base_b.uses_flat_scratch, 0
	.set _ZN9rocsparseL20bsrxmvn_17_32_kernelILj26EdiidddEEvT2_20rocsparse_direction_NS_24const_host_device_scalarIT0_EES1_PKS1_PKT1_SA_S7_PKT3_PKT4_S5_PT5_21rocsparse_index_base_b.has_dyn_sized_stack, 0
	.set _ZN9rocsparseL20bsrxmvn_17_32_kernelILj26EdiidddEEvT2_20rocsparse_direction_NS_24const_host_device_scalarIT0_EES1_PKS1_PKT1_SA_S7_PKT3_PKT4_S5_PT5_21rocsparse_index_base_b.has_recursion, 0
	.set _ZN9rocsparseL20bsrxmvn_17_32_kernelILj26EdiidddEEvT2_20rocsparse_direction_NS_24const_host_device_scalarIT0_EES1_PKS1_PKT1_SA_S7_PKT3_PKT4_S5_PT5_21rocsparse_index_base_b.has_indirect_call, 0
	.section	.AMDGPU.csdata,"",@progbits
; Kernel info:
; codeLenInByte = 1332
; TotalNumSgprs: 22
; NumVgprs: 18
; ScratchSize: 0
; MemoryBound: 0
; FloatMode: 240
; IeeeMode: 1
; LDSByteSize: 5408 bytes/workgroup (compile time only)
; SGPRBlocks: 8
; VGPRBlocks: 6
; NumSGPRsForWavesPerEU: 65
; NumVGPRsForWavesPerEU: 25
; Occupancy: 9
; WaveLimiterHint : 1
; COMPUTE_PGM_RSRC2:SCRATCH_EN: 0
; COMPUTE_PGM_RSRC2:USER_SGPR: 6
; COMPUTE_PGM_RSRC2:TRAP_HANDLER: 0
; COMPUTE_PGM_RSRC2:TGID_X_EN: 1
; COMPUTE_PGM_RSRC2:TGID_Y_EN: 0
; COMPUTE_PGM_RSRC2:TGID_Z_EN: 0
; COMPUTE_PGM_RSRC2:TIDIG_COMP_CNT: 0
	.section	.text._ZN9rocsparseL20bsrxmvn_17_32_kernelILj27EdiidddEEvT2_20rocsparse_direction_NS_24const_host_device_scalarIT0_EES1_PKS1_PKT1_SA_S7_PKT3_PKT4_S5_PT5_21rocsparse_index_base_b,"axG",@progbits,_ZN9rocsparseL20bsrxmvn_17_32_kernelILj27EdiidddEEvT2_20rocsparse_direction_NS_24const_host_device_scalarIT0_EES1_PKS1_PKT1_SA_S7_PKT3_PKT4_S5_PT5_21rocsparse_index_base_b,comdat
	.globl	_ZN9rocsparseL20bsrxmvn_17_32_kernelILj27EdiidddEEvT2_20rocsparse_direction_NS_24const_host_device_scalarIT0_EES1_PKS1_PKT1_SA_S7_PKT3_PKT4_S5_PT5_21rocsparse_index_base_b ; -- Begin function _ZN9rocsparseL20bsrxmvn_17_32_kernelILj27EdiidddEEvT2_20rocsparse_direction_NS_24const_host_device_scalarIT0_EES1_PKS1_PKT1_SA_S7_PKT3_PKT4_S5_PT5_21rocsparse_index_base_b
	.p2align	8
	.type	_ZN9rocsparseL20bsrxmvn_17_32_kernelILj27EdiidddEEvT2_20rocsparse_direction_NS_24const_host_device_scalarIT0_EES1_PKS1_PKT1_SA_S7_PKT3_PKT4_S5_PT5_21rocsparse_index_base_b,@function
_ZN9rocsparseL20bsrxmvn_17_32_kernelILj27EdiidddEEvT2_20rocsparse_direction_NS_24const_host_device_scalarIT0_EES1_PKS1_PKT1_SA_S7_PKT3_PKT4_S5_PT5_21rocsparse_index_base_b: ; @_ZN9rocsparseL20bsrxmvn_17_32_kernelILj27EdiidddEEvT2_20rocsparse_direction_NS_24const_host_device_scalarIT0_EES1_PKS1_PKT1_SA_S7_PKT3_PKT4_S5_PT5_21rocsparse_index_base_b
; %bb.0:
	s_load_dwordx2 s[14:15], s[4:5], 0x58
	s_load_dwordx2 s[8:9], s[4:5], 0x8
	;; [unrolled: 1-line block ×3, first 2 shown]
	s_waitcnt lgkmcnt(0)
	s_bitcmp1_b32 s15, 0
	s_cselect_b64 s[10:11], -1, 0
	v_mov_b32_e32 v3, s8
	s_xor_b64 s[2:3], s[10:11], -1
	s_and_b64 vcc, exec, s[10:11]
	v_mov_b32_e32 v4, s9
	s_cbranch_vccnz .LBB26_2
; %bb.1:
	v_mov_b32_e32 v1, s8
	v_mov_b32_e32 v2, s9
	flat_load_dwordx2 v[3:4], v[1:2]
.LBB26_2:
	v_mov_b32_e32 v2, s1
	s_andn2_b64 vcc, exec, s[2:3]
	v_mov_b32_e32 v1, s0
	s_cbranch_vccnz .LBB26_4
; %bb.3:
	v_mov_b32_e32 v2, s1
	v_mov_b32_e32 v1, s0
	flat_load_dwordx2 v[1:2], v[1:2]
.LBB26_4:
	s_waitcnt vmcnt(0) lgkmcnt(0)
	v_cmp_neq_f64_e32 vcc, 0, v[3:4]
	v_cmp_neq_f64_e64 s[0:1], 1.0, v[1:2]
	s_or_b64 s[0:1], vcc, s[0:1]
	s_and_saveexec_b64 s[2:3], s[0:1]
	s_cbranch_execz .LBB26_41
; %bb.5:
	s_load_dwordx4 s[0:3], s[4:5], 0x18
	s_load_dwordx2 s[8:9], s[4:5], 0x28
	s_waitcnt lgkmcnt(0)
	s_cmp_eq_u64 s[0:1], 0
	s_cbranch_scc1 .LBB26_7
; %bb.6:
	s_ashr_i32 s7, s6, 31
	s_lshl_b64 s[6:7], s[6:7], 2
	s_add_u32 s0, s0, s6
	s_addc_u32 s1, s1, s7
	s_load_dword s0, s[0:1], 0x0
	s_waitcnt lgkmcnt(0)
	s_sub_i32 s6, s0, s14
.LBB26_7:
	s_load_dword s0, s[4:5], 0x4
	s_load_dwordx2 s[12:13], s[4:5], 0x50
	v_mul_u32_u24_e32 v7, 0x97c, v0
	v_mov_b32_e32 v5, 27
	v_mul_lo_u16_sdwa v5, v7, v5 dst_sel:DWORD dst_unused:UNUSED_PAD src0_sel:WORD_1 src1_sel:DWORD
	s_waitcnt lgkmcnt(0)
	s_cmp_eq_u32 s0, 1
	s_cselect_b64 vcc, -1, 0
	s_cmp_lg_u32 s0, 1
	s_cselect_b64 s[16:17], -1, 0
	s_ashr_i32 s7, s6, 31
	s_lshl_b64 s[0:1], s[6:7], 2
	s_add_u32 s2, s2, s0
	s_addc_u32 s3, s3, s1
	s_load_dword s7, s[2:3], 0x0
	s_add_u32 s2, s2, 4
	s_addc_u32 s3, s3, 0
	s_add_u32 s0, s8, s0
	s_addc_u32 s1, s9, s1
	s_cmp_eq_u64 s[8:9], 0
	s_cselect_b32 s1, s3, s1
	s_cselect_b32 s0, s2, s0
	s_load_dword s0, s[0:1], 0x0
	v_sub_u16_e32 v13, v0, v5
	v_mov_b32_e32 v5, 0
	v_mov_b32_e32 v6, 0
	v_lshlrev_b32_e32 v12, 3, v0
	s_waitcnt lgkmcnt(0)
	s_cmp_ge_i32 s7, s0
	s_cbranch_scc1 .LBB26_12
; %bb.8:
	s_load_dwordx4 s[8:11], s[4:5], 0x30
	s_load_dwordx2 s[2:3], s[4:5], 0x40
	s_sub_i32 s4, s0, s14
	s_mov_b32 s0, 0xffff
	s_movk_i32 s1, 0x2d9
	v_and_b32_sdwa v5, s0, v7 dst_sel:DWORD dst_unused:UNUSED_PAD src0_sel:DWORD src1_sel:WORD_1
	v_subrev_u32_e32 v6, 27, v5
	v_cmp_gt_u32_e64 s[0:1], s1, v0
	s_sub_i32 s5, s7, s14
	v_cndmask_b32_e64 v5, v6, v5, s[0:1]
	s_mul_i32 s1, s5, 0x16c8
	s_mul_hi_i32 s0, s5, 0x16c8
	s_waitcnt lgkmcnt(0)
	s_add_u32 s1, s10, s1
	s_addc_u32 s0, s11, s0
	v_cndmask_b32_e32 v7, v13, v5, vcc
	v_mov_b32_e32 v5, s0
	v_add_co_u32_e32 v8, vcc, s1, v12
	v_addc_co_u32_e32 v9, vcc, 0, v5, vcc
	s_movk_i32 s0, 0x2d8
	v_mov_b32_e32 v5, 0
	v_cmp_lt_u32_e32 vcc, s0, v0
	v_mov_b32_e32 v6, 0
	v_cndmask_b32_e64 v14, 0, 1, vcc
	s_branch .LBB26_10
.LBB26_9:                               ;   in Loop: Header=BB26_10 Depth=1
	s_or_b64 exec, exec, s[0:1]
	s_add_i32 s5, s5, 1
	s_cmp_lt_i32 s5, s4
	s_cbranch_scc0 .LBB26_12
.LBB26_10:                              ; =>This Inner Loop Header: Depth=1
	v_add_u32_e32 v10, s5, v14
	v_cmp_gt_i32_e32 vcc, s4, v10
	s_and_saveexec_b64 s[0:1], vcc
	s_cbranch_execz .LBB26_9
; %bb.11:                               ;   in Loop: Header=BB26_10 Depth=1
	v_ashrrev_i32_e32 v11, 31, v10
	v_lshlrev_b64 v[10:11], 2, v[10:11]
	v_mov_b32_e32 v15, s9
	v_add_co_u32_e32 v10, vcc, s8, v10
	v_addc_co_u32_e32 v11, vcc, v15, v11, vcc
	global_load_dword v10, v[10:11], off
	v_mov_b32_e32 v17, s3
	global_load_dwordx2 v[15:16], v[8:9], off
	s_waitcnt vmcnt(1)
	v_subrev_u32_e32 v10, s14, v10
	v_mad_u64_u32 v[10:11], s[10:11], v10, 27, v[7:8]
	v_ashrrev_i32_e32 v11, 31, v10
	v_lshlrev_b64 v[10:11], 3, v[10:11]
	v_add_co_u32_e32 v10, vcc, s2, v10
	v_addc_co_u32_e32 v11, vcc, v17, v11, vcc
	global_load_dwordx2 v[10:11], v[10:11], off
	v_add_co_u32_e32 v8, vcc, 0x16c8, v8
	v_addc_co_u32_e32 v9, vcc, 0, v9, vcc
	s_waitcnt vmcnt(0)
	v_fma_f64 v[5:6], v[15:16], v[10:11], v[5:6]
	s_branch .LBB26_9
.LBB26_12:
	s_and_b64 vcc, exec, s[16:17]
	ds_write_b64 v12, v[5:6]
	s_waitcnt lgkmcnt(0)
	s_barrier
	s_cbranch_vccz .LBB26_24
; %bb.13:
	v_cmp_gt_u16_e32 vcc, 11, v13
	s_and_saveexec_b64 s[0:1], vcc
	s_cbranch_execz .LBB26_15
; %bb.14:
	ds_read2_b64 v[7:10], v12 offset1:16
	s_waitcnt lgkmcnt(0)
	v_add_f64 v[7:8], v[9:10], v[7:8]
	ds_write_b64 v12, v[7:8]
.LBB26_15:
	s_or_b64 exec, exec, s[0:1]
	v_cmp_gt_u16_e32 vcc, 8, v13
	s_waitcnt lgkmcnt(0)
	s_barrier
	s_and_saveexec_b64 s[0:1], vcc
	s_cbranch_execz .LBB26_17
; %bb.16:
	ds_read2_b64 v[7:10], v12 offset1:8
	s_waitcnt lgkmcnt(0)
	v_add_f64 v[7:8], v[9:10], v[7:8]
	ds_write_b64 v12, v[7:8]
.LBB26_17:
	s_or_b64 exec, exec, s[0:1]
	v_cmp_gt_u16_e32 vcc, 4, v13
	s_waitcnt lgkmcnt(0)
	s_barrier
	;; [unrolled: 12-line block ×3, first 2 shown]
	s_and_saveexec_b64 s[0:1], vcc
	s_cbranch_execz .LBB26_21
; %bb.20:
	ds_read2_b64 v[7:10], v12 offset1:2
	s_waitcnt lgkmcnt(0)
	v_add_f64 v[7:8], v[9:10], v[7:8]
	ds_write_b64 v12, v[7:8]
.LBB26_21:
	s_or_b64 exec, exec, s[0:1]
	v_mov_b32_e32 v8, v6
	v_cmp_gt_u32_e32 vcc, 27, v0
	v_mov_b32_e32 v7, v5
	s_waitcnt lgkmcnt(0)
	s_barrier
	s_and_saveexec_b64 s[0:1], vcc
	s_cbranch_execz .LBB26_23
; %bb.22:
	s_movk_i32 s2, 0xd0
	v_mad_u32_u24 v7, v0, s2, v12
	ds_read2_b64 v[7:10], v7 offset1:1
	s_waitcnt lgkmcnt(0)
	v_add_f64 v[7:8], v[7:8], v[9:10]
.LBB26_23:
	s_or_b64 exec, exec, s[0:1]
	s_branch .LBB26_36
.LBB26_24:
                                        ; implicit-def: $vgpr7_vgpr8
	s_cbranch_execz .LBB26_36
; %bb.25:
	s_movk_i32 s0, 0x129
	v_cmp_gt_u32_e32 vcc, s0, v0
	s_and_saveexec_b64 s[0:1], vcc
	s_cbranch_execz .LBB26_27
; %bb.26:
	ds_read_b64 v[7:8], v12 offset:3456
	ds_read_b64 v[9:10], v12
	s_waitcnt lgkmcnt(0)
	v_add_f64 v[7:8], v[7:8], v[9:10]
	ds_write_b64 v12, v[7:8]
.LBB26_27:
	s_or_b64 exec, exec, s[0:1]
	s_movk_i32 s0, 0xd8
	v_cmp_gt_u32_e32 vcc, s0, v0
	s_waitcnt lgkmcnt(0)
	s_barrier
	s_and_saveexec_b64 s[0:1], vcc
	s_cbranch_execz .LBB26_29
; %bb.28:
	ds_read2_b64 v[7:10], v12 offset1:216
	s_waitcnt lgkmcnt(0)
	v_add_f64 v[7:8], v[9:10], v[7:8]
	ds_write_b64 v12, v[7:8]
.LBB26_29:
	s_or_b64 exec, exec, s[0:1]
	s_movk_i32 s0, 0x6c
	v_cmp_gt_u32_e32 vcc, s0, v0
	s_waitcnt lgkmcnt(0)
	s_barrier
	s_and_saveexec_b64 s[0:1], vcc
	s_cbranch_execz .LBB26_31
; %bb.30:
	ds_read2_b64 v[7:10], v12 offset1:108
	s_waitcnt lgkmcnt(0)
	v_add_f64 v[7:8], v[9:10], v[7:8]
	ds_write_b64 v12, v[7:8]
.LBB26_31:
	s_or_b64 exec, exec, s[0:1]
	v_cmp_gt_u32_e32 vcc, 54, v0
	s_waitcnt lgkmcnt(0)
	s_barrier
	s_and_saveexec_b64 s[0:1], vcc
	s_cbranch_execz .LBB26_33
; %bb.32:
	ds_read2_b64 v[7:10], v12 offset1:54
	s_waitcnt lgkmcnt(0)
	v_add_f64 v[7:8], v[9:10], v[7:8]
	ds_write_b64 v12, v[7:8]
.LBB26_33:
	s_or_b64 exec, exec, s[0:1]
	v_cmp_gt_u32_e32 vcc, 27, v0
	s_waitcnt lgkmcnt(0)
	s_and_saveexec_b64 s[0:1], vcc
	s_cbranch_execz .LBB26_35
; %bb.34:
	ds_read2_b64 v[5:8], v12 offset1:27
	s_waitcnt lgkmcnt(0)
	v_add_f64 v[5:6], v[5:6], v[7:8]
.LBB26_35:
	s_or_b64 exec, exec, s[0:1]
	v_mov_b32_e32 v8, v6
	v_mov_b32_e32 v7, v5
.LBB26_36:
	v_cmp_gt_u32_e32 vcc, 27, v0
	s_and_b64 exec, exec, vcc
	s_cbranch_execz .LBB26_41
; %bb.37:
	v_cmp_eq_f64_e32 vcc, 0, v[1:2]
	v_mul_f64 v[3:4], v[3:4], v[7:8]
	s_and_saveexec_b64 s[0:1], vcc
	s_xor_b64 s[0:1], exec, s[0:1]
	s_cbranch_execz .LBB26_39
; %bb.38:
	v_mad_u64_u32 v[0:1], s[2:3], s6, 27, v[0:1]
	v_mov_b32_e32 v1, 0
	v_mov_b32_e32 v2, s13
	v_lshlrev_b64 v[0:1], 3, v[0:1]
	v_add_co_u32_e32 v0, vcc, s12, v0
	v_addc_co_u32_e32 v1, vcc, v2, v1, vcc
	global_store_dwordx2 v[0:1], v[3:4], off
                                        ; implicit-def: $vgpr0
                                        ; implicit-def: $vgpr1_vgpr2
                                        ; implicit-def: $vgpr3_vgpr4
.LBB26_39:
	s_andn2_saveexec_b64 s[0:1], s[0:1]
	s_cbranch_execz .LBB26_41
; %bb.40:
	v_mad_u64_u32 v[5:6], s[0:1], s6, 27, v[0:1]
	v_mov_b32_e32 v6, 0
	v_mov_b32_e32 v0, s13
	v_lshlrev_b64 v[5:6], 3, v[5:6]
	v_add_co_u32_e32 v5, vcc, s12, v5
	v_addc_co_u32_e32 v6, vcc, v0, v6, vcc
	global_load_dwordx2 v[7:8], v[5:6], off
	s_waitcnt vmcnt(0)
	v_fma_f64 v[0:1], v[1:2], v[7:8], v[3:4]
	global_store_dwordx2 v[5:6], v[0:1], off
.LBB26_41:
	s_endpgm
	.section	.rodata,"a",@progbits
	.p2align	6, 0x0
	.amdhsa_kernel _ZN9rocsparseL20bsrxmvn_17_32_kernelILj27EdiidddEEvT2_20rocsparse_direction_NS_24const_host_device_scalarIT0_EES1_PKS1_PKT1_SA_S7_PKT3_PKT4_S5_PT5_21rocsparse_index_base_b
		.amdhsa_group_segment_fixed_size 5832
		.amdhsa_private_segment_fixed_size 0
		.amdhsa_kernarg_size 96
		.amdhsa_user_sgpr_count 6
		.amdhsa_user_sgpr_private_segment_buffer 1
		.amdhsa_user_sgpr_dispatch_ptr 0
		.amdhsa_user_sgpr_queue_ptr 0
		.amdhsa_user_sgpr_kernarg_segment_ptr 1
		.amdhsa_user_sgpr_dispatch_id 0
		.amdhsa_user_sgpr_flat_scratch_init 0
		.amdhsa_user_sgpr_private_segment_size 0
		.amdhsa_uses_dynamic_stack 0
		.amdhsa_system_sgpr_private_segment_wavefront_offset 0
		.amdhsa_system_sgpr_workgroup_id_x 1
		.amdhsa_system_sgpr_workgroup_id_y 0
		.amdhsa_system_sgpr_workgroup_id_z 0
		.amdhsa_system_sgpr_workgroup_info 0
		.amdhsa_system_vgpr_workitem_id 0
		.amdhsa_next_free_vgpr 25
		.amdhsa_next_free_sgpr 61
		.amdhsa_reserve_vcc 1
		.amdhsa_reserve_flat_scratch 0
		.amdhsa_float_round_mode_32 0
		.amdhsa_float_round_mode_16_64 0
		.amdhsa_float_denorm_mode_32 3
		.amdhsa_float_denorm_mode_16_64 3
		.amdhsa_dx10_clamp 1
		.amdhsa_ieee_mode 1
		.amdhsa_fp16_overflow 0
		.amdhsa_exception_fp_ieee_invalid_op 0
		.amdhsa_exception_fp_denorm_src 0
		.amdhsa_exception_fp_ieee_div_zero 0
		.amdhsa_exception_fp_ieee_overflow 0
		.amdhsa_exception_fp_ieee_underflow 0
		.amdhsa_exception_fp_ieee_inexact 0
		.amdhsa_exception_int_div_zero 0
	.end_amdhsa_kernel
	.section	.text._ZN9rocsparseL20bsrxmvn_17_32_kernelILj27EdiidddEEvT2_20rocsparse_direction_NS_24const_host_device_scalarIT0_EES1_PKS1_PKT1_SA_S7_PKT3_PKT4_S5_PT5_21rocsparse_index_base_b,"axG",@progbits,_ZN9rocsparseL20bsrxmvn_17_32_kernelILj27EdiidddEEvT2_20rocsparse_direction_NS_24const_host_device_scalarIT0_EES1_PKS1_PKT1_SA_S7_PKT3_PKT4_S5_PT5_21rocsparse_index_base_b,comdat
.Lfunc_end26:
	.size	_ZN9rocsparseL20bsrxmvn_17_32_kernelILj27EdiidddEEvT2_20rocsparse_direction_NS_24const_host_device_scalarIT0_EES1_PKS1_PKT1_SA_S7_PKT3_PKT4_S5_PT5_21rocsparse_index_base_b, .Lfunc_end26-_ZN9rocsparseL20bsrxmvn_17_32_kernelILj27EdiidddEEvT2_20rocsparse_direction_NS_24const_host_device_scalarIT0_EES1_PKS1_PKT1_SA_S7_PKT3_PKT4_S5_PT5_21rocsparse_index_base_b
                                        ; -- End function
	.set _ZN9rocsparseL20bsrxmvn_17_32_kernelILj27EdiidddEEvT2_20rocsparse_direction_NS_24const_host_device_scalarIT0_EES1_PKS1_PKT1_SA_S7_PKT3_PKT4_S5_PT5_21rocsparse_index_base_b.num_vgpr, 18
	.set _ZN9rocsparseL20bsrxmvn_17_32_kernelILj27EdiidddEEvT2_20rocsparse_direction_NS_24const_host_device_scalarIT0_EES1_PKS1_PKT1_SA_S7_PKT3_PKT4_S5_PT5_21rocsparse_index_base_b.num_agpr, 0
	.set _ZN9rocsparseL20bsrxmvn_17_32_kernelILj27EdiidddEEvT2_20rocsparse_direction_NS_24const_host_device_scalarIT0_EES1_PKS1_PKT1_SA_S7_PKT3_PKT4_S5_PT5_21rocsparse_index_base_b.numbered_sgpr, 18
	.set _ZN9rocsparseL20bsrxmvn_17_32_kernelILj27EdiidddEEvT2_20rocsparse_direction_NS_24const_host_device_scalarIT0_EES1_PKS1_PKT1_SA_S7_PKT3_PKT4_S5_PT5_21rocsparse_index_base_b.num_named_barrier, 0
	.set _ZN9rocsparseL20bsrxmvn_17_32_kernelILj27EdiidddEEvT2_20rocsparse_direction_NS_24const_host_device_scalarIT0_EES1_PKS1_PKT1_SA_S7_PKT3_PKT4_S5_PT5_21rocsparse_index_base_b.private_seg_size, 0
	.set _ZN9rocsparseL20bsrxmvn_17_32_kernelILj27EdiidddEEvT2_20rocsparse_direction_NS_24const_host_device_scalarIT0_EES1_PKS1_PKT1_SA_S7_PKT3_PKT4_S5_PT5_21rocsparse_index_base_b.uses_vcc, 1
	.set _ZN9rocsparseL20bsrxmvn_17_32_kernelILj27EdiidddEEvT2_20rocsparse_direction_NS_24const_host_device_scalarIT0_EES1_PKS1_PKT1_SA_S7_PKT3_PKT4_S5_PT5_21rocsparse_index_base_b.uses_flat_scratch, 0
	.set _ZN9rocsparseL20bsrxmvn_17_32_kernelILj27EdiidddEEvT2_20rocsparse_direction_NS_24const_host_device_scalarIT0_EES1_PKS1_PKT1_SA_S7_PKT3_PKT4_S5_PT5_21rocsparse_index_base_b.has_dyn_sized_stack, 0
	.set _ZN9rocsparseL20bsrxmvn_17_32_kernelILj27EdiidddEEvT2_20rocsparse_direction_NS_24const_host_device_scalarIT0_EES1_PKS1_PKT1_SA_S7_PKT3_PKT4_S5_PT5_21rocsparse_index_base_b.has_recursion, 0
	.set _ZN9rocsparseL20bsrxmvn_17_32_kernelILj27EdiidddEEvT2_20rocsparse_direction_NS_24const_host_device_scalarIT0_EES1_PKS1_PKT1_SA_S7_PKT3_PKT4_S5_PT5_21rocsparse_index_base_b.has_indirect_call, 0
	.section	.AMDGPU.csdata,"",@progbits
; Kernel info:
; codeLenInByte = 1332
; TotalNumSgprs: 22
; NumVgprs: 18
; ScratchSize: 0
; MemoryBound: 0
; FloatMode: 240
; IeeeMode: 1
; LDSByteSize: 5832 bytes/workgroup (compile time only)
; SGPRBlocks: 8
; VGPRBlocks: 6
; NumSGPRsForWavesPerEU: 65
; NumVGPRsForWavesPerEU: 25
; Occupancy: 9
; WaveLimiterHint : 1
; COMPUTE_PGM_RSRC2:SCRATCH_EN: 0
; COMPUTE_PGM_RSRC2:USER_SGPR: 6
; COMPUTE_PGM_RSRC2:TRAP_HANDLER: 0
; COMPUTE_PGM_RSRC2:TGID_X_EN: 1
; COMPUTE_PGM_RSRC2:TGID_Y_EN: 0
; COMPUTE_PGM_RSRC2:TGID_Z_EN: 0
; COMPUTE_PGM_RSRC2:TIDIG_COMP_CNT: 0
	.section	.text._ZN9rocsparseL20bsrxmvn_17_32_kernelILj28EdiidddEEvT2_20rocsparse_direction_NS_24const_host_device_scalarIT0_EES1_PKS1_PKT1_SA_S7_PKT3_PKT4_S5_PT5_21rocsparse_index_base_b,"axG",@progbits,_ZN9rocsparseL20bsrxmvn_17_32_kernelILj28EdiidddEEvT2_20rocsparse_direction_NS_24const_host_device_scalarIT0_EES1_PKS1_PKT1_SA_S7_PKT3_PKT4_S5_PT5_21rocsparse_index_base_b,comdat
	.globl	_ZN9rocsparseL20bsrxmvn_17_32_kernelILj28EdiidddEEvT2_20rocsparse_direction_NS_24const_host_device_scalarIT0_EES1_PKS1_PKT1_SA_S7_PKT3_PKT4_S5_PT5_21rocsparse_index_base_b ; -- Begin function _ZN9rocsparseL20bsrxmvn_17_32_kernelILj28EdiidddEEvT2_20rocsparse_direction_NS_24const_host_device_scalarIT0_EES1_PKS1_PKT1_SA_S7_PKT3_PKT4_S5_PT5_21rocsparse_index_base_b
	.p2align	8
	.type	_ZN9rocsparseL20bsrxmvn_17_32_kernelILj28EdiidddEEvT2_20rocsparse_direction_NS_24const_host_device_scalarIT0_EES1_PKS1_PKT1_SA_S7_PKT3_PKT4_S5_PT5_21rocsparse_index_base_b,@function
_ZN9rocsparseL20bsrxmvn_17_32_kernelILj28EdiidddEEvT2_20rocsparse_direction_NS_24const_host_device_scalarIT0_EES1_PKS1_PKT1_SA_S7_PKT3_PKT4_S5_PT5_21rocsparse_index_base_b: ; @_ZN9rocsparseL20bsrxmvn_17_32_kernelILj28EdiidddEEvT2_20rocsparse_direction_NS_24const_host_device_scalarIT0_EES1_PKS1_PKT1_SA_S7_PKT3_PKT4_S5_PT5_21rocsparse_index_base_b
; %bb.0:
	s_load_dwordx2 s[14:15], s[4:5], 0x58
	s_load_dwordx2 s[8:9], s[4:5], 0x8
	;; [unrolled: 1-line block ×3, first 2 shown]
	s_waitcnt lgkmcnt(0)
	s_bitcmp1_b32 s15, 0
	s_cselect_b64 s[10:11], -1, 0
	v_mov_b32_e32 v3, s8
	s_xor_b64 s[2:3], s[10:11], -1
	s_and_b64 vcc, exec, s[10:11]
	v_mov_b32_e32 v4, s9
	s_cbranch_vccnz .LBB27_2
; %bb.1:
	v_mov_b32_e32 v1, s8
	v_mov_b32_e32 v2, s9
	flat_load_dwordx2 v[3:4], v[1:2]
.LBB27_2:
	v_mov_b32_e32 v2, s1
	s_andn2_b64 vcc, exec, s[2:3]
	v_mov_b32_e32 v1, s0
	s_cbranch_vccnz .LBB27_4
; %bb.3:
	v_mov_b32_e32 v2, s1
	v_mov_b32_e32 v1, s0
	flat_load_dwordx2 v[1:2], v[1:2]
.LBB27_4:
	s_waitcnt vmcnt(0) lgkmcnt(0)
	v_cmp_neq_f64_e32 vcc, 0, v[3:4]
	v_cmp_neq_f64_e64 s[0:1], 1.0, v[1:2]
	s_or_b64 s[0:1], vcc, s[0:1]
	s_and_saveexec_b64 s[2:3], s[0:1]
	s_cbranch_execz .LBB27_41
; %bb.5:
	s_load_dwordx4 s[0:3], s[4:5], 0x18
	s_load_dwordx2 s[8:9], s[4:5], 0x28
	s_waitcnt lgkmcnt(0)
	s_cmp_eq_u64 s[0:1], 0
	s_cbranch_scc1 .LBB27_7
; %bb.6:
	s_ashr_i32 s7, s6, 31
	s_lshl_b64 s[6:7], s[6:7], 2
	s_add_u32 s0, s0, s6
	s_addc_u32 s1, s1, s7
	s_load_dword s0, s[0:1], 0x0
	s_waitcnt lgkmcnt(0)
	s_sub_i32 s6, s0, s14
.LBB27_7:
	s_load_dword s0, s[4:5], 0x4
	s_load_dwordx2 s[12:13], s[4:5], 0x50
	v_mul_u32_u24_e32 v7, 0x925, v0
	v_mov_b32_e32 v5, 28
	v_mul_lo_u16_sdwa v5, v7, v5 dst_sel:DWORD dst_unused:UNUSED_PAD src0_sel:WORD_1 src1_sel:DWORD
	s_waitcnt lgkmcnt(0)
	s_cmp_eq_u32 s0, 1
	s_cselect_b64 vcc, -1, 0
	s_cmp_lg_u32 s0, 1
	s_cselect_b64 s[16:17], -1, 0
	s_ashr_i32 s7, s6, 31
	s_lshl_b64 s[0:1], s[6:7], 2
	s_add_u32 s2, s2, s0
	s_addc_u32 s3, s3, s1
	s_load_dword s7, s[2:3], 0x0
	s_add_u32 s2, s2, 4
	s_addc_u32 s3, s3, 0
	s_add_u32 s0, s8, s0
	s_addc_u32 s1, s9, s1
	s_cmp_eq_u64 s[8:9], 0
	s_cselect_b32 s1, s3, s1
	s_cselect_b32 s0, s2, s0
	s_load_dword s0, s[0:1], 0x0
	v_sub_u16_e32 v13, v0, v5
	v_mov_b32_e32 v5, 0
	v_mov_b32_e32 v6, 0
	v_lshlrev_b32_e32 v12, 3, v0
	s_waitcnt lgkmcnt(0)
	s_cmp_ge_i32 s7, s0
	s_cbranch_scc1 .LBB27_12
; %bb.8:
	s_load_dwordx4 s[8:11], s[4:5], 0x30
	s_load_dwordx2 s[2:3], s[4:5], 0x40
	s_sub_i32 s4, s0, s14
	s_mov_b32 s0, 0xffff
	s_movk_i32 s1, 0x310
	v_and_b32_sdwa v5, s0, v7 dst_sel:DWORD dst_unused:UNUSED_PAD src0_sel:DWORD src1_sel:WORD_1
	v_subrev_u32_e32 v6, 28, v5
	v_cmp_gt_u32_e64 s[0:1], s1, v0
	s_sub_i32 s5, s7, s14
	v_cndmask_b32_e64 v5, v6, v5, s[0:1]
	s_mul_i32 s1, s5, 0x1880
	s_mul_hi_i32 s0, s5, 0x1880
	s_waitcnt lgkmcnt(0)
	s_add_u32 s1, s10, s1
	s_addc_u32 s0, s11, s0
	v_cndmask_b32_e32 v7, v13, v5, vcc
	v_mov_b32_e32 v5, s0
	v_add_co_u32_e32 v8, vcc, s1, v12
	v_addc_co_u32_e32 v9, vcc, 0, v5, vcc
	s_movk_i32 s0, 0x30f
	v_mov_b32_e32 v5, 0
	v_cmp_lt_u32_e32 vcc, s0, v0
	v_mov_b32_e32 v6, 0
	v_cndmask_b32_e64 v14, 0, 1, vcc
	s_branch .LBB27_10
.LBB27_9:                               ;   in Loop: Header=BB27_10 Depth=1
	s_or_b64 exec, exec, s[0:1]
	s_add_i32 s5, s5, 1
	s_cmp_lt_i32 s5, s4
	s_cbranch_scc0 .LBB27_12
.LBB27_10:                              ; =>This Inner Loop Header: Depth=1
	v_add_u32_e32 v10, s5, v14
	v_cmp_gt_i32_e32 vcc, s4, v10
	s_and_saveexec_b64 s[0:1], vcc
	s_cbranch_execz .LBB27_9
; %bb.11:                               ;   in Loop: Header=BB27_10 Depth=1
	v_ashrrev_i32_e32 v11, 31, v10
	v_lshlrev_b64 v[10:11], 2, v[10:11]
	v_mov_b32_e32 v15, s9
	v_add_co_u32_e32 v10, vcc, s8, v10
	v_addc_co_u32_e32 v11, vcc, v15, v11, vcc
	global_load_dword v10, v[10:11], off
	v_mov_b32_e32 v17, s3
	global_load_dwordx2 v[15:16], v[8:9], off
	s_waitcnt vmcnt(1)
	v_subrev_u32_e32 v10, s14, v10
	v_mad_u64_u32 v[10:11], s[10:11], v10, 28, v[7:8]
	v_ashrrev_i32_e32 v11, 31, v10
	v_lshlrev_b64 v[10:11], 3, v[10:11]
	v_add_co_u32_e32 v10, vcc, s2, v10
	v_addc_co_u32_e32 v11, vcc, v17, v11, vcc
	global_load_dwordx2 v[10:11], v[10:11], off
	v_add_co_u32_e32 v8, vcc, 0x1880, v8
	v_addc_co_u32_e32 v9, vcc, 0, v9, vcc
	s_waitcnt vmcnt(0)
	v_fma_f64 v[5:6], v[15:16], v[10:11], v[5:6]
	s_branch .LBB27_9
.LBB27_12:
	s_and_b64 vcc, exec, s[16:17]
	ds_write_b64 v12, v[5:6]
	s_waitcnt lgkmcnt(0)
	s_barrier
	s_cbranch_vccz .LBB27_24
; %bb.13:
	v_cmp_gt_u16_e32 vcc, 12, v13
	s_and_saveexec_b64 s[0:1], vcc
	s_cbranch_execz .LBB27_15
; %bb.14:
	ds_read2_b64 v[7:10], v12 offset1:16
	s_waitcnt lgkmcnt(0)
	v_add_f64 v[7:8], v[9:10], v[7:8]
	ds_write_b64 v12, v[7:8]
.LBB27_15:
	s_or_b64 exec, exec, s[0:1]
	v_cmp_gt_u16_e32 vcc, 8, v13
	s_waitcnt lgkmcnt(0)
	s_barrier
	s_and_saveexec_b64 s[0:1], vcc
	s_cbranch_execz .LBB27_17
; %bb.16:
	ds_read2_b64 v[7:10], v12 offset1:8
	s_waitcnt lgkmcnt(0)
	v_add_f64 v[7:8], v[9:10], v[7:8]
	ds_write_b64 v12, v[7:8]
.LBB27_17:
	s_or_b64 exec, exec, s[0:1]
	v_cmp_gt_u16_e32 vcc, 4, v13
	s_waitcnt lgkmcnt(0)
	s_barrier
	;; [unrolled: 12-line block ×3, first 2 shown]
	s_and_saveexec_b64 s[0:1], vcc
	s_cbranch_execz .LBB27_21
; %bb.20:
	ds_read2_b64 v[7:10], v12 offset1:2
	s_waitcnt lgkmcnt(0)
	v_add_f64 v[7:8], v[9:10], v[7:8]
	ds_write_b64 v12, v[7:8]
.LBB27_21:
	s_or_b64 exec, exec, s[0:1]
	v_mov_b32_e32 v8, v6
	v_cmp_gt_u32_e32 vcc, 28, v0
	v_mov_b32_e32 v7, v5
	s_waitcnt lgkmcnt(0)
	s_barrier
	s_and_saveexec_b64 s[0:1], vcc
	s_cbranch_execz .LBB27_23
; %bb.22:
	s_movk_i32 s2, 0xd8
	v_mad_u32_u24 v7, v0, s2, v12
	ds_read_b128 v[7:10], v7
	s_waitcnt lgkmcnt(0)
	v_add_f64 v[7:8], v[7:8], v[9:10]
.LBB27_23:
	s_or_b64 exec, exec, s[0:1]
	s_branch .LBB27_36
.LBB27_24:
                                        ; implicit-def: $vgpr7_vgpr8
	s_cbranch_execz .LBB27_36
; %bb.25:
	s_movk_i32 s0, 0x150
	v_cmp_gt_u32_e32 vcc, s0, v0
	s_and_saveexec_b64 s[0:1], vcc
	s_cbranch_execz .LBB27_27
; %bb.26:
	ds_read2st64_b64 v[7:10], v12 offset1:7
	s_waitcnt lgkmcnt(0)
	v_add_f64 v[7:8], v[9:10], v[7:8]
	ds_write_b64 v12, v[7:8]
.LBB27_27:
	s_or_b64 exec, exec, s[0:1]
	s_movk_i32 s0, 0xe0
	v_cmp_gt_u32_e32 vcc, s0, v0
	s_waitcnt lgkmcnt(0)
	s_barrier
	s_and_saveexec_b64 s[0:1], vcc
	s_cbranch_execz .LBB27_29
; %bb.28:
	ds_read2_b64 v[7:10], v12 offset1:224
	s_waitcnt lgkmcnt(0)
	v_add_f64 v[7:8], v[9:10], v[7:8]
	ds_write_b64 v12, v[7:8]
.LBB27_29:
	s_or_b64 exec, exec, s[0:1]
	s_movk_i32 s0, 0x70
	v_cmp_gt_u32_e32 vcc, s0, v0
	s_waitcnt lgkmcnt(0)
	s_barrier
	s_and_saveexec_b64 s[0:1], vcc
	s_cbranch_execz .LBB27_31
; %bb.30:
	ds_read2_b64 v[7:10], v12 offset1:112
	s_waitcnt lgkmcnt(0)
	v_add_f64 v[7:8], v[9:10], v[7:8]
	ds_write_b64 v12, v[7:8]
.LBB27_31:
	s_or_b64 exec, exec, s[0:1]
	v_cmp_gt_u32_e32 vcc, 56, v0
	s_waitcnt lgkmcnt(0)
	s_barrier
	s_and_saveexec_b64 s[0:1], vcc
	s_cbranch_execz .LBB27_33
; %bb.32:
	ds_read2_b64 v[7:10], v12 offset1:56
	s_waitcnt lgkmcnt(0)
	v_add_f64 v[7:8], v[9:10], v[7:8]
	ds_write_b64 v12, v[7:8]
.LBB27_33:
	s_or_b64 exec, exec, s[0:1]
	v_cmp_gt_u32_e32 vcc, 28, v0
	s_waitcnt lgkmcnt(0)
	s_and_saveexec_b64 s[0:1], vcc
	s_cbranch_execz .LBB27_35
; %bb.34:
	ds_read2_b64 v[5:8], v12 offset1:28
	s_waitcnt lgkmcnt(0)
	v_add_f64 v[5:6], v[5:6], v[7:8]
.LBB27_35:
	s_or_b64 exec, exec, s[0:1]
	v_mov_b32_e32 v8, v6
	v_mov_b32_e32 v7, v5
.LBB27_36:
	v_cmp_gt_u32_e32 vcc, 28, v0
	s_and_b64 exec, exec, vcc
	s_cbranch_execz .LBB27_41
; %bb.37:
	v_cmp_eq_f64_e32 vcc, 0, v[1:2]
	v_mul_f64 v[3:4], v[3:4], v[7:8]
	s_and_saveexec_b64 s[0:1], vcc
	s_xor_b64 s[0:1], exec, s[0:1]
	s_cbranch_execz .LBB27_39
; %bb.38:
	v_mad_u64_u32 v[0:1], s[2:3], s6, 28, v[0:1]
	v_mov_b32_e32 v1, 0
	v_mov_b32_e32 v2, s13
	v_lshlrev_b64 v[0:1], 3, v[0:1]
	v_add_co_u32_e32 v0, vcc, s12, v0
	v_addc_co_u32_e32 v1, vcc, v2, v1, vcc
	global_store_dwordx2 v[0:1], v[3:4], off
                                        ; implicit-def: $vgpr0
                                        ; implicit-def: $vgpr1_vgpr2
                                        ; implicit-def: $vgpr3_vgpr4
.LBB27_39:
	s_andn2_saveexec_b64 s[0:1], s[0:1]
	s_cbranch_execz .LBB27_41
; %bb.40:
	v_mad_u64_u32 v[5:6], s[0:1], s6, 28, v[0:1]
	v_mov_b32_e32 v6, 0
	v_mov_b32_e32 v0, s13
	v_lshlrev_b64 v[5:6], 3, v[5:6]
	v_add_co_u32_e32 v5, vcc, s12, v5
	v_addc_co_u32_e32 v6, vcc, v0, v6, vcc
	global_load_dwordx2 v[7:8], v[5:6], off
	s_waitcnt vmcnt(0)
	v_fma_f64 v[0:1], v[1:2], v[7:8], v[3:4]
	global_store_dwordx2 v[5:6], v[0:1], off
.LBB27_41:
	s_endpgm
	.section	.rodata,"a",@progbits
	.p2align	6, 0x0
	.amdhsa_kernel _ZN9rocsparseL20bsrxmvn_17_32_kernelILj28EdiidddEEvT2_20rocsparse_direction_NS_24const_host_device_scalarIT0_EES1_PKS1_PKT1_SA_S7_PKT3_PKT4_S5_PT5_21rocsparse_index_base_b
		.amdhsa_group_segment_fixed_size 6272
		.amdhsa_private_segment_fixed_size 0
		.amdhsa_kernarg_size 96
		.amdhsa_user_sgpr_count 6
		.amdhsa_user_sgpr_private_segment_buffer 1
		.amdhsa_user_sgpr_dispatch_ptr 0
		.amdhsa_user_sgpr_queue_ptr 0
		.amdhsa_user_sgpr_kernarg_segment_ptr 1
		.amdhsa_user_sgpr_dispatch_id 0
		.amdhsa_user_sgpr_flat_scratch_init 0
		.amdhsa_user_sgpr_private_segment_size 0
		.amdhsa_uses_dynamic_stack 0
		.amdhsa_system_sgpr_private_segment_wavefront_offset 0
		.amdhsa_system_sgpr_workgroup_id_x 1
		.amdhsa_system_sgpr_workgroup_id_y 0
		.amdhsa_system_sgpr_workgroup_id_z 0
		.amdhsa_system_sgpr_workgroup_info 0
		.amdhsa_system_vgpr_workitem_id 0
		.amdhsa_next_free_vgpr 18
		.amdhsa_next_free_sgpr 18
		.amdhsa_reserve_vcc 1
		.amdhsa_reserve_flat_scratch 0
		.amdhsa_float_round_mode_32 0
		.amdhsa_float_round_mode_16_64 0
		.amdhsa_float_denorm_mode_32 3
		.amdhsa_float_denorm_mode_16_64 3
		.amdhsa_dx10_clamp 1
		.amdhsa_ieee_mode 1
		.amdhsa_fp16_overflow 0
		.amdhsa_exception_fp_ieee_invalid_op 0
		.amdhsa_exception_fp_denorm_src 0
		.amdhsa_exception_fp_ieee_div_zero 0
		.amdhsa_exception_fp_ieee_overflow 0
		.amdhsa_exception_fp_ieee_underflow 0
		.amdhsa_exception_fp_ieee_inexact 0
		.amdhsa_exception_int_div_zero 0
	.end_amdhsa_kernel
	.section	.text._ZN9rocsparseL20bsrxmvn_17_32_kernelILj28EdiidddEEvT2_20rocsparse_direction_NS_24const_host_device_scalarIT0_EES1_PKS1_PKT1_SA_S7_PKT3_PKT4_S5_PT5_21rocsparse_index_base_b,"axG",@progbits,_ZN9rocsparseL20bsrxmvn_17_32_kernelILj28EdiidddEEvT2_20rocsparse_direction_NS_24const_host_device_scalarIT0_EES1_PKS1_PKT1_SA_S7_PKT3_PKT4_S5_PT5_21rocsparse_index_base_b,comdat
.Lfunc_end27:
	.size	_ZN9rocsparseL20bsrxmvn_17_32_kernelILj28EdiidddEEvT2_20rocsparse_direction_NS_24const_host_device_scalarIT0_EES1_PKS1_PKT1_SA_S7_PKT3_PKT4_S5_PT5_21rocsparse_index_base_b, .Lfunc_end27-_ZN9rocsparseL20bsrxmvn_17_32_kernelILj28EdiidddEEvT2_20rocsparse_direction_NS_24const_host_device_scalarIT0_EES1_PKS1_PKT1_SA_S7_PKT3_PKT4_S5_PT5_21rocsparse_index_base_b
                                        ; -- End function
	.set _ZN9rocsparseL20bsrxmvn_17_32_kernelILj28EdiidddEEvT2_20rocsparse_direction_NS_24const_host_device_scalarIT0_EES1_PKS1_PKT1_SA_S7_PKT3_PKT4_S5_PT5_21rocsparse_index_base_b.num_vgpr, 18
	.set _ZN9rocsparseL20bsrxmvn_17_32_kernelILj28EdiidddEEvT2_20rocsparse_direction_NS_24const_host_device_scalarIT0_EES1_PKS1_PKT1_SA_S7_PKT3_PKT4_S5_PT5_21rocsparse_index_base_b.num_agpr, 0
	.set _ZN9rocsparseL20bsrxmvn_17_32_kernelILj28EdiidddEEvT2_20rocsparse_direction_NS_24const_host_device_scalarIT0_EES1_PKS1_PKT1_SA_S7_PKT3_PKT4_S5_PT5_21rocsparse_index_base_b.numbered_sgpr, 18
	.set _ZN9rocsparseL20bsrxmvn_17_32_kernelILj28EdiidddEEvT2_20rocsparse_direction_NS_24const_host_device_scalarIT0_EES1_PKS1_PKT1_SA_S7_PKT3_PKT4_S5_PT5_21rocsparse_index_base_b.num_named_barrier, 0
	.set _ZN9rocsparseL20bsrxmvn_17_32_kernelILj28EdiidddEEvT2_20rocsparse_direction_NS_24const_host_device_scalarIT0_EES1_PKS1_PKT1_SA_S7_PKT3_PKT4_S5_PT5_21rocsparse_index_base_b.private_seg_size, 0
	.set _ZN9rocsparseL20bsrxmvn_17_32_kernelILj28EdiidddEEvT2_20rocsparse_direction_NS_24const_host_device_scalarIT0_EES1_PKS1_PKT1_SA_S7_PKT3_PKT4_S5_PT5_21rocsparse_index_base_b.uses_vcc, 1
	.set _ZN9rocsparseL20bsrxmvn_17_32_kernelILj28EdiidddEEvT2_20rocsparse_direction_NS_24const_host_device_scalarIT0_EES1_PKS1_PKT1_SA_S7_PKT3_PKT4_S5_PT5_21rocsparse_index_base_b.uses_flat_scratch, 0
	.set _ZN9rocsparseL20bsrxmvn_17_32_kernelILj28EdiidddEEvT2_20rocsparse_direction_NS_24const_host_device_scalarIT0_EES1_PKS1_PKT1_SA_S7_PKT3_PKT4_S5_PT5_21rocsparse_index_base_b.has_dyn_sized_stack, 0
	.set _ZN9rocsparseL20bsrxmvn_17_32_kernelILj28EdiidddEEvT2_20rocsparse_direction_NS_24const_host_device_scalarIT0_EES1_PKS1_PKT1_SA_S7_PKT3_PKT4_S5_PT5_21rocsparse_index_base_b.has_recursion, 0
	.set _ZN9rocsparseL20bsrxmvn_17_32_kernelILj28EdiidddEEvT2_20rocsparse_direction_NS_24const_host_device_scalarIT0_EES1_PKS1_PKT1_SA_S7_PKT3_PKT4_S5_PT5_21rocsparse_index_base_b.has_indirect_call, 0
	.section	.AMDGPU.csdata,"",@progbits
; Kernel info:
; codeLenInByte = 1324
; TotalNumSgprs: 22
; NumVgprs: 18
; ScratchSize: 0
; MemoryBound: 0
; FloatMode: 240
; IeeeMode: 1
; LDSByteSize: 6272 bytes/workgroup (compile time only)
; SGPRBlocks: 2
; VGPRBlocks: 4
; NumSGPRsForWavesPerEU: 22
; NumVGPRsForWavesPerEU: 18
; Occupancy: 10
; WaveLimiterHint : 1
; COMPUTE_PGM_RSRC2:SCRATCH_EN: 0
; COMPUTE_PGM_RSRC2:USER_SGPR: 6
; COMPUTE_PGM_RSRC2:TRAP_HANDLER: 0
; COMPUTE_PGM_RSRC2:TGID_X_EN: 1
; COMPUTE_PGM_RSRC2:TGID_Y_EN: 0
; COMPUTE_PGM_RSRC2:TGID_Z_EN: 0
; COMPUTE_PGM_RSRC2:TIDIG_COMP_CNT: 0
	.section	.text._ZN9rocsparseL20bsrxmvn_17_32_kernelILj29EdiidddEEvT2_20rocsparse_direction_NS_24const_host_device_scalarIT0_EES1_PKS1_PKT1_SA_S7_PKT3_PKT4_S5_PT5_21rocsparse_index_base_b,"axG",@progbits,_ZN9rocsparseL20bsrxmvn_17_32_kernelILj29EdiidddEEvT2_20rocsparse_direction_NS_24const_host_device_scalarIT0_EES1_PKS1_PKT1_SA_S7_PKT3_PKT4_S5_PT5_21rocsparse_index_base_b,comdat
	.globl	_ZN9rocsparseL20bsrxmvn_17_32_kernelILj29EdiidddEEvT2_20rocsparse_direction_NS_24const_host_device_scalarIT0_EES1_PKS1_PKT1_SA_S7_PKT3_PKT4_S5_PT5_21rocsparse_index_base_b ; -- Begin function _ZN9rocsparseL20bsrxmvn_17_32_kernelILj29EdiidddEEvT2_20rocsparse_direction_NS_24const_host_device_scalarIT0_EES1_PKS1_PKT1_SA_S7_PKT3_PKT4_S5_PT5_21rocsparse_index_base_b
	.p2align	8
	.type	_ZN9rocsparseL20bsrxmvn_17_32_kernelILj29EdiidddEEvT2_20rocsparse_direction_NS_24const_host_device_scalarIT0_EES1_PKS1_PKT1_SA_S7_PKT3_PKT4_S5_PT5_21rocsparse_index_base_b,@function
_ZN9rocsparseL20bsrxmvn_17_32_kernelILj29EdiidddEEvT2_20rocsparse_direction_NS_24const_host_device_scalarIT0_EES1_PKS1_PKT1_SA_S7_PKT3_PKT4_S5_PT5_21rocsparse_index_base_b: ; @_ZN9rocsparseL20bsrxmvn_17_32_kernelILj29EdiidddEEvT2_20rocsparse_direction_NS_24const_host_device_scalarIT0_EES1_PKS1_PKT1_SA_S7_PKT3_PKT4_S5_PT5_21rocsparse_index_base_b
; %bb.0:
	s_load_dwordx2 s[14:15], s[4:5], 0x58
	s_load_dwordx2 s[8:9], s[4:5], 0x8
	s_load_dwordx2 s[0:1], s[4:5], 0x48
	s_waitcnt lgkmcnt(0)
	s_bitcmp1_b32 s15, 0
	s_cselect_b64 s[10:11], -1, 0
	v_mov_b32_e32 v3, s8
	s_xor_b64 s[2:3], s[10:11], -1
	s_and_b64 vcc, exec, s[10:11]
	v_mov_b32_e32 v4, s9
	s_cbranch_vccnz .LBB28_2
; %bb.1:
	v_mov_b32_e32 v1, s8
	v_mov_b32_e32 v2, s9
	flat_load_dwordx2 v[3:4], v[1:2]
.LBB28_2:
	v_mov_b32_e32 v2, s1
	s_andn2_b64 vcc, exec, s[2:3]
	v_mov_b32_e32 v1, s0
	s_cbranch_vccnz .LBB28_4
; %bb.3:
	v_mov_b32_e32 v2, s1
	v_mov_b32_e32 v1, s0
	flat_load_dwordx2 v[1:2], v[1:2]
.LBB28_4:
	s_waitcnt vmcnt(0) lgkmcnt(0)
	v_cmp_neq_f64_e32 vcc, 0, v[3:4]
	v_cmp_neq_f64_e64 s[0:1], 1.0, v[1:2]
	s_or_b64 s[0:1], vcc, s[0:1]
	s_and_saveexec_b64 s[2:3], s[0:1]
	s_cbranch_execz .LBB28_41
; %bb.5:
	s_load_dwordx4 s[0:3], s[4:5], 0x18
	s_load_dwordx2 s[8:9], s[4:5], 0x28
	s_waitcnt lgkmcnt(0)
	s_cmp_eq_u64 s[0:1], 0
	s_cbranch_scc1 .LBB28_7
; %bb.6:
	s_ashr_i32 s7, s6, 31
	s_lshl_b64 s[6:7], s[6:7], 2
	s_add_u32 s0, s0, s6
	s_addc_u32 s1, s1, s7
	s_load_dword s0, s[0:1], 0x0
	s_waitcnt lgkmcnt(0)
	s_sub_i32 s6, s0, s14
.LBB28_7:
	s_load_dword s0, s[4:5], 0x4
	s_load_dwordx2 s[12:13], s[4:5], 0x50
	v_mul_u32_u24_e32 v7, 0x8d4, v0
	v_mov_b32_e32 v5, 29
	v_mul_lo_u16_sdwa v5, v7, v5 dst_sel:DWORD dst_unused:UNUSED_PAD src0_sel:WORD_1 src1_sel:DWORD
	s_waitcnt lgkmcnt(0)
	s_cmp_eq_u32 s0, 1
	s_cselect_b64 vcc, -1, 0
	s_cmp_lg_u32 s0, 1
	s_cselect_b64 s[16:17], -1, 0
	s_ashr_i32 s7, s6, 31
	s_lshl_b64 s[0:1], s[6:7], 2
	s_add_u32 s2, s2, s0
	s_addc_u32 s3, s3, s1
	s_load_dword s7, s[2:3], 0x0
	s_add_u32 s2, s2, 4
	s_addc_u32 s3, s3, 0
	s_add_u32 s0, s8, s0
	s_addc_u32 s1, s9, s1
	s_cmp_eq_u64 s[8:9], 0
	s_cselect_b32 s1, s3, s1
	s_cselect_b32 s0, s2, s0
	s_load_dword s0, s[0:1], 0x0
	v_sub_u16_e32 v13, v0, v5
	v_mov_b32_e32 v5, 0
	v_mov_b32_e32 v6, 0
	v_lshlrev_b32_e32 v12, 3, v0
	s_waitcnt lgkmcnt(0)
	s_cmp_ge_i32 s7, s0
	s_cbranch_scc1 .LBB28_12
; %bb.8:
	s_load_dwordx4 s[8:11], s[4:5], 0x30
	s_load_dwordx2 s[2:3], s[4:5], 0x40
	s_sub_i32 s4, s0, s14
	s_mov_b32 s0, 0xffff
	s_movk_i32 s1, 0x349
	v_and_b32_sdwa v5, s0, v7 dst_sel:DWORD dst_unused:UNUSED_PAD src0_sel:DWORD src1_sel:WORD_1
	v_subrev_u32_e32 v6, 29, v5
	v_cmp_gt_u32_e64 s[0:1], s1, v0
	s_sub_i32 s5, s7, s14
	v_cndmask_b32_e64 v5, v6, v5, s[0:1]
	s_mul_i32 s1, s5, 0x1a48
	s_mul_hi_i32 s0, s5, 0x1a48
	s_waitcnt lgkmcnt(0)
	s_add_u32 s1, s10, s1
	s_addc_u32 s0, s11, s0
	v_cndmask_b32_e32 v7, v13, v5, vcc
	v_mov_b32_e32 v5, s0
	v_add_co_u32_e32 v8, vcc, s1, v12
	v_addc_co_u32_e32 v9, vcc, 0, v5, vcc
	s_movk_i32 s0, 0x348
	v_mov_b32_e32 v5, 0
	v_cmp_lt_u32_e32 vcc, s0, v0
	v_mov_b32_e32 v6, 0
	v_cndmask_b32_e64 v14, 0, 1, vcc
	s_branch .LBB28_10
.LBB28_9:                               ;   in Loop: Header=BB28_10 Depth=1
	s_or_b64 exec, exec, s[0:1]
	s_add_i32 s5, s5, 1
	s_cmp_lt_i32 s5, s4
	s_cbranch_scc0 .LBB28_12
.LBB28_10:                              ; =>This Inner Loop Header: Depth=1
	v_add_u32_e32 v10, s5, v14
	v_cmp_gt_i32_e32 vcc, s4, v10
	s_and_saveexec_b64 s[0:1], vcc
	s_cbranch_execz .LBB28_9
; %bb.11:                               ;   in Loop: Header=BB28_10 Depth=1
	v_ashrrev_i32_e32 v11, 31, v10
	v_lshlrev_b64 v[10:11], 2, v[10:11]
	v_mov_b32_e32 v15, s9
	v_add_co_u32_e32 v10, vcc, s8, v10
	v_addc_co_u32_e32 v11, vcc, v15, v11, vcc
	global_load_dword v10, v[10:11], off
	v_mov_b32_e32 v17, s3
	global_load_dwordx2 v[15:16], v[8:9], off
	s_waitcnt vmcnt(1)
	v_subrev_u32_e32 v10, s14, v10
	v_mad_u64_u32 v[10:11], s[10:11], v10, 29, v[7:8]
	v_ashrrev_i32_e32 v11, 31, v10
	v_lshlrev_b64 v[10:11], 3, v[10:11]
	v_add_co_u32_e32 v10, vcc, s2, v10
	v_addc_co_u32_e32 v11, vcc, v17, v11, vcc
	global_load_dwordx2 v[10:11], v[10:11], off
	v_add_co_u32_e32 v8, vcc, 0x1a48, v8
	v_addc_co_u32_e32 v9, vcc, 0, v9, vcc
	s_waitcnt vmcnt(0)
	v_fma_f64 v[5:6], v[15:16], v[10:11], v[5:6]
	s_branch .LBB28_9
.LBB28_12:
	s_and_b64 vcc, exec, s[16:17]
	ds_write_b64 v12, v[5:6]
	s_waitcnt lgkmcnt(0)
	s_barrier
	s_cbranch_vccz .LBB28_24
; %bb.13:
	v_cmp_gt_u16_e32 vcc, 13, v13
	s_and_saveexec_b64 s[0:1], vcc
	s_cbranch_execz .LBB28_15
; %bb.14:
	ds_read2_b64 v[7:10], v12 offset1:16
	s_waitcnt lgkmcnt(0)
	v_add_f64 v[7:8], v[9:10], v[7:8]
	ds_write_b64 v12, v[7:8]
.LBB28_15:
	s_or_b64 exec, exec, s[0:1]
	v_cmp_gt_u16_e32 vcc, 8, v13
	s_waitcnt lgkmcnt(0)
	s_barrier
	s_and_saveexec_b64 s[0:1], vcc
	s_cbranch_execz .LBB28_17
; %bb.16:
	ds_read2_b64 v[7:10], v12 offset1:8
	s_waitcnt lgkmcnt(0)
	v_add_f64 v[7:8], v[9:10], v[7:8]
	ds_write_b64 v12, v[7:8]
.LBB28_17:
	s_or_b64 exec, exec, s[0:1]
	v_cmp_gt_u16_e32 vcc, 4, v13
	s_waitcnt lgkmcnt(0)
	s_barrier
	;; [unrolled: 12-line block ×3, first 2 shown]
	s_and_saveexec_b64 s[0:1], vcc
	s_cbranch_execz .LBB28_21
; %bb.20:
	ds_read2_b64 v[7:10], v12 offset1:2
	s_waitcnt lgkmcnt(0)
	v_add_f64 v[7:8], v[9:10], v[7:8]
	ds_write_b64 v12, v[7:8]
.LBB28_21:
	s_or_b64 exec, exec, s[0:1]
	v_mov_b32_e32 v8, v6
	v_cmp_gt_u32_e32 vcc, 29, v0
	v_mov_b32_e32 v7, v5
	s_waitcnt lgkmcnt(0)
	s_barrier
	s_and_saveexec_b64 s[0:1], vcc
	s_cbranch_execz .LBB28_23
; %bb.22:
	s_movk_i32 s2, 0xe0
	v_mad_u32_u24 v7, v0, s2, v12
	ds_read2_b64 v[7:10], v7 offset1:1
	s_waitcnt lgkmcnt(0)
	v_add_f64 v[7:8], v[7:8], v[9:10]
.LBB28_23:
	s_or_b64 exec, exec, s[0:1]
	s_branch .LBB28_36
.LBB28_24:
                                        ; implicit-def: $vgpr7_vgpr8
	s_cbranch_execz .LBB28_36
; %bb.25:
	s_movk_i32 s0, 0x179
	v_cmp_gt_u32_e32 vcc, s0, v0
	s_and_saveexec_b64 s[0:1], vcc
	s_cbranch_execz .LBB28_27
; %bb.26:
	ds_read_b64 v[7:8], v12 offset:3712
	ds_read_b64 v[9:10], v12
	s_waitcnt lgkmcnt(0)
	v_add_f64 v[7:8], v[7:8], v[9:10]
	ds_write_b64 v12, v[7:8]
.LBB28_27:
	s_or_b64 exec, exec, s[0:1]
	s_movk_i32 s0, 0xe8
	v_cmp_gt_u32_e32 vcc, s0, v0
	s_waitcnt lgkmcnt(0)
	s_barrier
	s_and_saveexec_b64 s[0:1], vcc
	s_cbranch_execz .LBB28_29
; %bb.28:
	ds_read2_b64 v[7:10], v12 offset1:232
	s_waitcnt lgkmcnt(0)
	v_add_f64 v[7:8], v[9:10], v[7:8]
	ds_write_b64 v12, v[7:8]
.LBB28_29:
	s_or_b64 exec, exec, s[0:1]
	s_movk_i32 s0, 0x74
	v_cmp_gt_u32_e32 vcc, s0, v0
	s_waitcnt lgkmcnt(0)
	s_barrier
	s_and_saveexec_b64 s[0:1], vcc
	s_cbranch_execz .LBB28_31
; %bb.30:
	ds_read2_b64 v[7:10], v12 offset1:116
	s_waitcnt lgkmcnt(0)
	v_add_f64 v[7:8], v[9:10], v[7:8]
	ds_write_b64 v12, v[7:8]
.LBB28_31:
	s_or_b64 exec, exec, s[0:1]
	v_cmp_gt_u32_e32 vcc, 58, v0
	s_waitcnt lgkmcnt(0)
	s_barrier
	s_and_saveexec_b64 s[0:1], vcc
	s_cbranch_execz .LBB28_33
; %bb.32:
	ds_read2_b64 v[7:10], v12 offset1:58
	s_waitcnt lgkmcnt(0)
	v_add_f64 v[7:8], v[9:10], v[7:8]
	ds_write_b64 v12, v[7:8]
.LBB28_33:
	s_or_b64 exec, exec, s[0:1]
	v_cmp_gt_u32_e32 vcc, 29, v0
	s_waitcnt lgkmcnt(0)
	s_and_saveexec_b64 s[0:1], vcc
	s_cbranch_execz .LBB28_35
; %bb.34:
	ds_read2_b64 v[5:8], v12 offset1:29
	s_waitcnt lgkmcnt(0)
	v_add_f64 v[5:6], v[5:6], v[7:8]
.LBB28_35:
	s_or_b64 exec, exec, s[0:1]
	v_mov_b32_e32 v8, v6
	v_mov_b32_e32 v7, v5
.LBB28_36:
	v_cmp_gt_u32_e32 vcc, 29, v0
	s_and_b64 exec, exec, vcc
	s_cbranch_execz .LBB28_41
; %bb.37:
	v_cmp_eq_f64_e32 vcc, 0, v[1:2]
	v_mul_f64 v[3:4], v[3:4], v[7:8]
	s_and_saveexec_b64 s[0:1], vcc
	s_xor_b64 s[0:1], exec, s[0:1]
	s_cbranch_execz .LBB28_39
; %bb.38:
	v_mad_u64_u32 v[0:1], s[2:3], s6, 29, v[0:1]
	v_mov_b32_e32 v1, 0
	v_mov_b32_e32 v2, s13
	v_lshlrev_b64 v[0:1], 3, v[0:1]
	v_add_co_u32_e32 v0, vcc, s12, v0
	v_addc_co_u32_e32 v1, vcc, v2, v1, vcc
	global_store_dwordx2 v[0:1], v[3:4], off
                                        ; implicit-def: $vgpr0
                                        ; implicit-def: $vgpr1_vgpr2
                                        ; implicit-def: $vgpr3_vgpr4
.LBB28_39:
	s_andn2_saveexec_b64 s[0:1], s[0:1]
	s_cbranch_execz .LBB28_41
; %bb.40:
	v_mad_u64_u32 v[5:6], s[0:1], s6, 29, v[0:1]
	v_mov_b32_e32 v6, 0
	v_mov_b32_e32 v0, s13
	v_lshlrev_b64 v[5:6], 3, v[5:6]
	v_add_co_u32_e32 v5, vcc, s12, v5
	v_addc_co_u32_e32 v6, vcc, v0, v6, vcc
	global_load_dwordx2 v[7:8], v[5:6], off
	s_waitcnt vmcnt(0)
	v_fma_f64 v[0:1], v[1:2], v[7:8], v[3:4]
	global_store_dwordx2 v[5:6], v[0:1], off
.LBB28_41:
	s_endpgm
	.section	.rodata,"a",@progbits
	.p2align	6, 0x0
	.amdhsa_kernel _ZN9rocsparseL20bsrxmvn_17_32_kernelILj29EdiidddEEvT2_20rocsparse_direction_NS_24const_host_device_scalarIT0_EES1_PKS1_PKT1_SA_S7_PKT3_PKT4_S5_PT5_21rocsparse_index_base_b
		.amdhsa_group_segment_fixed_size 6728
		.amdhsa_private_segment_fixed_size 0
		.amdhsa_kernarg_size 96
		.amdhsa_user_sgpr_count 6
		.amdhsa_user_sgpr_private_segment_buffer 1
		.amdhsa_user_sgpr_dispatch_ptr 0
		.amdhsa_user_sgpr_queue_ptr 0
		.amdhsa_user_sgpr_kernarg_segment_ptr 1
		.amdhsa_user_sgpr_dispatch_id 0
		.amdhsa_user_sgpr_flat_scratch_init 0
		.amdhsa_user_sgpr_private_segment_size 0
		.amdhsa_uses_dynamic_stack 0
		.amdhsa_system_sgpr_private_segment_wavefront_offset 0
		.amdhsa_system_sgpr_workgroup_id_x 1
		.amdhsa_system_sgpr_workgroup_id_y 0
		.amdhsa_system_sgpr_workgroup_id_z 0
		.amdhsa_system_sgpr_workgroup_info 0
		.amdhsa_system_vgpr_workitem_id 0
		.amdhsa_next_free_vgpr 33
		.amdhsa_next_free_sgpr 77
		.amdhsa_reserve_vcc 1
		.amdhsa_reserve_flat_scratch 0
		.amdhsa_float_round_mode_32 0
		.amdhsa_float_round_mode_16_64 0
		.amdhsa_float_denorm_mode_32 3
		.amdhsa_float_denorm_mode_16_64 3
		.amdhsa_dx10_clamp 1
		.amdhsa_ieee_mode 1
		.amdhsa_fp16_overflow 0
		.amdhsa_exception_fp_ieee_invalid_op 0
		.amdhsa_exception_fp_denorm_src 0
		.amdhsa_exception_fp_ieee_div_zero 0
		.amdhsa_exception_fp_ieee_overflow 0
		.amdhsa_exception_fp_ieee_underflow 0
		.amdhsa_exception_fp_ieee_inexact 0
		.amdhsa_exception_int_div_zero 0
	.end_amdhsa_kernel
	.section	.text._ZN9rocsparseL20bsrxmvn_17_32_kernelILj29EdiidddEEvT2_20rocsparse_direction_NS_24const_host_device_scalarIT0_EES1_PKS1_PKT1_SA_S7_PKT3_PKT4_S5_PT5_21rocsparse_index_base_b,"axG",@progbits,_ZN9rocsparseL20bsrxmvn_17_32_kernelILj29EdiidddEEvT2_20rocsparse_direction_NS_24const_host_device_scalarIT0_EES1_PKS1_PKT1_SA_S7_PKT3_PKT4_S5_PT5_21rocsparse_index_base_b,comdat
.Lfunc_end28:
	.size	_ZN9rocsparseL20bsrxmvn_17_32_kernelILj29EdiidddEEvT2_20rocsparse_direction_NS_24const_host_device_scalarIT0_EES1_PKS1_PKT1_SA_S7_PKT3_PKT4_S5_PT5_21rocsparse_index_base_b, .Lfunc_end28-_ZN9rocsparseL20bsrxmvn_17_32_kernelILj29EdiidddEEvT2_20rocsparse_direction_NS_24const_host_device_scalarIT0_EES1_PKS1_PKT1_SA_S7_PKT3_PKT4_S5_PT5_21rocsparse_index_base_b
                                        ; -- End function
	.set _ZN9rocsparseL20bsrxmvn_17_32_kernelILj29EdiidddEEvT2_20rocsparse_direction_NS_24const_host_device_scalarIT0_EES1_PKS1_PKT1_SA_S7_PKT3_PKT4_S5_PT5_21rocsparse_index_base_b.num_vgpr, 18
	.set _ZN9rocsparseL20bsrxmvn_17_32_kernelILj29EdiidddEEvT2_20rocsparse_direction_NS_24const_host_device_scalarIT0_EES1_PKS1_PKT1_SA_S7_PKT3_PKT4_S5_PT5_21rocsparse_index_base_b.num_agpr, 0
	.set _ZN9rocsparseL20bsrxmvn_17_32_kernelILj29EdiidddEEvT2_20rocsparse_direction_NS_24const_host_device_scalarIT0_EES1_PKS1_PKT1_SA_S7_PKT3_PKT4_S5_PT5_21rocsparse_index_base_b.numbered_sgpr, 18
	.set _ZN9rocsparseL20bsrxmvn_17_32_kernelILj29EdiidddEEvT2_20rocsparse_direction_NS_24const_host_device_scalarIT0_EES1_PKS1_PKT1_SA_S7_PKT3_PKT4_S5_PT5_21rocsparse_index_base_b.num_named_barrier, 0
	.set _ZN9rocsparseL20bsrxmvn_17_32_kernelILj29EdiidddEEvT2_20rocsparse_direction_NS_24const_host_device_scalarIT0_EES1_PKS1_PKT1_SA_S7_PKT3_PKT4_S5_PT5_21rocsparse_index_base_b.private_seg_size, 0
	.set _ZN9rocsparseL20bsrxmvn_17_32_kernelILj29EdiidddEEvT2_20rocsparse_direction_NS_24const_host_device_scalarIT0_EES1_PKS1_PKT1_SA_S7_PKT3_PKT4_S5_PT5_21rocsparse_index_base_b.uses_vcc, 1
	.set _ZN9rocsparseL20bsrxmvn_17_32_kernelILj29EdiidddEEvT2_20rocsparse_direction_NS_24const_host_device_scalarIT0_EES1_PKS1_PKT1_SA_S7_PKT3_PKT4_S5_PT5_21rocsparse_index_base_b.uses_flat_scratch, 0
	.set _ZN9rocsparseL20bsrxmvn_17_32_kernelILj29EdiidddEEvT2_20rocsparse_direction_NS_24const_host_device_scalarIT0_EES1_PKS1_PKT1_SA_S7_PKT3_PKT4_S5_PT5_21rocsparse_index_base_b.has_dyn_sized_stack, 0
	.set _ZN9rocsparseL20bsrxmvn_17_32_kernelILj29EdiidddEEvT2_20rocsparse_direction_NS_24const_host_device_scalarIT0_EES1_PKS1_PKT1_SA_S7_PKT3_PKT4_S5_PT5_21rocsparse_index_base_b.has_recursion, 0
	.set _ZN9rocsparseL20bsrxmvn_17_32_kernelILj29EdiidddEEvT2_20rocsparse_direction_NS_24const_host_device_scalarIT0_EES1_PKS1_PKT1_SA_S7_PKT3_PKT4_S5_PT5_21rocsparse_index_base_b.has_indirect_call, 0
	.section	.AMDGPU.csdata,"",@progbits
; Kernel info:
; codeLenInByte = 1332
; TotalNumSgprs: 22
; NumVgprs: 18
; ScratchSize: 0
; MemoryBound: 0
; FloatMode: 240
; IeeeMode: 1
; LDSByteSize: 6728 bytes/workgroup (compile time only)
; SGPRBlocks: 10
; VGPRBlocks: 8
; NumSGPRsForWavesPerEU: 81
; NumVGPRsForWavesPerEU: 33
; Occupancy: 7
; WaveLimiterHint : 1
; COMPUTE_PGM_RSRC2:SCRATCH_EN: 0
; COMPUTE_PGM_RSRC2:USER_SGPR: 6
; COMPUTE_PGM_RSRC2:TRAP_HANDLER: 0
; COMPUTE_PGM_RSRC2:TGID_X_EN: 1
; COMPUTE_PGM_RSRC2:TGID_Y_EN: 0
; COMPUTE_PGM_RSRC2:TGID_Z_EN: 0
; COMPUTE_PGM_RSRC2:TIDIG_COMP_CNT: 0
	.section	.text._ZN9rocsparseL20bsrxmvn_17_32_kernelILj30EdiidddEEvT2_20rocsparse_direction_NS_24const_host_device_scalarIT0_EES1_PKS1_PKT1_SA_S7_PKT3_PKT4_S5_PT5_21rocsparse_index_base_b,"axG",@progbits,_ZN9rocsparseL20bsrxmvn_17_32_kernelILj30EdiidddEEvT2_20rocsparse_direction_NS_24const_host_device_scalarIT0_EES1_PKS1_PKT1_SA_S7_PKT3_PKT4_S5_PT5_21rocsparse_index_base_b,comdat
	.globl	_ZN9rocsparseL20bsrxmvn_17_32_kernelILj30EdiidddEEvT2_20rocsparse_direction_NS_24const_host_device_scalarIT0_EES1_PKS1_PKT1_SA_S7_PKT3_PKT4_S5_PT5_21rocsparse_index_base_b ; -- Begin function _ZN9rocsparseL20bsrxmvn_17_32_kernelILj30EdiidddEEvT2_20rocsparse_direction_NS_24const_host_device_scalarIT0_EES1_PKS1_PKT1_SA_S7_PKT3_PKT4_S5_PT5_21rocsparse_index_base_b
	.p2align	8
	.type	_ZN9rocsparseL20bsrxmvn_17_32_kernelILj30EdiidddEEvT2_20rocsparse_direction_NS_24const_host_device_scalarIT0_EES1_PKS1_PKT1_SA_S7_PKT3_PKT4_S5_PT5_21rocsparse_index_base_b,@function
_ZN9rocsparseL20bsrxmvn_17_32_kernelILj30EdiidddEEvT2_20rocsparse_direction_NS_24const_host_device_scalarIT0_EES1_PKS1_PKT1_SA_S7_PKT3_PKT4_S5_PT5_21rocsparse_index_base_b: ; @_ZN9rocsparseL20bsrxmvn_17_32_kernelILj30EdiidddEEvT2_20rocsparse_direction_NS_24const_host_device_scalarIT0_EES1_PKS1_PKT1_SA_S7_PKT3_PKT4_S5_PT5_21rocsparse_index_base_b
; %bb.0:
	s_load_dwordx2 s[14:15], s[4:5], 0x58
	s_load_dwordx2 s[8:9], s[4:5], 0x8
	;; [unrolled: 1-line block ×3, first 2 shown]
	s_waitcnt lgkmcnt(0)
	s_bitcmp1_b32 s15, 0
	s_cselect_b64 s[10:11], -1, 0
	v_mov_b32_e32 v3, s8
	s_xor_b64 s[2:3], s[10:11], -1
	s_and_b64 vcc, exec, s[10:11]
	v_mov_b32_e32 v4, s9
	s_cbranch_vccnz .LBB29_2
; %bb.1:
	v_mov_b32_e32 v1, s8
	v_mov_b32_e32 v2, s9
	flat_load_dwordx2 v[3:4], v[1:2]
.LBB29_2:
	v_mov_b32_e32 v2, s1
	s_andn2_b64 vcc, exec, s[2:3]
	v_mov_b32_e32 v1, s0
	s_cbranch_vccnz .LBB29_4
; %bb.3:
	v_mov_b32_e32 v2, s1
	v_mov_b32_e32 v1, s0
	flat_load_dwordx2 v[1:2], v[1:2]
.LBB29_4:
	s_waitcnt vmcnt(0) lgkmcnt(0)
	v_cmp_neq_f64_e32 vcc, 0, v[3:4]
	v_cmp_neq_f64_e64 s[0:1], 1.0, v[1:2]
	s_or_b64 s[0:1], vcc, s[0:1]
	s_and_saveexec_b64 s[2:3], s[0:1]
	s_cbranch_execz .LBB29_41
; %bb.5:
	s_load_dwordx4 s[0:3], s[4:5], 0x18
	s_load_dwordx2 s[8:9], s[4:5], 0x28
	s_waitcnt lgkmcnt(0)
	s_cmp_eq_u64 s[0:1], 0
	s_cbranch_scc1 .LBB29_7
; %bb.6:
	s_ashr_i32 s7, s6, 31
	s_lshl_b64 s[6:7], s[6:7], 2
	s_add_u32 s0, s0, s6
	s_addc_u32 s1, s1, s7
	s_load_dword s0, s[0:1], 0x0
	s_waitcnt lgkmcnt(0)
	s_sub_i32 s6, s0, s14
.LBB29_7:
	s_load_dword s0, s[4:5], 0x4
	s_load_dwordx2 s[12:13], s[4:5], 0x50
	v_mul_u32_u24_e32 v7, 0x889, v0
	v_mov_b32_e32 v5, 30
	v_mul_lo_u16_sdwa v5, v7, v5 dst_sel:DWORD dst_unused:UNUSED_PAD src0_sel:WORD_1 src1_sel:DWORD
	s_waitcnt lgkmcnt(0)
	s_cmp_eq_u32 s0, 1
	s_cselect_b64 vcc, -1, 0
	s_cmp_lg_u32 s0, 1
	s_cselect_b64 s[16:17], -1, 0
	s_ashr_i32 s7, s6, 31
	s_lshl_b64 s[0:1], s[6:7], 2
	s_add_u32 s2, s2, s0
	s_addc_u32 s3, s3, s1
	s_load_dword s7, s[2:3], 0x0
	s_add_u32 s2, s2, 4
	s_addc_u32 s3, s3, 0
	s_add_u32 s0, s8, s0
	s_addc_u32 s1, s9, s1
	s_cmp_eq_u64 s[8:9], 0
	s_cselect_b32 s1, s3, s1
	s_cselect_b32 s0, s2, s0
	s_load_dword s0, s[0:1], 0x0
	v_sub_u16_e32 v13, v0, v5
	v_mov_b32_e32 v5, 0
	v_mov_b32_e32 v6, 0
	v_lshlrev_b32_e32 v12, 3, v0
	s_waitcnt lgkmcnt(0)
	s_cmp_ge_i32 s7, s0
	s_cbranch_scc1 .LBB29_12
; %bb.8:
	s_load_dwordx4 s[8:11], s[4:5], 0x30
	s_load_dwordx2 s[2:3], s[4:5], 0x40
	s_sub_i32 s4, s0, s14
	s_mov_b32 s0, 0xffff
	s_movk_i32 s1, 0x384
	v_and_b32_sdwa v5, s0, v7 dst_sel:DWORD dst_unused:UNUSED_PAD src0_sel:DWORD src1_sel:WORD_1
	v_subrev_u32_e32 v6, 30, v5
	v_cmp_gt_u32_e64 s[0:1], s1, v0
	s_sub_i32 s5, s7, s14
	v_cndmask_b32_e64 v5, v6, v5, s[0:1]
	s_mul_i32 s1, s5, 0x1c20
	s_mul_hi_i32 s0, s5, 0x1c20
	s_waitcnt lgkmcnt(0)
	s_add_u32 s1, s10, s1
	s_addc_u32 s0, s11, s0
	v_cndmask_b32_e32 v7, v13, v5, vcc
	v_mov_b32_e32 v5, s0
	v_add_co_u32_e32 v8, vcc, s1, v12
	v_addc_co_u32_e32 v9, vcc, 0, v5, vcc
	s_movk_i32 s0, 0x383
	v_mov_b32_e32 v5, 0
	v_cmp_lt_u32_e32 vcc, s0, v0
	v_mov_b32_e32 v6, 0
	v_cndmask_b32_e64 v14, 0, 1, vcc
	s_branch .LBB29_10
.LBB29_9:                               ;   in Loop: Header=BB29_10 Depth=1
	s_or_b64 exec, exec, s[0:1]
	s_add_i32 s5, s5, 1
	s_cmp_lt_i32 s5, s4
	s_cbranch_scc0 .LBB29_12
.LBB29_10:                              ; =>This Inner Loop Header: Depth=1
	v_add_u32_e32 v10, s5, v14
	v_cmp_gt_i32_e32 vcc, s4, v10
	s_and_saveexec_b64 s[0:1], vcc
	s_cbranch_execz .LBB29_9
; %bb.11:                               ;   in Loop: Header=BB29_10 Depth=1
	v_ashrrev_i32_e32 v11, 31, v10
	v_lshlrev_b64 v[10:11], 2, v[10:11]
	v_mov_b32_e32 v15, s9
	v_add_co_u32_e32 v10, vcc, s8, v10
	v_addc_co_u32_e32 v11, vcc, v15, v11, vcc
	global_load_dword v10, v[10:11], off
	v_mov_b32_e32 v17, s3
	global_load_dwordx2 v[15:16], v[8:9], off
	s_waitcnt vmcnt(1)
	v_subrev_u32_e32 v10, s14, v10
	v_mad_u64_u32 v[10:11], s[10:11], v10, 30, v[7:8]
	v_ashrrev_i32_e32 v11, 31, v10
	v_lshlrev_b64 v[10:11], 3, v[10:11]
	v_add_co_u32_e32 v10, vcc, s2, v10
	v_addc_co_u32_e32 v11, vcc, v17, v11, vcc
	global_load_dwordx2 v[10:11], v[10:11], off
	v_add_co_u32_e32 v8, vcc, 0x1c20, v8
	v_addc_co_u32_e32 v9, vcc, 0, v9, vcc
	s_waitcnt vmcnt(0)
	v_fma_f64 v[5:6], v[15:16], v[10:11], v[5:6]
	s_branch .LBB29_9
.LBB29_12:
	s_and_b64 vcc, exec, s[16:17]
	ds_write_b64 v12, v[5:6]
	s_waitcnt lgkmcnt(0)
	s_barrier
	s_cbranch_vccz .LBB29_24
; %bb.13:
	v_cmp_gt_u16_e32 vcc, 14, v13
	s_and_saveexec_b64 s[0:1], vcc
	s_cbranch_execz .LBB29_15
; %bb.14:
	ds_read2_b64 v[7:10], v12 offset1:16
	s_waitcnt lgkmcnt(0)
	v_add_f64 v[7:8], v[9:10], v[7:8]
	ds_write_b64 v12, v[7:8]
.LBB29_15:
	s_or_b64 exec, exec, s[0:1]
	v_cmp_gt_u16_e32 vcc, 8, v13
	s_waitcnt lgkmcnt(0)
	s_barrier
	s_and_saveexec_b64 s[0:1], vcc
	s_cbranch_execz .LBB29_17
; %bb.16:
	ds_read2_b64 v[7:10], v12 offset1:8
	s_waitcnt lgkmcnt(0)
	v_add_f64 v[7:8], v[9:10], v[7:8]
	ds_write_b64 v12, v[7:8]
.LBB29_17:
	s_or_b64 exec, exec, s[0:1]
	v_cmp_gt_u16_e32 vcc, 4, v13
	s_waitcnt lgkmcnt(0)
	s_barrier
	;; [unrolled: 12-line block ×3, first 2 shown]
	s_and_saveexec_b64 s[0:1], vcc
	s_cbranch_execz .LBB29_21
; %bb.20:
	ds_read2_b64 v[7:10], v12 offset1:2
	s_waitcnt lgkmcnt(0)
	v_add_f64 v[7:8], v[9:10], v[7:8]
	ds_write_b64 v12, v[7:8]
.LBB29_21:
	s_or_b64 exec, exec, s[0:1]
	v_mov_b32_e32 v8, v6
	v_cmp_gt_u32_e32 vcc, 30, v0
	v_mov_b32_e32 v7, v5
	s_waitcnt lgkmcnt(0)
	s_barrier
	s_and_saveexec_b64 s[0:1], vcc
	s_cbranch_execz .LBB29_23
; %bb.22:
	s_movk_i32 s2, 0xe8
	v_mad_u32_u24 v7, v0, s2, v12
	ds_read_b128 v[7:10], v7
	s_waitcnt lgkmcnt(0)
	v_add_f64 v[7:8], v[7:8], v[9:10]
.LBB29_23:
	s_or_b64 exec, exec, s[0:1]
	s_branch .LBB29_36
.LBB29_24:
                                        ; implicit-def: $vgpr7_vgpr8
	s_cbranch_execz .LBB29_36
; %bb.25:
	s_movk_i32 s0, 0x1a4
	v_cmp_gt_u32_e32 vcc, s0, v0
	s_and_saveexec_b64 s[0:1], vcc
	s_cbranch_execz .LBB29_27
; %bb.26:
	ds_read_b64 v[7:8], v12 offset:3840
	ds_read_b64 v[9:10], v12
	s_waitcnt lgkmcnt(0)
	v_add_f64 v[7:8], v[7:8], v[9:10]
	ds_write_b64 v12, v[7:8]
.LBB29_27:
	s_or_b64 exec, exec, s[0:1]
	s_movk_i32 s0, 0xf0
	v_cmp_gt_u32_e32 vcc, s0, v0
	s_waitcnt lgkmcnt(0)
	s_barrier
	s_and_saveexec_b64 s[0:1], vcc
	s_cbranch_execz .LBB29_29
; %bb.28:
	ds_read2_b64 v[7:10], v12 offset1:240
	s_waitcnt lgkmcnt(0)
	v_add_f64 v[7:8], v[9:10], v[7:8]
	ds_write_b64 v12, v[7:8]
.LBB29_29:
	s_or_b64 exec, exec, s[0:1]
	s_movk_i32 s0, 0x78
	v_cmp_gt_u32_e32 vcc, s0, v0
	s_waitcnt lgkmcnt(0)
	s_barrier
	s_and_saveexec_b64 s[0:1], vcc
	s_cbranch_execz .LBB29_31
; %bb.30:
	ds_read2_b64 v[7:10], v12 offset1:120
	s_waitcnt lgkmcnt(0)
	v_add_f64 v[7:8], v[9:10], v[7:8]
	ds_write_b64 v12, v[7:8]
.LBB29_31:
	s_or_b64 exec, exec, s[0:1]
	v_cmp_gt_u32_e32 vcc, 60, v0
	s_waitcnt lgkmcnt(0)
	s_barrier
	s_and_saveexec_b64 s[0:1], vcc
	s_cbranch_execz .LBB29_33
; %bb.32:
	ds_read2_b64 v[7:10], v12 offset1:60
	s_waitcnt lgkmcnt(0)
	v_add_f64 v[7:8], v[9:10], v[7:8]
	ds_write_b64 v12, v[7:8]
.LBB29_33:
	s_or_b64 exec, exec, s[0:1]
	v_cmp_gt_u32_e32 vcc, 30, v0
	s_waitcnt lgkmcnt(0)
	s_and_saveexec_b64 s[0:1], vcc
	s_cbranch_execz .LBB29_35
; %bb.34:
	ds_read2_b64 v[5:8], v12 offset1:30
	s_waitcnt lgkmcnt(0)
	v_add_f64 v[5:6], v[5:6], v[7:8]
.LBB29_35:
	s_or_b64 exec, exec, s[0:1]
	v_mov_b32_e32 v8, v6
	v_mov_b32_e32 v7, v5
.LBB29_36:
	v_cmp_gt_u32_e32 vcc, 30, v0
	s_and_b64 exec, exec, vcc
	s_cbranch_execz .LBB29_41
; %bb.37:
	v_cmp_eq_f64_e32 vcc, 0, v[1:2]
	v_mul_f64 v[3:4], v[3:4], v[7:8]
	s_and_saveexec_b64 s[0:1], vcc
	s_xor_b64 s[0:1], exec, s[0:1]
	s_cbranch_execz .LBB29_39
; %bb.38:
	v_mad_u64_u32 v[0:1], s[2:3], s6, 30, v[0:1]
	v_mov_b32_e32 v1, 0
	v_mov_b32_e32 v2, s13
	v_lshlrev_b64 v[0:1], 3, v[0:1]
	v_add_co_u32_e32 v0, vcc, s12, v0
	v_addc_co_u32_e32 v1, vcc, v2, v1, vcc
	global_store_dwordx2 v[0:1], v[3:4], off
                                        ; implicit-def: $vgpr0
                                        ; implicit-def: $vgpr1_vgpr2
                                        ; implicit-def: $vgpr3_vgpr4
.LBB29_39:
	s_andn2_saveexec_b64 s[0:1], s[0:1]
	s_cbranch_execz .LBB29_41
; %bb.40:
	v_mad_u64_u32 v[5:6], s[0:1], s6, 30, v[0:1]
	v_mov_b32_e32 v6, 0
	v_mov_b32_e32 v0, s13
	v_lshlrev_b64 v[5:6], 3, v[5:6]
	v_add_co_u32_e32 v5, vcc, s12, v5
	v_addc_co_u32_e32 v6, vcc, v0, v6, vcc
	global_load_dwordx2 v[7:8], v[5:6], off
	s_waitcnt vmcnt(0)
	v_fma_f64 v[0:1], v[1:2], v[7:8], v[3:4]
	global_store_dwordx2 v[5:6], v[0:1], off
.LBB29_41:
	s_endpgm
	.section	.rodata,"a",@progbits
	.p2align	6, 0x0
	.amdhsa_kernel _ZN9rocsparseL20bsrxmvn_17_32_kernelILj30EdiidddEEvT2_20rocsparse_direction_NS_24const_host_device_scalarIT0_EES1_PKS1_PKT1_SA_S7_PKT3_PKT4_S5_PT5_21rocsparse_index_base_b
		.amdhsa_group_segment_fixed_size 7200
		.amdhsa_private_segment_fixed_size 0
		.amdhsa_kernarg_size 96
		.amdhsa_user_sgpr_count 6
		.amdhsa_user_sgpr_private_segment_buffer 1
		.amdhsa_user_sgpr_dispatch_ptr 0
		.amdhsa_user_sgpr_queue_ptr 0
		.amdhsa_user_sgpr_kernarg_segment_ptr 1
		.amdhsa_user_sgpr_dispatch_id 0
		.amdhsa_user_sgpr_flat_scratch_init 0
		.amdhsa_user_sgpr_private_segment_size 0
		.amdhsa_uses_dynamic_stack 0
		.amdhsa_system_sgpr_private_segment_wavefront_offset 0
		.amdhsa_system_sgpr_workgroup_id_x 1
		.amdhsa_system_sgpr_workgroup_id_y 0
		.amdhsa_system_sgpr_workgroup_id_z 0
		.amdhsa_system_sgpr_workgroup_info 0
		.amdhsa_system_vgpr_workitem_id 0
		.amdhsa_next_free_vgpr 29
		.amdhsa_next_free_sgpr 61
		.amdhsa_reserve_vcc 1
		.amdhsa_reserve_flat_scratch 0
		.amdhsa_float_round_mode_32 0
		.amdhsa_float_round_mode_16_64 0
		.amdhsa_float_denorm_mode_32 3
		.amdhsa_float_denorm_mode_16_64 3
		.amdhsa_dx10_clamp 1
		.amdhsa_ieee_mode 1
		.amdhsa_fp16_overflow 0
		.amdhsa_exception_fp_ieee_invalid_op 0
		.amdhsa_exception_fp_denorm_src 0
		.amdhsa_exception_fp_ieee_div_zero 0
		.amdhsa_exception_fp_ieee_overflow 0
		.amdhsa_exception_fp_ieee_underflow 0
		.amdhsa_exception_fp_ieee_inexact 0
		.amdhsa_exception_int_div_zero 0
	.end_amdhsa_kernel
	.section	.text._ZN9rocsparseL20bsrxmvn_17_32_kernelILj30EdiidddEEvT2_20rocsparse_direction_NS_24const_host_device_scalarIT0_EES1_PKS1_PKT1_SA_S7_PKT3_PKT4_S5_PT5_21rocsparse_index_base_b,"axG",@progbits,_ZN9rocsparseL20bsrxmvn_17_32_kernelILj30EdiidddEEvT2_20rocsparse_direction_NS_24const_host_device_scalarIT0_EES1_PKS1_PKT1_SA_S7_PKT3_PKT4_S5_PT5_21rocsparse_index_base_b,comdat
.Lfunc_end29:
	.size	_ZN9rocsparseL20bsrxmvn_17_32_kernelILj30EdiidddEEvT2_20rocsparse_direction_NS_24const_host_device_scalarIT0_EES1_PKS1_PKT1_SA_S7_PKT3_PKT4_S5_PT5_21rocsparse_index_base_b, .Lfunc_end29-_ZN9rocsparseL20bsrxmvn_17_32_kernelILj30EdiidddEEvT2_20rocsparse_direction_NS_24const_host_device_scalarIT0_EES1_PKS1_PKT1_SA_S7_PKT3_PKT4_S5_PT5_21rocsparse_index_base_b
                                        ; -- End function
	.set _ZN9rocsparseL20bsrxmvn_17_32_kernelILj30EdiidddEEvT2_20rocsparse_direction_NS_24const_host_device_scalarIT0_EES1_PKS1_PKT1_SA_S7_PKT3_PKT4_S5_PT5_21rocsparse_index_base_b.num_vgpr, 18
	.set _ZN9rocsparseL20bsrxmvn_17_32_kernelILj30EdiidddEEvT2_20rocsparse_direction_NS_24const_host_device_scalarIT0_EES1_PKS1_PKT1_SA_S7_PKT3_PKT4_S5_PT5_21rocsparse_index_base_b.num_agpr, 0
	.set _ZN9rocsparseL20bsrxmvn_17_32_kernelILj30EdiidddEEvT2_20rocsparse_direction_NS_24const_host_device_scalarIT0_EES1_PKS1_PKT1_SA_S7_PKT3_PKT4_S5_PT5_21rocsparse_index_base_b.numbered_sgpr, 18
	.set _ZN9rocsparseL20bsrxmvn_17_32_kernelILj30EdiidddEEvT2_20rocsparse_direction_NS_24const_host_device_scalarIT0_EES1_PKS1_PKT1_SA_S7_PKT3_PKT4_S5_PT5_21rocsparse_index_base_b.num_named_barrier, 0
	.set _ZN9rocsparseL20bsrxmvn_17_32_kernelILj30EdiidddEEvT2_20rocsparse_direction_NS_24const_host_device_scalarIT0_EES1_PKS1_PKT1_SA_S7_PKT3_PKT4_S5_PT5_21rocsparse_index_base_b.private_seg_size, 0
	.set _ZN9rocsparseL20bsrxmvn_17_32_kernelILj30EdiidddEEvT2_20rocsparse_direction_NS_24const_host_device_scalarIT0_EES1_PKS1_PKT1_SA_S7_PKT3_PKT4_S5_PT5_21rocsparse_index_base_b.uses_vcc, 1
	.set _ZN9rocsparseL20bsrxmvn_17_32_kernelILj30EdiidddEEvT2_20rocsparse_direction_NS_24const_host_device_scalarIT0_EES1_PKS1_PKT1_SA_S7_PKT3_PKT4_S5_PT5_21rocsparse_index_base_b.uses_flat_scratch, 0
	.set _ZN9rocsparseL20bsrxmvn_17_32_kernelILj30EdiidddEEvT2_20rocsparse_direction_NS_24const_host_device_scalarIT0_EES1_PKS1_PKT1_SA_S7_PKT3_PKT4_S5_PT5_21rocsparse_index_base_b.has_dyn_sized_stack, 0
	.set _ZN9rocsparseL20bsrxmvn_17_32_kernelILj30EdiidddEEvT2_20rocsparse_direction_NS_24const_host_device_scalarIT0_EES1_PKS1_PKT1_SA_S7_PKT3_PKT4_S5_PT5_21rocsparse_index_base_b.has_recursion, 0
	.set _ZN9rocsparseL20bsrxmvn_17_32_kernelILj30EdiidddEEvT2_20rocsparse_direction_NS_24const_host_device_scalarIT0_EES1_PKS1_PKT1_SA_S7_PKT3_PKT4_S5_PT5_21rocsparse_index_base_b.has_indirect_call, 0
	.section	.AMDGPU.csdata,"",@progbits
; Kernel info:
; codeLenInByte = 1332
; TotalNumSgprs: 22
; NumVgprs: 18
; ScratchSize: 0
; MemoryBound: 0
; FloatMode: 240
; IeeeMode: 1
; LDSByteSize: 7200 bytes/workgroup (compile time only)
; SGPRBlocks: 8
; VGPRBlocks: 7
; NumSGPRsForWavesPerEU: 65
; NumVGPRsForWavesPerEU: 29
; Occupancy: 8
; WaveLimiterHint : 1
; COMPUTE_PGM_RSRC2:SCRATCH_EN: 0
; COMPUTE_PGM_RSRC2:USER_SGPR: 6
; COMPUTE_PGM_RSRC2:TRAP_HANDLER: 0
; COMPUTE_PGM_RSRC2:TGID_X_EN: 1
; COMPUTE_PGM_RSRC2:TGID_Y_EN: 0
; COMPUTE_PGM_RSRC2:TGID_Z_EN: 0
; COMPUTE_PGM_RSRC2:TIDIG_COMP_CNT: 0
	.section	.text._ZN9rocsparseL20bsrxmvn_17_32_kernelILj31EdiidddEEvT2_20rocsparse_direction_NS_24const_host_device_scalarIT0_EES1_PKS1_PKT1_SA_S7_PKT3_PKT4_S5_PT5_21rocsparse_index_base_b,"axG",@progbits,_ZN9rocsparseL20bsrxmvn_17_32_kernelILj31EdiidddEEvT2_20rocsparse_direction_NS_24const_host_device_scalarIT0_EES1_PKS1_PKT1_SA_S7_PKT3_PKT4_S5_PT5_21rocsparse_index_base_b,comdat
	.globl	_ZN9rocsparseL20bsrxmvn_17_32_kernelILj31EdiidddEEvT2_20rocsparse_direction_NS_24const_host_device_scalarIT0_EES1_PKS1_PKT1_SA_S7_PKT3_PKT4_S5_PT5_21rocsparse_index_base_b ; -- Begin function _ZN9rocsparseL20bsrxmvn_17_32_kernelILj31EdiidddEEvT2_20rocsparse_direction_NS_24const_host_device_scalarIT0_EES1_PKS1_PKT1_SA_S7_PKT3_PKT4_S5_PT5_21rocsparse_index_base_b
	.p2align	8
	.type	_ZN9rocsparseL20bsrxmvn_17_32_kernelILj31EdiidddEEvT2_20rocsparse_direction_NS_24const_host_device_scalarIT0_EES1_PKS1_PKT1_SA_S7_PKT3_PKT4_S5_PT5_21rocsparse_index_base_b,@function
_ZN9rocsparseL20bsrxmvn_17_32_kernelILj31EdiidddEEvT2_20rocsparse_direction_NS_24const_host_device_scalarIT0_EES1_PKS1_PKT1_SA_S7_PKT3_PKT4_S5_PT5_21rocsparse_index_base_b: ; @_ZN9rocsparseL20bsrxmvn_17_32_kernelILj31EdiidddEEvT2_20rocsparse_direction_NS_24const_host_device_scalarIT0_EES1_PKS1_PKT1_SA_S7_PKT3_PKT4_S5_PT5_21rocsparse_index_base_b
; %bb.0:
	s_load_dwordx2 s[14:15], s[4:5], 0x58
	s_load_dwordx2 s[8:9], s[4:5], 0x8
	;; [unrolled: 1-line block ×3, first 2 shown]
	s_waitcnt lgkmcnt(0)
	s_bitcmp1_b32 s15, 0
	s_cselect_b64 s[10:11], -1, 0
	v_mov_b32_e32 v3, s8
	s_xor_b64 s[2:3], s[10:11], -1
	s_and_b64 vcc, exec, s[10:11]
	v_mov_b32_e32 v4, s9
	s_cbranch_vccnz .LBB30_2
; %bb.1:
	v_mov_b32_e32 v1, s8
	v_mov_b32_e32 v2, s9
	flat_load_dwordx2 v[3:4], v[1:2]
.LBB30_2:
	v_mov_b32_e32 v2, s1
	s_andn2_b64 vcc, exec, s[2:3]
	v_mov_b32_e32 v1, s0
	s_cbranch_vccnz .LBB30_4
; %bb.3:
	v_mov_b32_e32 v2, s1
	v_mov_b32_e32 v1, s0
	flat_load_dwordx2 v[1:2], v[1:2]
.LBB30_4:
	s_waitcnt vmcnt(0) lgkmcnt(0)
	v_cmp_neq_f64_e32 vcc, 0, v[3:4]
	v_cmp_neq_f64_e64 s[0:1], 1.0, v[1:2]
	s_or_b64 s[0:1], vcc, s[0:1]
	s_and_saveexec_b64 s[2:3], s[0:1]
	s_cbranch_execz .LBB30_41
; %bb.5:
	s_load_dwordx4 s[0:3], s[4:5], 0x18
	s_load_dwordx2 s[8:9], s[4:5], 0x28
	s_waitcnt lgkmcnt(0)
	s_cmp_eq_u64 s[0:1], 0
	s_cbranch_scc1 .LBB30_7
; %bb.6:
	s_ashr_i32 s7, s6, 31
	s_lshl_b64 s[6:7], s[6:7], 2
	s_add_u32 s0, s0, s6
	s_addc_u32 s1, s1, s7
	s_load_dword s0, s[0:1], 0x0
	s_waitcnt lgkmcnt(0)
	s_sub_i32 s6, s0, s14
.LBB30_7:
	s_load_dword s0, s[4:5], 0x4
	s_load_dwordx2 s[12:13], s[4:5], 0x50
	v_mul_u32_u24_e32 v7, 0x843, v0
	v_mov_b32_e32 v5, 31
	v_mul_lo_u16_sdwa v5, v7, v5 dst_sel:DWORD dst_unused:UNUSED_PAD src0_sel:WORD_1 src1_sel:DWORD
	s_waitcnt lgkmcnt(0)
	s_cmp_eq_u32 s0, 1
	s_cselect_b64 vcc, -1, 0
	s_cmp_lg_u32 s0, 1
	s_cselect_b64 s[16:17], -1, 0
	s_ashr_i32 s7, s6, 31
	s_lshl_b64 s[0:1], s[6:7], 2
	s_add_u32 s2, s2, s0
	s_addc_u32 s3, s3, s1
	s_load_dword s7, s[2:3], 0x0
	s_add_u32 s2, s2, 4
	s_addc_u32 s3, s3, 0
	s_add_u32 s0, s8, s0
	s_addc_u32 s1, s9, s1
	s_cmp_eq_u64 s[8:9], 0
	s_cselect_b32 s1, s3, s1
	s_cselect_b32 s0, s2, s0
	s_load_dword s0, s[0:1], 0x0
	v_sub_u16_e32 v13, v0, v5
	v_mov_b32_e32 v5, 0
	v_mov_b32_e32 v6, 0
	v_lshlrev_b32_e32 v12, 3, v0
	s_waitcnt lgkmcnt(0)
	s_cmp_ge_i32 s7, s0
	s_cbranch_scc1 .LBB30_12
; %bb.8:
	s_load_dwordx4 s[8:11], s[4:5], 0x30
	s_load_dwordx2 s[2:3], s[4:5], 0x40
	s_sub_i32 s4, s0, s14
	s_mov_b32 s0, 0xffff
	s_movk_i32 s1, 0x3c1
	v_and_b32_sdwa v5, s0, v7 dst_sel:DWORD dst_unused:UNUSED_PAD src0_sel:DWORD src1_sel:WORD_1
	v_subrev_u32_e32 v6, 31, v5
	v_cmp_gt_u32_e64 s[0:1], s1, v0
	s_sub_i32 s5, s7, s14
	v_cndmask_b32_e64 v5, v6, v5, s[0:1]
	s_mul_i32 s1, s5, 0x1e08
	s_mul_hi_i32 s0, s5, 0x1e08
	s_waitcnt lgkmcnt(0)
	s_add_u32 s1, s10, s1
	s_addc_u32 s0, s11, s0
	v_cndmask_b32_e32 v7, v13, v5, vcc
	v_mov_b32_e32 v5, s0
	v_add_co_u32_e32 v8, vcc, s1, v12
	v_addc_co_u32_e32 v9, vcc, 0, v5, vcc
	s_movk_i32 s0, 0x3c0
	v_mov_b32_e32 v5, 0
	v_cmp_lt_u32_e32 vcc, s0, v0
	v_mov_b32_e32 v6, 0
	v_cndmask_b32_e64 v14, 0, 1, vcc
	s_branch .LBB30_10
.LBB30_9:                               ;   in Loop: Header=BB30_10 Depth=1
	s_or_b64 exec, exec, s[0:1]
	s_add_i32 s5, s5, 1
	s_cmp_lt_i32 s5, s4
	s_cbranch_scc0 .LBB30_12
.LBB30_10:                              ; =>This Inner Loop Header: Depth=1
	v_add_u32_e32 v10, s5, v14
	v_cmp_gt_i32_e32 vcc, s4, v10
	s_and_saveexec_b64 s[0:1], vcc
	s_cbranch_execz .LBB30_9
; %bb.11:                               ;   in Loop: Header=BB30_10 Depth=1
	v_ashrrev_i32_e32 v11, 31, v10
	v_lshlrev_b64 v[10:11], 2, v[10:11]
	v_mov_b32_e32 v15, s9
	v_add_co_u32_e32 v10, vcc, s8, v10
	v_addc_co_u32_e32 v11, vcc, v15, v11, vcc
	global_load_dword v10, v[10:11], off
	v_mov_b32_e32 v17, s3
	global_load_dwordx2 v[15:16], v[8:9], off
	s_waitcnt vmcnt(1)
	v_subrev_u32_e32 v10, s14, v10
	v_mad_u64_u32 v[10:11], s[10:11], v10, 31, v[7:8]
	v_ashrrev_i32_e32 v11, 31, v10
	v_lshlrev_b64 v[10:11], 3, v[10:11]
	v_add_co_u32_e32 v10, vcc, s2, v10
	v_addc_co_u32_e32 v11, vcc, v17, v11, vcc
	global_load_dwordx2 v[10:11], v[10:11], off
	v_add_co_u32_e32 v8, vcc, 0x1e08, v8
	v_addc_co_u32_e32 v9, vcc, 0, v9, vcc
	s_waitcnt vmcnt(0)
	v_fma_f64 v[5:6], v[15:16], v[10:11], v[5:6]
	s_branch .LBB30_9
.LBB30_12:
	s_and_b64 vcc, exec, s[16:17]
	ds_write_b64 v12, v[5:6]
	s_waitcnt lgkmcnt(0)
	s_barrier
	s_cbranch_vccz .LBB30_24
; %bb.13:
	v_cmp_gt_u16_e32 vcc, 15, v13
	s_and_saveexec_b64 s[0:1], vcc
	s_cbranch_execz .LBB30_15
; %bb.14:
	ds_read2_b64 v[7:10], v12 offset1:16
	s_waitcnt lgkmcnt(0)
	v_add_f64 v[7:8], v[9:10], v[7:8]
	ds_write_b64 v12, v[7:8]
.LBB30_15:
	s_or_b64 exec, exec, s[0:1]
	v_cmp_gt_u16_e32 vcc, 8, v13
	s_waitcnt lgkmcnt(0)
	s_barrier
	s_and_saveexec_b64 s[0:1], vcc
	s_cbranch_execz .LBB30_17
; %bb.16:
	ds_read2_b64 v[7:10], v12 offset1:8
	s_waitcnt lgkmcnt(0)
	v_add_f64 v[7:8], v[9:10], v[7:8]
	ds_write_b64 v12, v[7:8]
.LBB30_17:
	s_or_b64 exec, exec, s[0:1]
	v_cmp_gt_u16_e32 vcc, 4, v13
	s_waitcnt lgkmcnt(0)
	s_barrier
	;; [unrolled: 12-line block ×3, first 2 shown]
	s_and_saveexec_b64 s[0:1], vcc
	s_cbranch_execz .LBB30_21
; %bb.20:
	ds_read2_b64 v[7:10], v12 offset1:2
	s_waitcnt lgkmcnt(0)
	v_add_f64 v[7:8], v[9:10], v[7:8]
	ds_write_b64 v12, v[7:8]
.LBB30_21:
	s_or_b64 exec, exec, s[0:1]
	v_mov_b32_e32 v8, v6
	v_cmp_gt_u32_e32 vcc, 31, v0
	v_mov_b32_e32 v7, v5
	s_waitcnt lgkmcnt(0)
	s_barrier
	s_and_saveexec_b64 s[0:1], vcc
	s_cbranch_execz .LBB30_23
; %bb.22:
	s_movk_i32 s2, 0xf0
	v_mad_u32_u24 v7, v0, s2, v12
	ds_read2_b64 v[7:10], v7 offset1:1
	s_waitcnt lgkmcnt(0)
	v_add_f64 v[7:8], v[7:8], v[9:10]
.LBB30_23:
	s_or_b64 exec, exec, s[0:1]
	s_branch .LBB30_36
.LBB30_24:
                                        ; implicit-def: $vgpr7_vgpr8
	s_cbranch_execz .LBB30_36
; %bb.25:
	s_movk_i32 s0, 0x1d1
	v_cmp_gt_u32_e32 vcc, s0, v0
	s_and_saveexec_b64 s[0:1], vcc
	s_cbranch_execz .LBB30_27
; %bb.26:
	ds_read_b64 v[7:8], v12 offset:3968
	ds_read_b64 v[9:10], v12
	s_waitcnt lgkmcnt(0)
	v_add_f64 v[7:8], v[7:8], v[9:10]
	ds_write_b64 v12, v[7:8]
.LBB30_27:
	s_or_b64 exec, exec, s[0:1]
	s_movk_i32 s0, 0xf8
	v_cmp_gt_u32_e32 vcc, s0, v0
	s_waitcnt lgkmcnt(0)
	s_barrier
	s_and_saveexec_b64 s[0:1], vcc
	s_cbranch_execz .LBB30_29
; %bb.28:
	ds_read2_b64 v[7:10], v12 offset1:248
	s_waitcnt lgkmcnt(0)
	v_add_f64 v[7:8], v[9:10], v[7:8]
	ds_write_b64 v12, v[7:8]
.LBB30_29:
	s_or_b64 exec, exec, s[0:1]
	s_movk_i32 s0, 0x7c
	v_cmp_gt_u32_e32 vcc, s0, v0
	s_waitcnt lgkmcnt(0)
	s_barrier
	s_and_saveexec_b64 s[0:1], vcc
	s_cbranch_execz .LBB30_31
; %bb.30:
	ds_read2_b64 v[7:10], v12 offset1:124
	s_waitcnt lgkmcnt(0)
	v_add_f64 v[7:8], v[9:10], v[7:8]
	ds_write_b64 v12, v[7:8]
.LBB30_31:
	s_or_b64 exec, exec, s[0:1]
	v_cmp_gt_u32_e32 vcc, 62, v0
	s_waitcnt lgkmcnt(0)
	s_barrier
	s_and_saveexec_b64 s[0:1], vcc
	s_cbranch_execz .LBB30_33
; %bb.32:
	ds_read2_b64 v[7:10], v12 offset1:62
	s_waitcnt lgkmcnt(0)
	v_add_f64 v[7:8], v[9:10], v[7:8]
	ds_write_b64 v12, v[7:8]
.LBB30_33:
	s_or_b64 exec, exec, s[0:1]
	v_cmp_gt_u32_e32 vcc, 31, v0
	s_waitcnt lgkmcnt(0)
	s_and_saveexec_b64 s[0:1], vcc
	s_cbranch_execz .LBB30_35
; %bb.34:
	ds_read2_b64 v[5:8], v12 offset1:31
	s_waitcnt lgkmcnt(0)
	v_add_f64 v[5:6], v[5:6], v[7:8]
.LBB30_35:
	s_or_b64 exec, exec, s[0:1]
	v_mov_b32_e32 v8, v6
	v_mov_b32_e32 v7, v5
.LBB30_36:
	v_cmp_gt_u32_e32 vcc, 31, v0
	s_and_b64 exec, exec, vcc
	s_cbranch_execz .LBB30_41
; %bb.37:
	v_cmp_eq_f64_e32 vcc, 0, v[1:2]
	v_mul_f64 v[3:4], v[3:4], v[7:8]
	s_and_saveexec_b64 s[0:1], vcc
	s_xor_b64 s[0:1], exec, s[0:1]
	s_cbranch_execz .LBB30_39
; %bb.38:
	v_mad_u64_u32 v[0:1], s[2:3], s6, 31, v[0:1]
	v_mov_b32_e32 v1, 0
	v_mov_b32_e32 v2, s13
	v_lshlrev_b64 v[0:1], 3, v[0:1]
	v_add_co_u32_e32 v0, vcc, s12, v0
	v_addc_co_u32_e32 v1, vcc, v2, v1, vcc
	global_store_dwordx2 v[0:1], v[3:4], off
                                        ; implicit-def: $vgpr0
                                        ; implicit-def: $vgpr1_vgpr2
                                        ; implicit-def: $vgpr3_vgpr4
.LBB30_39:
	s_andn2_saveexec_b64 s[0:1], s[0:1]
	s_cbranch_execz .LBB30_41
; %bb.40:
	v_mad_u64_u32 v[5:6], s[0:1], s6, 31, v[0:1]
	v_mov_b32_e32 v6, 0
	v_mov_b32_e32 v0, s13
	v_lshlrev_b64 v[5:6], 3, v[5:6]
	v_add_co_u32_e32 v5, vcc, s12, v5
	v_addc_co_u32_e32 v6, vcc, v0, v6, vcc
	global_load_dwordx2 v[7:8], v[5:6], off
	s_waitcnt vmcnt(0)
	v_fma_f64 v[0:1], v[1:2], v[7:8], v[3:4]
	global_store_dwordx2 v[5:6], v[0:1], off
.LBB30_41:
	s_endpgm
	.section	.rodata,"a",@progbits
	.p2align	6, 0x0
	.amdhsa_kernel _ZN9rocsparseL20bsrxmvn_17_32_kernelILj31EdiidddEEvT2_20rocsparse_direction_NS_24const_host_device_scalarIT0_EES1_PKS1_PKT1_SA_S7_PKT3_PKT4_S5_PT5_21rocsparse_index_base_b
		.amdhsa_group_segment_fixed_size 7688
		.amdhsa_private_segment_fixed_size 0
		.amdhsa_kernarg_size 96
		.amdhsa_user_sgpr_count 6
		.amdhsa_user_sgpr_private_segment_buffer 1
		.amdhsa_user_sgpr_dispatch_ptr 0
		.amdhsa_user_sgpr_queue_ptr 0
		.amdhsa_user_sgpr_kernarg_segment_ptr 1
		.amdhsa_user_sgpr_dispatch_id 0
		.amdhsa_user_sgpr_flat_scratch_init 0
		.amdhsa_user_sgpr_private_segment_size 0
		.amdhsa_uses_dynamic_stack 0
		.amdhsa_system_sgpr_private_segment_wavefront_offset 0
		.amdhsa_system_sgpr_workgroup_id_x 1
		.amdhsa_system_sgpr_workgroup_id_y 0
		.amdhsa_system_sgpr_workgroup_id_z 0
		.amdhsa_system_sgpr_workgroup_info 0
		.amdhsa_system_vgpr_workitem_id 0
		.amdhsa_next_free_vgpr 29
		.amdhsa_next_free_sgpr 61
		.amdhsa_reserve_vcc 1
		.amdhsa_reserve_flat_scratch 0
		.amdhsa_float_round_mode_32 0
		.amdhsa_float_round_mode_16_64 0
		.amdhsa_float_denorm_mode_32 3
		.amdhsa_float_denorm_mode_16_64 3
		.amdhsa_dx10_clamp 1
		.amdhsa_ieee_mode 1
		.amdhsa_fp16_overflow 0
		.amdhsa_exception_fp_ieee_invalid_op 0
		.amdhsa_exception_fp_denorm_src 0
		.amdhsa_exception_fp_ieee_div_zero 0
		.amdhsa_exception_fp_ieee_overflow 0
		.amdhsa_exception_fp_ieee_underflow 0
		.amdhsa_exception_fp_ieee_inexact 0
		.amdhsa_exception_int_div_zero 0
	.end_amdhsa_kernel
	.section	.text._ZN9rocsparseL20bsrxmvn_17_32_kernelILj31EdiidddEEvT2_20rocsparse_direction_NS_24const_host_device_scalarIT0_EES1_PKS1_PKT1_SA_S7_PKT3_PKT4_S5_PT5_21rocsparse_index_base_b,"axG",@progbits,_ZN9rocsparseL20bsrxmvn_17_32_kernelILj31EdiidddEEvT2_20rocsparse_direction_NS_24const_host_device_scalarIT0_EES1_PKS1_PKT1_SA_S7_PKT3_PKT4_S5_PT5_21rocsparse_index_base_b,comdat
.Lfunc_end30:
	.size	_ZN9rocsparseL20bsrxmvn_17_32_kernelILj31EdiidddEEvT2_20rocsparse_direction_NS_24const_host_device_scalarIT0_EES1_PKS1_PKT1_SA_S7_PKT3_PKT4_S5_PT5_21rocsparse_index_base_b, .Lfunc_end30-_ZN9rocsparseL20bsrxmvn_17_32_kernelILj31EdiidddEEvT2_20rocsparse_direction_NS_24const_host_device_scalarIT0_EES1_PKS1_PKT1_SA_S7_PKT3_PKT4_S5_PT5_21rocsparse_index_base_b
                                        ; -- End function
	.set _ZN9rocsparseL20bsrxmvn_17_32_kernelILj31EdiidddEEvT2_20rocsparse_direction_NS_24const_host_device_scalarIT0_EES1_PKS1_PKT1_SA_S7_PKT3_PKT4_S5_PT5_21rocsparse_index_base_b.num_vgpr, 18
	.set _ZN9rocsparseL20bsrxmvn_17_32_kernelILj31EdiidddEEvT2_20rocsparse_direction_NS_24const_host_device_scalarIT0_EES1_PKS1_PKT1_SA_S7_PKT3_PKT4_S5_PT5_21rocsparse_index_base_b.num_agpr, 0
	.set _ZN9rocsparseL20bsrxmvn_17_32_kernelILj31EdiidddEEvT2_20rocsparse_direction_NS_24const_host_device_scalarIT0_EES1_PKS1_PKT1_SA_S7_PKT3_PKT4_S5_PT5_21rocsparse_index_base_b.numbered_sgpr, 18
	.set _ZN9rocsparseL20bsrxmvn_17_32_kernelILj31EdiidddEEvT2_20rocsparse_direction_NS_24const_host_device_scalarIT0_EES1_PKS1_PKT1_SA_S7_PKT3_PKT4_S5_PT5_21rocsparse_index_base_b.num_named_barrier, 0
	.set _ZN9rocsparseL20bsrxmvn_17_32_kernelILj31EdiidddEEvT2_20rocsparse_direction_NS_24const_host_device_scalarIT0_EES1_PKS1_PKT1_SA_S7_PKT3_PKT4_S5_PT5_21rocsparse_index_base_b.private_seg_size, 0
	.set _ZN9rocsparseL20bsrxmvn_17_32_kernelILj31EdiidddEEvT2_20rocsparse_direction_NS_24const_host_device_scalarIT0_EES1_PKS1_PKT1_SA_S7_PKT3_PKT4_S5_PT5_21rocsparse_index_base_b.uses_vcc, 1
	.set _ZN9rocsparseL20bsrxmvn_17_32_kernelILj31EdiidddEEvT2_20rocsparse_direction_NS_24const_host_device_scalarIT0_EES1_PKS1_PKT1_SA_S7_PKT3_PKT4_S5_PT5_21rocsparse_index_base_b.uses_flat_scratch, 0
	.set _ZN9rocsparseL20bsrxmvn_17_32_kernelILj31EdiidddEEvT2_20rocsparse_direction_NS_24const_host_device_scalarIT0_EES1_PKS1_PKT1_SA_S7_PKT3_PKT4_S5_PT5_21rocsparse_index_base_b.has_dyn_sized_stack, 0
	.set _ZN9rocsparseL20bsrxmvn_17_32_kernelILj31EdiidddEEvT2_20rocsparse_direction_NS_24const_host_device_scalarIT0_EES1_PKS1_PKT1_SA_S7_PKT3_PKT4_S5_PT5_21rocsparse_index_base_b.has_recursion, 0
	.set _ZN9rocsparseL20bsrxmvn_17_32_kernelILj31EdiidddEEvT2_20rocsparse_direction_NS_24const_host_device_scalarIT0_EES1_PKS1_PKT1_SA_S7_PKT3_PKT4_S5_PT5_21rocsparse_index_base_b.has_indirect_call, 0
	.section	.AMDGPU.csdata,"",@progbits
; Kernel info:
; codeLenInByte = 1332
; TotalNumSgprs: 22
; NumVgprs: 18
; ScratchSize: 0
; MemoryBound: 0
; FloatMode: 240
; IeeeMode: 1
; LDSByteSize: 7688 bytes/workgroup (compile time only)
; SGPRBlocks: 8
; VGPRBlocks: 7
; NumSGPRsForWavesPerEU: 65
; NumVGPRsForWavesPerEU: 29
; Occupancy: 8
; WaveLimiterHint : 1
; COMPUTE_PGM_RSRC2:SCRATCH_EN: 0
; COMPUTE_PGM_RSRC2:USER_SGPR: 6
; COMPUTE_PGM_RSRC2:TRAP_HANDLER: 0
; COMPUTE_PGM_RSRC2:TGID_X_EN: 1
; COMPUTE_PGM_RSRC2:TGID_Y_EN: 0
; COMPUTE_PGM_RSRC2:TGID_Z_EN: 0
; COMPUTE_PGM_RSRC2:TIDIG_COMP_CNT: 0
	.section	.text._ZN9rocsparseL20bsrxmvn_17_32_kernelILj32EdiidddEEvT2_20rocsparse_direction_NS_24const_host_device_scalarIT0_EES1_PKS1_PKT1_SA_S7_PKT3_PKT4_S5_PT5_21rocsparse_index_base_b,"axG",@progbits,_ZN9rocsparseL20bsrxmvn_17_32_kernelILj32EdiidddEEvT2_20rocsparse_direction_NS_24const_host_device_scalarIT0_EES1_PKS1_PKT1_SA_S7_PKT3_PKT4_S5_PT5_21rocsparse_index_base_b,comdat
	.globl	_ZN9rocsparseL20bsrxmvn_17_32_kernelILj32EdiidddEEvT2_20rocsparse_direction_NS_24const_host_device_scalarIT0_EES1_PKS1_PKT1_SA_S7_PKT3_PKT4_S5_PT5_21rocsparse_index_base_b ; -- Begin function _ZN9rocsparseL20bsrxmvn_17_32_kernelILj32EdiidddEEvT2_20rocsparse_direction_NS_24const_host_device_scalarIT0_EES1_PKS1_PKT1_SA_S7_PKT3_PKT4_S5_PT5_21rocsparse_index_base_b
	.p2align	8
	.type	_ZN9rocsparseL20bsrxmvn_17_32_kernelILj32EdiidddEEvT2_20rocsparse_direction_NS_24const_host_device_scalarIT0_EES1_PKS1_PKT1_SA_S7_PKT3_PKT4_S5_PT5_21rocsparse_index_base_b,@function
_ZN9rocsparseL20bsrxmvn_17_32_kernelILj32EdiidddEEvT2_20rocsparse_direction_NS_24const_host_device_scalarIT0_EES1_PKS1_PKT1_SA_S7_PKT3_PKT4_S5_PT5_21rocsparse_index_base_b: ; @_ZN9rocsparseL20bsrxmvn_17_32_kernelILj32EdiidddEEvT2_20rocsparse_direction_NS_24const_host_device_scalarIT0_EES1_PKS1_PKT1_SA_S7_PKT3_PKT4_S5_PT5_21rocsparse_index_base_b
; %bb.0:
	s_load_dwordx2 s[8:9], s[4:5], 0x58
	s_load_dwordx2 s[10:11], s[4:5], 0x8
	;; [unrolled: 1-line block ×3, first 2 shown]
	s_waitcnt lgkmcnt(0)
	s_bitcmp1_b32 s9, 0
	s_cselect_b64 s[12:13], -1, 0
	v_mov_b32_e32 v3, s10
	s_xor_b64 s[2:3], s[12:13], -1
	s_and_b64 vcc, exec, s[12:13]
	v_mov_b32_e32 v4, s11
	s_cbranch_vccnz .LBB31_2
; %bb.1:
	v_mov_b32_e32 v1, s10
	v_mov_b32_e32 v2, s11
	flat_load_dwordx2 v[3:4], v[1:2]
.LBB31_2:
	v_mov_b32_e32 v2, s1
	s_andn2_b64 vcc, exec, s[2:3]
	v_mov_b32_e32 v1, s0
	s_cbranch_vccnz .LBB31_4
; %bb.3:
	v_mov_b32_e32 v2, s1
	v_mov_b32_e32 v1, s0
	flat_load_dwordx2 v[1:2], v[1:2]
.LBB31_4:
	s_waitcnt vmcnt(0) lgkmcnt(0)
	v_cmp_neq_f64_e32 vcc, 0, v[3:4]
	v_cmp_neq_f64_e64 s[0:1], 1.0, v[1:2]
	s_or_b64 s[0:1], vcc, s[0:1]
	s_and_saveexec_b64 s[2:3], s[0:1]
	s_cbranch_execz .LBB31_39
; %bb.5:
	s_load_dwordx4 s[0:3], s[4:5], 0x18
	s_load_dwordx2 s[12:13], s[4:5], 0x28
	s_waitcnt lgkmcnt(0)
	s_cmp_eq_u64 s[0:1], 0
	s_cbranch_scc1 .LBB31_7
; %bb.6:
	s_ashr_i32 s7, s6, 31
	s_lshl_b64 s[6:7], s[6:7], 2
	s_add_u32 s0, s0, s6
	s_addc_u32 s1, s1, s7
	s_load_dword s0, s[0:1], 0x0
	s_waitcnt lgkmcnt(0)
	s_sub_i32 s6, s0, s8
.LBB31_7:
	s_load_dword s0, s[4:5], 0x4
	v_mov_b32_e32 v5, 0
	v_and_b32_e32 v10, 31, v0
	v_mov_b32_e32 v6, 0
	v_lshlrev_b32_e32 v9, 3, v0
	s_waitcnt lgkmcnt(0)
	s_cmp_eq_u32 s0, 1
	s_cselect_b64 vcc, -1, 0
	s_cmp_lg_u32 s0, 1
	s_cselect_b64 s[10:11], -1, 0
	s_ashr_i32 s7, s6, 31
	s_lshl_b64 s[0:1], s[6:7], 2
	s_add_u32 s2, s2, s0
	s_addc_u32 s3, s3, s1
	s_load_dword s9, s[2:3], 0x0
	s_add_u32 s2, s2, 4
	s_addc_u32 s3, s3, 0
	s_add_u32 s0, s12, s0
	s_addc_u32 s1, s13, s1
	s_cmp_eq_u64 s[12:13], 0
	s_cselect_b32 s3, s3, s1
	s_cselect_b32 s2, s2, s0
	s_load_dword s7, s[2:3], 0x0
	s_load_dwordx2 s[0:1], s[4:5], 0x50
	s_waitcnt lgkmcnt(0)
	s_cmp_ge_i32 s9, s7
	s_cbranch_scc1 .LBB31_10
; %bb.8:
	s_load_dwordx4 s[12:15], s[4:5], 0x30
	s_load_dwordx2 s[2:3], s[4:5], 0x40
	s_sub_i32 s4, s9, s8
	s_ashr_i32 s5, s4, 31
	s_sub_i32 s7, s7, s8
	s_lshl_b64 s[16:17], s[4:5], 13
	s_waitcnt lgkmcnt(0)
	s_add_u32 s9, s14, s16
	v_lshrrev_b32_e32 v5, 5, v0
	s_addc_u32 s14, s15, s17
	v_cndmask_b32_e32 v11, v10, v5, vcc
	v_mov_b32_e32 v5, s14
	v_add_co_u32_e32 v7, vcc, s9, v9
	s_lshl_b64 s[14:15], s[4:5], 2
	v_addc_co_u32_e32 v8, vcc, 0, v5, vcc
	s_add_u32 s12, s12, s14
	v_mov_b32_e32 v5, 0
	s_addc_u32 s13, s13, s15
	v_mov_b32_e32 v6, 0
	v_mov_b32_e32 v12, s3
.LBB31_9:                               ; =>This Inner Loop Header: Depth=1
	s_load_dword s3, s[12:13], 0x0
	global_load_dwordx2 v[13:14], v[7:8], off
	s_add_i32 s4, s4, 1
	s_waitcnt lgkmcnt(0)
	s_sub_i32 s3, s3, s8
	v_lshl_or_b32 v15, s3, 5, v11
	v_ashrrev_i32_e32 v16, 31, v15
	v_lshlrev_b64 v[15:16], 3, v[15:16]
	s_add_u32 s12, s12, 4
	v_add_co_u32_e32 v15, vcc, s2, v15
	v_addc_co_u32_e32 v16, vcc, v12, v16, vcc
	global_load_dwordx2 v[15:16], v[15:16], off
	v_add_co_u32_e32 v7, vcc, 0x2000, v7
	s_addc_u32 s13, s13, 0
	s_cmp_lt_i32 s4, s7
	v_addc_co_u32_e32 v8, vcc, 0, v8, vcc
	s_waitcnt vmcnt(0)
	v_fma_f64 v[5:6], v[13:14], v[15:16], v[5:6]
	s_cbranch_scc1 .LBB31_9
.LBB31_10:
	s_and_b64 vcc, exec, s[10:11]
	ds_write_b64 v9, v[5:6]
	s_waitcnt lgkmcnt(0)
	s_barrier
	s_cbranch_vccz .LBB31_22
; %bb.11:
	v_cmp_gt_u32_e32 vcc, 16, v10
	s_and_saveexec_b64 s[2:3], vcc
	s_cbranch_execz .LBB31_13
; %bb.12:
	ds_read2_b64 v[11:14], v9 offset1:16
	s_waitcnt lgkmcnt(0)
	v_add_f64 v[7:8], v[13:14], v[11:12]
	ds_write_b64 v9, v[7:8]
.LBB31_13:
	s_or_b64 exec, exec, s[2:3]
	v_cmp_gt_u32_e32 vcc, 8, v10
	s_waitcnt lgkmcnt(0)
	s_barrier
	s_and_saveexec_b64 s[2:3], vcc
	s_cbranch_execz .LBB31_15
; %bb.14:
	ds_read2_b64 v[11:14], v9 offset1:8
	s_waitcnt lgkmcnt(0)
	v_add_f64 v[7:8], v[13:14], v[11:12]
	ds_write_b64 v9, v[7:8]
.LBB31_15:
	s_or_b64 exec, exec, s[2:3]
	v_cmp_gt_u32_e32 vcc, 4, v10
	s_waitcnt lgkmcnt(0)
	s_barrier
	;; [unrolled: 12-line block ×3, first 2 shown]
	s_and_saveexec_b64 s[2:3], vcc
	s_cbranch_execz .LBB31_19
; %bb.18:
	ds_read2_b64 v[10:13], v9 offset1:2
	s_waitcnt lgkmcnt(0)
	v_add_f64 v[7:8], v[12:13], v[10:11]
	ds_write_b64 v9, v[7:8]
.LBB31_19:
	s_or_b64 exec, exec, s[2:3]
	v_mov_b32_e32 v8, v6
	v_cmp_gt_u32_e32 vcc, 32, v0
	v_mov_b32_e32 v7, v5
	s_waitcnt lgkmcnt(0)
	s_barrier
	s_and_saveexec_b64 s[2:3], vcc
	s_cbranch_execz .LBB31_21
; %bb.20:
	s_movk_i32 s4, 0xf8
	v_mad_u32_u24 v7, v0, s4, v9
	ds_read_b128 v[10:13], v7
	s_waitcnt lgkmcnt(0)
	v_add_f64 v[7:8], v[10:11], v[12:13]
.LBB31_21:
	s_or_b64 exec, exec, s[2:3]
	s_branch .LBB31_34
.LBB31_22:
                                        ; implicit-def: $vgpr7_vgpr8
	s_cbranch_execz .LBB31_34
; %bb.23:
	s_movk_i32 s2, 0x200
	v_cmp_gt_u32_e32 vcc, s2, v0
	s_and_saveexec_b64 s[2:3], vcc
	s_cbranch_execz .LBB31_25
; %bb.24:
	ds_read2st64_b64 v[10:13], v9 offset1:8
	s_waitcnt lgkmcnt(0)
	v_add_f64 v[7:8], v[12:13], v[10:11]
	ds_write_b64 v9, v[7:8]
.LBB31_25:
	s_or_b64 exec, exec, s[2:3]
	s_movk_i32 s2, 0x100
	v_cmp_gt_u32_e32 vcc, s2, v0
	s_waitcnt lgkmcnt(0)
	s_barrier
	s_and_saveexec_b64 s[2:3], vcc
	s_cbranch_execz .LBB31_27
; %bb.26:
	ds_read2st64_b64 v[10:13], v9 offset1:4
	s_waitcnt lgkmcnt(0)
	v_add_f64 v[7:8], v[12:13], v[10:11]
	ds_write_b64 v9, v[7:8]
.LBB31_27:
	s_or_b64 exec, exec, s[2:3]
	s_movk_i32 s2, 0x80
	v_cmp_gt_u32_e32 vcc, s2, v0
	s_waitcnt lgkmcnt(0)
	s_barrier
	s_and_saveexec_b64 s[2:3], vcc
	s_cbranch_execz .LBB31_29
; %bb.28:
	ds_read2st64_b64 v[10:13], v9 offset1:2
	s_waitcnt lgkmcnt(0)
	v_add_f64 v[7:8], v[12:13], v[10:11]
	ds_write_b64 v9, v[7:8]
.LBB31_29:
	s_or_b64 exec, exec, s[2:3]
	v_cmp_gt_u32_e32 vcc, 64, v0
	s_waitcnt lgkmcnt(0)
	s_barrier
	s_and_saveexec_b64 s[2:3], vcc
	s_cbranch_execz .LBB31_31
; %bb.30:
	ds_read2st64_b64 v[10:13], v9 offset1:1
	s_waitcnt lgkmcnt(0)
	v_add_f64 v[7:8], v[12:13], v[10:11]
	ds_write_b64 v9, v[7:8]
.LBB31_31:
	s_or_b64 exec, exec, s[2:3]
	v_cmp_gt_u32_e32 vcc, 32, v0
	s_waitcnt lgkmcnt(0)
	s_and_saveexec_b64 s[2:3], vcc
	s_cbranch_execz .LBB31_33
; %bb.32:
	ds_read2_b64 v[5:8], v9 offset1:32
	s_waitcnt lgkmcnt(0)
	v_add_f64 v[5:6], v[5:6], v[7:8]
.LBB31_33:
	s_or_b64 exec, exec, s[2:3]
	v_mov_b32_e32 v8, v6
	v_mov_b32_e32 v7, v5
.LBB31_34:
	v_cmp_gt_u32_e32 vcc, 32, v0
	s_and_b64 exec, exec, vcc
	s_cbranch_execz .LBB31_39
; %bb.35:
	v_cmp_eq_f64_e32 vcc, 0, v[1:2]
	v_mul_f64 v[3:4], v[3:4], v[7:8]
	v_lshl_or_b32 v5, s6, 5, v0
	s_and_saveexec_b64 s[2:3], vcc
	s_xor_b64 s[2:3], exec, s[2:3]
	s_cbranch_execz .LBB31_37
; %bb.36:
	v_mov_b32_e32 v6, 0
	v_lshlrev_b64 v[0:1], 3, v[5:6]
	v_mov_b32_e32 v2, s1
	v_add_co_u32_e32 v0, vcc, s0, v0
	v_addc_co_u32_e32 v1, vcc, v2, v1, vcc
	global_store_dwordx2 v[0:1], v[3:4], off
                                        ; implicit-def: $vgpr5
                                        ; implicit-def: $vgpr1_vgpr2
                                        ; implicit-def: $vgpr3_vgpr4
.LBB31_37:
	s_andn2_saveexec_b64 s[2:3], s[2:3]
	s_cbranch_execz .LBB31_39
; %bb.38:
	v_mov_b32_e32 v6, 0
	v_lshlrev_b64 v[5:6], 3, v[5:6]
	v_mov_b32_e32 v0, s1
	v_add_co_u32_e32 v5, vcc, s0, v5
	v_addc_co_u32_e32 v6, vcc, v0, v6, vcc
	global_load_dwordx2 v[7:8], v[5:6], off
	s_waitcnt vmcnt(0)
	v_fma_f64 v[0:1], v[1:2], v[7:8], v[3:4]
	global_store_dwordx2 v[5:6], v[0:1], off
.LBB31_39:
	s_endpgm
	.section	.rodata,"a",@progbits
	.p2align	6, 0x0
	.amdhsa_kernel _ZN9rocsparseL20bsrxmvn_17_32_kernelILj32EdiidddEEvT2_20rocsparse_direction_NS_24const_host_device_scalarIT0_EES1_PKS1_PKT1_SA_S7_PKT3_PKT4_S5_PT5_21rocsparse_index_base_b
		.amdhsa_group_segment_fixed_size 8192
		.amdhsa_private_segment_fixed_size 0
		.amdhsa_kernarg_size 96
		.amdhsa_user_sgpr_count 6
		.amdhsa_user_sgpr_private_segment_buffer 1
		.amdhsa_user_sgpr_dispatch_ptr 0
		.amdhsa_user_sgpr_queue_ptr 0
		.amdhsa_user_sgpr_kernarg_segment_ptr 1
		.amdhsa_user_sgpr_dispatch_id 0
		.amdhsa_user_sgpr_flat_scratch_init 0
		.amdhsa_user_sgpr_private_segment_size 0
		.amdhsa_uses_dynamic_stack 0
		.amdhsa_system_sgpr_private_segment_wavefront_offset 0
		.amdhsa_system_sgpr_workgroup_id_x 1
		.amdhsa_system_sgpr_workgroup_id_y 0
		.amdhsa_system_sgpr_workgroup_id_z 0
		.amdhsa_system_sgpr_workgroup_info 0
		.amdhsa_system_vgpr_workitem_id 0
		.amdhsa_next_free_vgpr 29
		.amdhsa_next_free_sgpr 61
		.amdhsa_reserve_vcc 1
		.amdhsa_reserve_flat_scratch 0
		.amdhsa_float_round_mode_32 0
		.amdhsa_float_round_mode_16_64 0
		.amdhsa_float_denorm_mode_32 3
		.amdhsa_float_denorm_mode_16_64 3
		.amdhsa_dx10_clamp 1
		.amdhsa_ieee_mode 1
		.amdhsa_fp16_overflow 0
		.amdhsa_exception_fp_ieee_invalid_op 0
		.amdhsa_exception_fp_denorm_src 0
		.amdhsa_exception_fp_ieee_div_zero 0
		.amdhsa_exception_fp_ieee_overflow 0
		.amdhsa_exception_fp_ieee_underflow 0
		.amdhsa_exception_fp_ieee_inexact 0
		.amdhsa_exception_int_div_zero 0
	.end_amdhsa_kernel
	.section	.text._ZN9rocsparseL20bsrxmvn_17_32_kernelILj32EdiidddEEvT2_20rocsparse_direction_NS_24const_host_device_scalarIT0_EES1_PKS1_PKT1_SA_S7_PKT3_PKT4_S5_PT5_21rocsparse_index_base_b,"axG",@progbits,_ZN9rocsparseL20bsrxmvn_17_32_kernelILj32EdiidddEEvT2_20rocsparse_direction_NS_24const_host_device_scalarIT0_EES1_PKS1_PKT1_SA_S7_PKT3_PKT4_S5_PT5_21rocsparse_index_base_b,comdat
.Lfunc_end31:
	.size	_ZN9rocsparseL20bsrxmvn_17_32_kernelILj32EdiidddEEvT2_20rocsparse_direction_NS_24const_host_device_scalarIT0_EES1_PKS1_PKT1_SA_S7_PKT3_PKT4_S5_PT5_21rocsparse_index_base_b, .Lfunc_end31-_ZN9rocsparseL20bsrxmvn_17_32_kernelILj32EdiidddEEvT2_20rocsparse_direction_NS_24const_host_device_scalarIT0_EES1_PKS1_PKT1_SA_S7_PKT3_PKT4_S5_PT5_21rocsparse_index_base_b
                                        ; -- End function
	.set _ZN9rocsparseL20bsrxmvn_17_32_kernelILj32EdiidddEEvT2_20rocsparse_direction_NS_24const_host_device_scalarIT0_EES1_PKS1_PKT1_SA_S7_PKT3_PKT4_S5_PT5_21rocsparse_index_base_b.num_vgpr, 17
	.set _ZN9rocsparseL20bsrxmvn_17_32_kernelILj32EdiidddEEvT2_20rocsparse_direction_NS_24const_host_device_scalarIT0_EES1_PKS1_PKT1_SA_S7_PKT3_PKT4_S5_PT5_21rocsparse_index_base_b.num_agpr, 0
	.set _ZN9rocsparseL20bsrxmvn_17_32_kernelILj32EdiidddEEvT2_20rocsparse_direction_NS_24const_host_device_scalarIT0_EES1_PKS1_PKT1_SA_S7_PKT3_PKT4_S5_PT5_21rocsparse_index_base_b.numbered_sgpr, 18
	.set _ZN9rocsparseL20bsrxmvn_17_32_kernelILj32EdiidddEEvT2_20rocsparse_direction_NS_24const_host_device_scalarIT0_EES1_PKS1_PKT1_SA_S7_PKT3_PKT4_S5_PT5_21rocsparse_index_base_b.num_named_barrier, 0
	.set _ZN9rocsparseL20bsrxmvn_17_32_kernelILj32EdiidddEEvT2_20rocsparse_direction_NS_24const_host_device_scalarIT0_EES1_PKS1_PKT1_SA_S7_PKT3_PKT4_S5_PT5_21rocsparse_index_base_b.private_seg_size, 0
	.set _ZN9rocsparseL20bsrxmvn_17_32_kernelILj32EdiidddEEvT2_20rocsparse_direction_NS_24const_host_device_scalarIT0_EES1_PKS1_PKT1_SA_S7_PKT3_PKT4_S5_PT5_21rocsparse_index_base_b.uses_vcc, 1
	.set _ZN9rocsparseL20bsrxmvn_17_32_kernelILj32EdiidddEEvT2_20rocsparse_direction_NS_24const_host_device_scalarIT0_EES1_PKS1_PKT1_SA_S7_PKT3_PKT4_S5_PT5_21rocsparse_index_base_b.uses_flat_scratch, 0
	.set _ZN9rocsparseL20bsrxmvn_17_32_kernelILj32EdiidddEEvT2_20rocsparse_direction_NS_24const_host_device_scalarIT0_EES1_PKS1_PKT1_SA_S7_PKT3_PKT4_S5_PT5_21rocsparse_index_base_b.has_dyn_sized_stack, 0
	.set _ZN9rocsparseL20bsrxmvn_17_32_kernelILj32EdiidddEEvT2_20rocsparse_direction_NS_24const_host_device_scalarIT0_EES1_PKS1_PKT1_SA_S7_PKT3_PKT4_S5_PT5_21rocsparse_index_base_b.has_recursion, 0
	.set _ZN9rocsparseL20bsrxmvn_17_32_kernelILj32EdiidddEEvT2_20rocsparse_direction_NS_24const_host_device_scalarIT0_EES1_PKS1_PKT1_SA_S7_PKT3_PKT4_S5_PT5_21rocsparse_index_base_b.has_indirect_call, 0
	.section	.AMDGPU.csdata,"",@progbits
; Kernel info:
; codeLenInByte = 1204
; TotalNumSgprs: 22
; NumVgprs: 17
; ScratchSize: 0
; MemoryBound: 0
; FloatMode: 240
; IeeeMode: 1
; LDSByteSize: 8192 bytes/workgroup (compile time only)
; SGPRBlocks: 8
; VGPRBlocks: 7
; NumSGPRsForWavesPerEU: 65
; NumVGPRsForWavesPerEU: 29
; Occupancy: 8
; WaveLimiterHint : 1
; COMPUTE_PGM_RSRC2:SCRATCH_EN: 0
; COMPUTE_PGM_RSRC2:USER_SGPR: 6
; COMPUTE_PGM_RSRC2:TRAP_HANDLER: 0
; COMPUTE_PGM_RSRC2:TGID_X_EN: 1
; COMPUTE_PGM_RSRC2:TGID_Y_EN: 0
; COMPUTE_PGM_RSRC2:TGID_Z_EN: 0
; COMPUTE_PGM_RSRC2:TIDIG_COMP_CNT: 0
	.section	.text._ZN9rocsparseL20bsrxmvn_17_32_kernelILj17E21rocsparse_complex_numIfEiiS2_S2_S2_EEvT2_20rocsparse_direction_NS_24const_host_device_scalarIT0_EES3_PKS3_PKT1_SC_S9_PKT3_PKT4_S7_PT5_21rocsparse_index_base_b,"axG",@progbits,_ZN9rocsparseL20bsrxmvn_17_32_kernelILj17E21rocsparse_complex_numIfEiiS2_S2_S2_EEvT2_20rocsparse_direction_NS_24const_host_device_scalarIT0_EES3_PKS3_PKT1_SC_S9_PKT3_PKT4_S7_PT5_21rocsparse_index_base_b,comdat
	.globl	_ZN9rocsparseL20bsrxmvn_17_32_kernelILj17E21rocsparse_complex_numIfEiiS2_S2_S2_EEvT2_20rocsparse_direction_NS_24const_host_device_scalarIT0_EES3_PKS3_PKT1_SC_S9_PKT3_PKT4_S7_PT5_21rocsparse_index_base_b ; -- Begin function _ZN9rocsparseL20bsrxmvn_17_32_kernelILj17E21rocsparse_complex_numIfEiiS2_S2_S2_EEvT2_20rocsparse_direction_NS_24const_host_device_scalarIT0_EES3_PKS3_PKT1_SC_S9_PKT3_PKT4_S7_PT5_21rocsparse_index_base_b
	.p2align	8
	.type	_ZN9rocsparseL20bsrxmvn_17_32_kernelILj17E21rocsparse_complex_numIfEiiS2_S2_S2_EEvT2_20rocsparse_direction_NS_24const_host_device_scalarIT0_EES3_PKS3_PKT1_SC_S9_PKT3_PKT4_S7_PT5_21rocsparse_index_base_b,@function
_ZN9rocsparseL20bsrxmvn_17_32_kernelILj17E21rocsparse_complex_numIfEiiS2_S2_S2_EEvT2_20rocsparse_direction_NS_24const_host_device_scalarIT0_EES3_PKS3_PKT1_SC_S9_PKT3_PKT4_S7_PT5_21rocsparse_index_base_b: ; @_ZN9rocsparseL20bsrxmvn_17_32_kernelILj17E21rocsparse_complex_numIfEiiS2_S2_S2_EEvT2_20rocsparse_direction_NS_24const_host_device_scalarIT0_EES3_PKS3_PKT1_SC_S9_PKT3_PKT4_S7_PT5_21rocsparse_index_base_b
; %bb.0:
	s_load_dwordx2 s[0:1], s[4:5], 0x8
	s_load_dwordx2 s[10:11], s[4:5], 0x58
	s_add_u32 s7, s4, 8
	s_addc_u32 s8, s5, 0
	s_add_u32 s9, s4, 0x48
	s_load_dwordx2 s[2:3], s[4:5], 0x48
	s_addc_u32 s12, s5, 0
	s_waitcnt lgkmcnt(0)
	s_bitcmp1_b32 s11, 0
	s_cselect_b32 s1, s8, s1
	s_cselect_b32 s0, s7, s0
	v_mov_b32_e32 v1, s0
	v_mov_b32_e32 v2, s1
	flat_load_dwordx2 v[3:4], v[1:2]
	s_cselect_b32 s0, s12, s3
	s_cselect_b32 s1, s9, s2
	v_mov_b32_e32 v1, s1
	v_mov_b32_e32 v2, s0
	flat_load_dwordx2 v[1:2], v[1:2]
	s_waitcnt vmcnt(0) lgkmcnt(0)
	v_cmp_eq_f32_e32 vcc, 0, v3
	v_cmp_eq_f32_e64 s[0:1], 0, v4
	s_and_b64 s[8:9], vcc, s[0:1]
	s_mov_b64 s[0:1], -1
	s_and_saveexec_b64 s[2:3], s[8:9]
; %bb.1:
	v_cmp_neq_f32_e32 vcc, 1.0, v1
	v_cmp_neq_f32_e64 s[0:1], 0, v2
	s_or_b64 s[0:1], vcc, s[0:1]
	s_orn2_b64 s[0:1], s[0:1], exec
; %bb.2:
	s_or_b64 exec, exec, s[2:3]
	s_and_saveexec_b64 s[2:3], s[0:1]
	s_cbranch_execz .LBB32_39
; %bb.3:
	s_load_dwordx4 s[0:3], s[4:5], 0x18
	s_load_dwordx2 s[14:15], s[4:5], 0x28
	s_waitcnt lgkmcnt(0)
	s_cmp_eq_u64 s[0:1], 0
	s_cbranch_scc1 .LBB32_5
; %bb.4:
	s_ashr_i32 s7, s6, 31
	s_lshl_b64 s[6:7], s[6:7], 2
	s_add_u32 s0, s0, s6
	s_addc_u32 s1, s1, s7
	s_load_dword s0, s[0:1], 0x0
	s_waitcnt lgkmcnt(0)
	s_sub_i32 s6, s0, s10
.LBB32_5:
	s_load_dword s0, s[4:5], 0x4
	s_load_dwordx2 s[8:9], s[4:5], 0x50
	v_mul_u32_u24_e32 v7, 0xf10, v0
	v_mov_b32_e32 v5, 17
	v_mul_lo_u16_sdwa v5, v7, v5 dst_sel:DWORD dst_unused:UNUSED_PAD src0_sel:WORD_1 src1_sel:DWORD
	s_waitcnt lgkmcnt(0)
	s_cmp_eq_u32 s0, 1
	s_cselect_b64 vcc, -1, 0
	s_cmp_lg_u32 s0, 1
	s_cselect_b64 s[12:13], -1, 0
	s_ashr_i32 s7, s6, 31
	s_lshl_b64 s[0:1], s[6:7], 2
	s_add_u32 s2, s2, s0
	s_addc_u32 s3, s3, s1
	s_load_dword s7, s[2:3], 0x0
	s_add_u32 s2, s2, 4
	s_addc_u32 s3, s3, 0
	s_add_u32 s0, s14, s0
	s_addc_u32 s1, s15, s1
	s_cmp_eq_u64 s[14:15], 0
	s_cselect_b32 s1, s3, s1
	s_cselect_b32 s0, s2, s0
	s_load_dword s11, s[0:1], 0x0
	v_sub_u16_e32 v13, v0, v5
	v_mov_b32_e32 v6, 0
	v_lshlrev_b32_e32 v12, 3, v0
	v_mov_b32_e32 v5, 0
	s_waitcnt lgkmcnt(0)
	s_cmp_ge_i32 s7, s11
	s_cbranch_scc1 .LBB32_10
; %bb.6:
	s_load_dwordx4 s[0:3], s[4:5], 0x30
	s_load_dwordx2 s[14:15], s[4:5], 0x40
	v_mov_b32_e32 v5, 31
	v_mul_lo_u16_sdwa v5, v7, v5 dst_sel:DWORD dst_unused:UNUSED_PAD src0_sel:WORD_1 src1_sel:DWORD
	v_lshrrev_b16_e32 v5, 9, v5
	s_sub_i32 s5, s7, s10
	s_sub_i32 s4, s11, s10
	v_mul_lo_u16_e32 v5, 17, v5
	s_mul_i32 s11, s5, 0x908
	v_sub_u16_sdwa v5, v7, v5 dst_sel:DWORD dst_unused:UNUSED_PAD src0_sel:WORD_1 src1_sel:DWORD
	s_mul_hi_i32 s7, s5, 0x908
	s_waitcnt lgkmcnt(0)
	s_add_u32 s2, s2, s11
	v_and_b32_e32 v5, 0xff, v5
	s_addc_u32 s3, s3, s7
	v_cndmask_b32_e32 v7, v13, v5, vcc
	v_mov_b32_e32 v6, 0
	v_mov_b32_e32 v5, s3
	v_add_co_u32_e32 v8, vcc, s2, v12
	s_movk_i32 s2, 0xe3
	v_addc_co_u32_e32 v9, vcc, 0, v5, vcc
	v_mul_u32_u24_sdwa v14, v0, s2 dst_sel:DWORD dst_unused:UNUSED_PAD src0_sel:WORD_0 src1_sel:DWORD
	v_mov_b32_e32 v5, v6
	s_branch .LBB32_8
.LBB32_7:                               ;   in Loop: Header=BB32_8 Depth=1
	s_or_b64 exec, exec, s[2:3]
	s_add_i32 s5, s5, 1
	s_cmp_lt_i32 s5, s4
	s_cbranch_scc0 .LBB32_10
.LBB32_8:                               ; =>This Inner Loop Header: Depth=1
	v_add_u32_sdwa v10, v14, s5 dst_sel:DWORD dst_unused:UNUSED_PAD src0_sel:WORD_1 src1_sel:DWORD
	v_cmp_gt_i32_e32 vcc, s4, v10
	s_and_saveexec_b64 s[2:3], vcc
	s_cbranch_execz .LBB32_7
; %bb.9:                                ;   in Loop: Header=BB32_8 Depth=1
	v_ashrrev_i32_e32 v11, 31, v10
	v_lshlrev_b64 v[10:11], 2, v[10:11]
	v_mov_b32_e32 v15, s1
	v_add_co_u32_e32 v10, vcc, s0, v10
	v_addc_co_u32_e32 v11, vcc, v15, v11, vcc
	global_load_dword v10, v[10:11], off
	v_mov_b32_e32 v17, s15
	global_load_dwordx2 v[15:16], v[8:9], off
	s_waitcnt vmcnt(1)
	v_subrev_u32_e32 v10, s10, v10
	v_mad_u64_u32 v[10:11], s[16:17], v10, 17, v[7:8]
	v_ashrrev_i32_e32 v11, 31, v10
	v_lshlrev_b64 v[10:11], 3, v[10:11]
	v_add_co_u32_e32 v10, vcc, s14, v10
	v_addc_co_u32_e32 v11, vcc, v17, v11, vcc
	global_load_dwordx2 v[10:11], v[10:11], off
	v_add_co_u32_e32 v8, vcc, 0x908, v8
	v_addc_co_u32_e32 v9, vcc, 0, v9, vcc
	s_waitcnt vmcnt(0)
	v_fmac_f32_e32 v5, v15, v10
	v_fmac_f32_e32 v6, v16, v10
	v_fma_f32 v5, -v16, v11, v5
	v_fmac_f32_e32 v6, v15, v11
	s_branch .LBB32_7
.LBB32_10:
	s_and_b64 vcc, exec, s[12:13]
	ds_write_b64 v12, v[5:6]
	s_waitcnt lgkmcnt(0)
	s_barrier
	s_cbranch_vccz .LBB32_22
; %bb.11:
	v_cmp_eq_u16_e32 vcc, 0, v13
	s_and_saveexec_b64 s[0:1], vcc
	s_cbranch_execz .LBB32_13
; %bb.12:
	ds_read2_b64 v[7:10], v12 offset1:16
	s_waitcnt lgkmcnt(0)
	v_add_f32_e32 v7, v9, v7
	v_add_f32_e32 v8, v10, v8
	ds_write_b64 v12, v[7:8]
.LBB32_13:
	s_or_b64 exec, exec, s[0:1]
	v_cmp_gt_u16_e32 vcc, 8, v13
	s_waitcnt lgkmcnt(0)
	s_barrier
	s_and_saveexec_b64 s[0:1], vcc
	s_cbranch_execz .LBB32_15
; %bb.14:
	ds_read2_b64 v[7:10], v12 offset1:8
	s_waitcnt lgkmcnt(0)
	v_add_f32_e32 v7, v9, v7
	v_add_f32_e32 v8, v10, v8
	ds_write_b64 v12, v[7:8]
.LBB32_15:
	s_or_b64 exec, exec, s[0:1]
	v_cmp_gt_u16_e32 vcc, 4, v13
	s_waitcnt lgkmcnt(0)
	s_barrier
	;; [unrolled: 13-line block ×3, first 2 shown]
	s_and_saveexec_b64 s[0:1], vcc
	s_cbranch_execz .LBB32_19
; %bb.18:
	ds_read2_b64 v[7:10], v12 offset1:2
	s_waitcnt lgkmcnt(0)
	v_add_f32_e32 v7, v9, v7
	v_add_f32_e32 v8, v10, v8
	ds_write_b64 v12, v[7:8]
.LBB32_19:
	s_or_b64 exec, exec, s[0:1]
	v_cmp_gt_u32_e32 vcc, 17, v0
	v_mov_b32_e32 v8, v6
	v_mov_b32_e32 v7, v5
	s_waitcnt lgkmcnt(0)
	s_barrier
	s_and_saveexec_b64 s[0:1], vcc
	s_cbranch_execz .LBB32_21
; %bb.20:
	v_lshl_add_u32 v7, v0, 7, v12
	ds_read2_b64 v[7:10], v7 offset1:1
	s_waitcnt lgkmcnt(0)
	v_add_f32_e32 v7, v9, v7
	v_add_f32_e32 v8, v10, v8
.LBB32_21:
	s_or_b64 exec, exec, s[0:1]
	v_cmp_gt_u32_e64 s[0:1], 17, v0
	s_branch .LBB32_34
.LBB32_22:
                                        ; implicit-def: $vgpr8
                                        ; implicit-def: $vgpr7
	v_cmp_gt_u32_e64 s[0:1], 17, v0
	s_cbranch_execz .LBB32_34
; %bb.23:
	s_and_saveexec_b64 s[2:3], s[0:1]
	s_cbranch_execz .LBB32_25
; %bb.24:
	ds_read_b64 v[7:8], v12 offset:2176
	ds_read_b64 v[9:10], v12
	s_waitcnt lgkmcnt(0)
	v_add_f32_e32 v7, v7, v9
	v_add_f32_e32 v8, v8, v10
	ds_write_b64 v12, v[7:8]
.LBB32_25:
	s_or_b64 exec, exec, s[2:3]
	s_movk_i32 s2, 0x88
	v_cmp_gt_u32_e32 vcc, s2, v0
	s_waitcnt lgkmcnt(0)
	s_barrier
	s_and_saveexec_b64 s[2:3], vcc
	s_cbranch_execz .LBB32_27
; %bb.26:
	ds_read2_b64 v[7:10], v12 offset1:136
	s_waitcnt lgkmcnt(0)
	v_add_f32_e32 v7, v9, v7
	v_add_f32_e32 v8, v10, v8
	ds_write_b64 v12, v[7:8]
.LBB32_27:
	s_or_b64 exec, exec, s[2:3]
	s_movk_i32 s2, 0x44
	v_cmp_gt_u32_e32 vcc, s2, v0
	s_waitcnt lgkmcnt(0)
	s_barrier
	s_and_saveexec_b64 s[2:3], vcc
	s_cbranch_execz .LBB32_29
; %bb.28:
	ds_read2_b64 v[7:10], v12 offset1:68
	s_waitcnt lgkmcnt(0)
	v_add_f32_e32 v7, v9, v7
	v_add_f32_e32 v8, v10, v8
	ds_write_b64 v12, v[7:8]
.LBB32_29:
	s_or_b64 exec, exec, s[2:3]
	v_cmp_gt_u32_e32 vcc, 34, v0
	s_waitcnt lgkmcnt(0)
	s_barrier
	s_and_saveexec_b64 s[2:3], vcc
	s_cbranch_execz .LBB32_31
; %bb.30:
	ds_read2_b64 v[7:10], v12 offset1:34
	s_waitcnt lgkmcnt(0)
	v_add_f32_e32 v7, v9, v7
	v_add_f32_e32 v8, v10, v8
	ds_write_b64 v12, v[7:8]
.LBB32_31:
	s_or_b64 exec, exec, s[2:3]
	s_waitcnt lgkmcnt(0)
	s_and_saveexec_b64 s[2:3], s[0:1]
	s_cbranch_execz .LBB32_33
; %bb.32:
	ds_read2_b64 v[5:8], v12 offset1:17
	s_waitcnt lgkmcnt(0)
	v_add_f32_e32 v5, v7, v5
	v_add_f32_e32 v6, v8, v6
.LBB32_33:
	s_or_b64 exec, exec, s[2:3]
	v_mov_b32_e32 v8, v6
	v_mov_b32_e32 v7, v5
.LBB32_34:
	v_cmp_gt_u32_e32 vcc, 17, v0
	s_and_b64 exec, exec, vcc
	s_cbranch_execz .LBB32_39
; %bb.35:
	v_cmp_eq_f32_e32 vcc, 0, v1
	v_cmp_eq_f32_e64 s[0:1], 0, v2
	v_mul_f32_e64 v5, v8, -v4
	v_mul_f32_e32 v6, v3, v8
	s_and_b64 s[0:1], vcc, s[0:1]
	v_fmac_f32_e32 v5, v3, v7
	v_fmac_f32_e32 v6, v4, v7
	s_and_saveexec_b64 s[2:3], s[0:1]
	s_xor_b64 s[0:1], exec, s[2:3]
	s_cbranch_execz .LBB32_37
; %bb.36:
	v_mad_u64_u32 v[0:1], s[2:3], s6, 17, v[0:1]
	v_mov_b32_e32 v1, 0
	v_mov_b32_e32 v2, s9
	v_lshlrev_b64 v[0:1], 3, v[0:1]
	v_add_co_u32_e32 v0, vcc, s8, v0
	v_addc_co_u32_e32 v1, vcc, v2, v1, vcc
	global_store_dwordx2 v[0:1], v[5:6], off
                                        ; implicit-def: $vgpr0
                                        ; implicit-def: $vgpr1_vgpr2
                                        ; implicit-def: $vgpr5
.LBB32_37:
	s_andn2_saveexec_b64 s[0:1], s[0:1]
	s_cbranch_execz .LBB32_39
; %bb.38:
	v_mad_u64_u32 v[3:4], s[0:1], s6, 17, v[0:1]
	v_mov_b32_e32 v4, 0
	v_mov_b32_e32 v0, s9
	v_lshlrev_b64 v[3:4], 3, v[3:4]
	v_add_co_u32_e32 v3, vcc, s8, v3
	v_addc_co_u32_e32 v4, vcc, v0, v4, vcc
	global_load_dwordx2 v[7:8], v[3:4], off
	s_waitcnt vmcnt(0)
	v_fmac_f32_e32 v5, v1, v7
	v_fmac_f32_e32 v6, v2, v7
	v_fma_f32 v5, -v2, v8, v5
	v_fmac_f32_e32 v6, v1, v8
	global_store_dwordx2 v[3:4], v[5:6], off
.LBB32_39:
	s_endpgm
	.section	.rodata,"a",@progbits
	.p2align	6, 0x0
	.amdhsa_kernel _ZN9rocsparseL20bsrxmvn_17_32_kernelILj17E21rocsparse_complex_numIfEiiS2_S2_S2_EEvT2_20rocsparse_direction_NS_24const_host_device_scalarIT0_EES3_PKS3_PKT1_SC_S9_PKT3_PKT4_S7_PT5_21rocsparse_index_base_b
		.amdhsa_group_segment_fixed_size 2312
		.amdhsa_private_segment_fixed_size 0
		.amdhsa_kernarg_size 96
		.amdhsa_user_sgpr_count 6
		.amdhsa_user_sgpr_private_segment_buffer 1
		.amdhsa_user_sgpr_dispatch_ptr 0
		.amdhsa_user_sgpr_queue_ptr 0
		.amdhsa_user_sgpr_kernarg_segment_ptr 1
		.amdhsa_user_sgpr_dispatch_id 0
		.amdhsa_user_sgpr_flat_scratch_init 0
		.amdhsa_user_sgpr_private_segment_size 0
		.amdhsa_uses_dynamic_stack 0
		.amdhsa_system_sgpr_private_segment_wavefront_offset 0
		.amdhsa_system_sgpr_workgroup_id_x 1
		.amdhsa_system_sgpr_workgroup_id_y 0
		.amdhsa_system_sgpr_workgroup_id_z 0
		.amdhsa_system_sgpr_workgroup_info 0
		.amdhsa_system_vgpr_workitem_id 0
		.amdhsa_next_free_vgpr 18
		.amdhsa_next_free_sgpr 18
		.amdhsa_reserve_vcc 1
		.amdhsa_reserve_flat_scratch 0
		.amdhsa_float_round_mode_32 0
		.amdhsa_float_round_mode_16_64 0
		.amdhsa_float_denorm_mode_32 3
		.amdhsa_float_denorm_mode_16_64 3
		.amdhsa_dx10_clamp 1
		.amdhsa_ieee_mode 1
		.amdhsa_fp16_overflow 0
		.amdhsa_exception_fp_ieee_invalid_op 0
		.amdhsa_exception_fp_denorm_src 0
		.amdhsa_exception_fp_ieee_div_zero 0
		.amdhsa_exception_fp_ieee_overflow 0
		.amdhsa_exception_fp_ieee_underflow 0
		.amdhsa_exception_fp_ieee_inexact 0
		.amdhsa_exception_int_div_zero 0
	.end_amdhsa_kernel
	.section	.text._ZN9rocsparseL20bsrxmvn_17_32_kernelILj17E21rocsparse_complex_numIfEiiS2_S2_S2_EEvT2_20rocsparse_direction_NS_24const_host_device_scalarIT0_EES3_PKS3_PKT1_SC_S9_PKT3_PKT4_S7_PT5_21rocsparse_index_base_b,"axG",@progbits,_ZN9rocsparseL20bsrxmvn_17_32_kernelILj17E21rocsparse_complex_numIfEiiS2_S2_S2_EEvT2_20rocsparse_direction_NS_24const_host_device_scalarIT0_EES3_PKS3_PKT1_SC_S9_PKT3_PKT4_S7_PT5_21rocsparse_index_base_b,comdat
.Lfunc_end32:
	.size	_ZN9rocsparseL20bsrxmvn_17_32_kernelILj17E21rocsparse_complex_numIfEiiS2_S2_S2_EEvT2_20rocsparse_direction_NS_24const_host_device_scalarIT0_EES3_PKS3_PKT1_SC_S9_PKT3_PKT4_S7_PT5_21rocsparse_index_base_b, .Lfunc_end32-_ZN9rocsparseL20bsrxmvn_17_32_kernelILj17E21rocsparse_complex_numIfEiiS2_S2_S2_EEvT2_20rocsparse_direction_NS_24const_host_device_scalarIT0_EES3_PKS3_PKT1_SC_S9_PKT3_PKT4_S7_PT5_21rocsparse_index_base_b
                                        ; -- End function
	.set _ZN9rocsparseL20bsrxmvn_17_32_kernelILj17E21rocsparse_complex_numIfEiiS2_S2_S2_EEvT2_20rocsparse_direction_NS_24const_host_device_scalarIT0_EES3_PKS3_PKT1_SC_S9_PKT3_PKT4_S7_PT5_21rocsparse_index_base_b.num_vgpr, 18
	.set _ZN9rocsparseL20bsrxmvn_17_32_kernelILj17E21rocsparse_complex_numIfEiiS2_S2_S2_EEvT2_20rocsparse_direction_NS_24const_host_device_scalarIT0_EES3_PKS3_PKT1_SC_S9_PKT3_PKT4_S7_PT5_21rocsparse_index_base_b.num_agpr, 0
	.set _ZN9rocsparseL20bsrxmvn_17_32_kernelILj17E21rocsparse_complex_numIfEiiS2_S2_S2_EEvT2_20rocsparse_direction_NS_24const_host_device_scalarIT0_EES3_PKS3_PKT1_SC_S9_PKT3_PKT4_S7_PT5_21rocsparse_index_base_b.numbered_sgpr, 18
	.set _ZN9rocsparseL20bsrxmvn_17_32_kernelILj17E21rocsparse_complex_numIfEiiS2_S2_S2_EEvT2_20rocsparse_direction_NS_24const_host_device_scalarIT0_EES3_PKS3_PKT1_SC_S9_PKT3_PKT4_S7_PT5_21rocsparse_index_base_b.num_named_barrier, 0
	.set _ZN9rocsparseL20bsrxmvn_17_32_kernelILj17E21rocsparse_complex_numIfEiiS2_S2_S2_EEvT2_20rocsparse_direction_NS_24const_host_device_scalarIT0_EES3_PKS3_PKT1_SC_S9_PKT3_PKT4_S7_PT5_21rocsparse_index_base_b.private_seg_size, 0
	.set _ZN9rocsparseL20bsrxmvn_17_32_kernelILj17E21rocsparse_complex_numIfEiiS2_S2_S2_EEvT2_20rocsparse_direction_NS_24const_host_device_scalarIT0_EES3_PKS3_PKT1_SC_S9_PKT3_PKT4_S7_PT5_21rocsparse_index_base_b.uses_vcc, 1
	.set _ZN9rocsparseL20bsrxmvn_17_32_kernelILj17E21rocsparse_complex_numIfEiiS2_S2_S2_EEvT2_20rocsparse_direction_NS_24const_host_device_scalarIT0_EES3_PKS3_PKT1_SC_S9_PKT3_PKT4_S7_PT5_21rocsparse_index_base_b.uses_flat_scratch, 0
	.set _ZN9rocsparseL20bsrxmvn_17_32_kernelILj17E21rocsparse_complex_numIfEiiS2_S2_S2_EEvT2_20rocsparse_direction_NS_24const_host_device_scalarIT0_EES3_PKS3_PKT1_SC_S9_PKT3_PKT4_S7_PT5_21rocsparse_index_base_b.has_dyn_sized_stack, 0
	.set _ZN9rocsparseL20bsrxmvn_17_32_kernelILj17E21rocsparse_complex_numIfEiiS2_S2_S2_EEvT2_20rocsparse_direction_NS_24const_host_device_scalarIT0_EES3_PKS3_PKT1_SC_S9_PKT3_PKT4_S7_PT5_21rocsparse_index_base_b.has_recursion, 0
	.set _ZN9rocsparseL20bsrxmvn_17_32_kernelILj17E21rocsparse_complex_numIfEiiS2_S2_S2_EEvT2_20rocsparse_direction_NS_24const_host_device_scalarIT0_EES3_PKS3_PKT1_SC_S9_PKT3_PKT4_S7_PT5_21rocsparse_index_base_b.has_indirect_call, 0
	.section	.AMDGPU.csdata,"",@progbits
; Kernel info:
; codeLenInByte = 1404
; TotalNumSgprs: 22
; NumVgprs: 18
; ScratchSize: 0
; MemoryBound: 0
; FloatMode: 240
; IeeeMode: 1
; LDSByteSize: 2312 bytes/workgroup (compile time only)
; SGPRBlocks: 2
; VGPRBlocks: 4
; NumSGPRsForWavesPerEU: 22
; NumVGPRsForWavesPerEU: 18
; Occupancy: 10
; WaveLimiterHint : 1
; COMPUTE_PGM_RSRC2:SCRATCH_EN: 0
; COMPUTE_PGM_RSRC2:USER_SGPR: 6
; COMPUTE_PGM_RSRC2:TRAP_HANDLER: 0
; COMPUTE_PGM_RSRC2:TGID_X_EN: 1
; COMPUTE_PGM_RSRC2:TGID_Y_EN: 0
; COMPUTE_PGM_RSRC2:TGID_Z_EN: 0
; COMPUTE_PGM_RSRC2:TIDIG_COMP_CNT: 0
	.section	.text._ZN9rocsparseL20bsrxmvn_17_32_kernelILj18E21rocsparse_complex_numIfEiiS2_S2_S2_EEvT2_20rocsparse_direction_NS_24const_host_device_scalarIT0_EES3_PKS3_PKT1_SC_S9_PKT3_PKT4_S7_PT5_21rocsparse_index_base_b,"axG",@progbits,_ZN9rocsparseL20bsrxmvn_17_32_kernelILj18E21rocsparse_complex_numIfEiiS2_S2_S2_EEvT2_20rocsparse_direction_NS_24const_host_device_scalarIT0_EES3_PKS3_PKT1_SC_S9_PKT3_PKT4_S7_PT5_21rocsparse_index_base_b,comdat
	.globl	_ZN9rocsparseL20bsrxmvn_17_32_kernelILj18E21rocsparse_complex_numIfEiiS2_S2_S2_EEvT2_20rocsparse_direction_NS_24const_host_device_scalarIT0_EES3_PKS3_PKT1_SC_S9_PKT3_PKT4_S7_PT5_21rocsparse_index_base_b ; -- Begin function _ZN9rocsparseL20bsrxmvn_17_32_kernelILj18E21rocsparse_complex_numIfEiiS2_S2_S2_EEvT2_20rocsparse_direction_NS_24const_host_device_scalarIT0_EES3_PKS3_PKT1_SC_S9_PKT3_PKT4_S7_PT5_21rocsparse_index_base_b
	.p2align	8
	.type	_ZN9rocsparseL20bsrxmvn_17_32_kernelILj18E21rocsparse_complex_numIfEiiS2_S2_S2_EEvT2_20rocsparse_direction_NS_24const_host_device_scalarIT0_EES3_PKS3_PKT1_SC_S9_PKT3_PKT4_S7_PT5_21rocsparse_index_base_b,@function
_ZN9rocsparseL20bsrxmvn_17_32_kernelILj18E21rocsparse_complex_numIfEiiS2_S2_S2_EEvT2_20rocsparse_direction_NS_24const_host_device_scalarIT0_EES3_PKS3_PKT1_SC_S9_PKT3_PKT4_S7_PT5_21rocsparse_index_base_b: ; @_ZN9rocsparseL20bsrxmvn_17_32_kernelILj18E21rocsparse_complex_numIfEiiS2_S2_S2_EEvT2_20rocsparse_direction_NS_24const_host_device_scalarIT0_EES3_PKS3_PKT1_SC_S9_PKT3_PKT4_S7_PT5_21rocsparse_index_base_b
; %bb.0:
	s_load_dwordx2 s[0:1], s[4:5], 0x8
	s_load_dwordx2 s[10:11], s[4:5], 0x58
	s_add_u32 s7, s4, 8
	s_addc_u32 s8, s5, 0
	s_add_u32 s9, s4, 0x48
	s_load_dwordx2 s[2:3], s[4:5], 0x48
	s_addc_u32 s12, s5, 0
	s_waitcnt lgkmcnt(0)
	s_bitcmp1_b32 s11, 0
	s_cselect_b32 s1, s8, s1
	s_cselect_b32 s0, s7, s0
	v_mov_b32_e32 v1, s0
	v_mov_b32_e32 v2, s1
	flat_load_dwordx2 v[3:4], v[1:2]
	s_cselect_b32 s0, s12, s3
	s_cselect_b32 s1, s9, s2
	v_mov_b32_e32 v1, s1
	v_mov_b32_e32 v2, s0
	flat_load_dwordx2 v[1:2], v[1:2]
	s_waitcnt vmcnt(0) lgkmcnt(0)
	v_cmp_eq_f32_e32 vcc, 0, v3
	v_cmp_eq_f32_e64 s[0:1], 0, v4
	s_and_b64 s[8:9], vcc, s[0:1]
	s_mov_b64 s[0:1], -1
	s_and_saveexec_b64 s[2:3], s[8:9]
; %bb.1:
	v_cmp_neq_f32_e32 vcc, 1.0, v1
	v_cmp_neq_f32_e64 s[0:1], 0, v2
	s_or_b64 s[0:1], vcc, s[0:1]
	s_orn2_b64 s[0:1], s[0:1], exec
; %bb.2:
	s_or_b64 exec, exec, s[2:3]
	s_and_saveexec_b64 s[2:3], s[0:1]
	s_cbranch_execz .LBB33_39
; %bb.3:
	s_load_dwordx4 s[0:3], s[4:5], 0x18
	s_load_dwordx2 s[14:15], s[4:5], 0x28
	s_waitcnt lgkmcnt(0)
	s_cmp_eq_u64 s[0:1], 0
	s_cbranch_scc1 .LBB33_5
; %bb.4:
	s_ashr_i32 s7, s6, 31
	s_lshl_b64 s[6:7], s[6:7], 2
	s_add_u32 s0, s0, s6
	s_addc_u32 s1, s1, s7
	s_load_dword s0, s[0:1], 0x0
	s_waitcnt lgkmcnt(0)
	s_sub_i32 s6, s0, s10
.LBB33_5:
	s_load_dword s0, s[4:5], 0x4
	s_load_dwordx2 s[8:9], s[4:5], 0x50
	v_mul_u32_u24_e32 v7, 0xe39, v0
	v_mov_b32_e32 v8, 18
	v_mul_lo_u16_sdwa v5, v7, v8 dst_sel:DWORD dst_unused:UNUSED_PAD src0_sel:WORD_1 src1_sel:DWORD
	s_waitcnt lgkmcnt(0)
	s_cmp_eq_u32 s0, 1
	s_cselect_b64 vcc, -1, 0
	s_cmp_lg_u32 s0, 1
	s_cselect_b64 s[12:13], -1, 0
	s_ashr_i32 s7, s6, 31
	s_lshl_b64 s[0:1], s[6:7], 2
	s_add_u32 s2, s2, s0
	s_addc_u32 s3, s3, s1
	s_load_dword s7, s[2:3], 0x0
	s_add_u32 s2, s2, 4
	s_addc_u32 s3, s3, 0
	s_add_u32 s0, s14, s0
	s_addc_u32 s1, s15, s1
	s_cmp_eq_u64 s[14:15], 0
	s_cselect_b32 s1, s3, s1
	s_cselect_b32 s0, s2, s0
	s_load_dword s11, s[0:1], 0x0
	v_sub_u16_e32 v13, v0, v5
	v_mov_b32_e32 v6, 0
	v_lshlrev_b32_e32 v12, 3, v0
	v_mov_b32_e32 v5, 0
	s_waitcnt lgkmcnt(0)
	s_cmp_ge_i32 s7, s11
	s_cbranch_scc1 .LBB33_10
; %bb.6:
	s_load_dwordx4 s[0:3], s[4:5], 0x30
	s_load_dwordx2 s[14:15], s[4:5], 0x40
	v_mov_b32_e32 v5, 15
	v_mul_lo_u16_sdwa v5, v7, v5 dst_sel:DWORD dst_unused:UNUSED_PAD src0_sel:WORD_1 src1_sel:DWORD
	s_sub_i32 s5, s7, s10
	s_sub_i32 s4, s11, s10
	v_mul_lo_u16_sdwa v5, v5, v8 dst_sel:DWORD dst_unused:UNUSED_PAD src0_sel:BYTE_1 src1_sel:DWORD
	s_mul_i32 s11, s5, 0xa20
	v_sub_u16_sdwa v5, v7, v5 dst_sel:DWORD dst_unused:UNUSED_PAD src0_sel:WORD_1 src1_sel:DWORD
	s_mul_hi_i32 s7, s5, 0xa20
	s_waitcnt lgkmcnt(0)
	s_add_u32 s2, s2, s11
	v_and_b32_e32 v5, 0xff, v5
	s_addc_u32 s3, s3, s7
	v_cndmask_b32_e32 v7, v13, v5, vcc
	v_mov_b32_e32 v5, s3
	v_add_co_u32_e32 v8, vcc, s2, v12
	s_movk_i32 s2, 0x195
	v_mov_b32_e32 v6, 0
	v_addc_co_u32_e32 v9, vcc, 0, v5, vcc
	v_mul_u32_u24_sdwa v5, v0, s2 dst_sel:DWORD dst_unused:UNUSED_PAD src0_sel:WORD_0 src1_sel:DWORD
	v_lshrrev_b32_e32 v14, 17, v5
	v_mov_b32_e32 v5, v6
	s_branch .LBB33_8
.LBB33_7:                               ;   in Loop: Header=BB33_8 Depth=1
	s_or_b64 exec, exec, s[2:3]
	s_add_i32 s5, s5, 1
	s_cmp_lt_i32 s5, s4
	s_cbranch_scc0 .LBB33_10
.LBB33_8:                               ; =>This Inner Loop Header: Depth=1
	v_add_u32_e32 v10, s5, v14
	v_cmp_gt_i32_e32 vcc, s4, v10
	s_and_saveexec_b64 s[2:3], vcc
	s_cbranch_execz .LBB33_7
; %bb.9:                                ;   in Loop: Header=BB33_8 Depth=1
	v_ashrrev_i32_e32 v11, 31, v10
	v_lshlrev_b64 v[10:11], 2, v[10:11]
	v_mov_b32_e32 v15, s1
	v_add_co_u32_e32 v10, vcc, s0, v10
	v_addc_co_u32_e32 v11, vcc, v15, v11, vcc
	global_load_dword v10, v[10:11], off
	v_mov_b32_e32 v17, s15
	global_load_dwordx2 v[15:16], v[8:9], off
	s_waitcnt vmcnt(1)
	v_subrev_u32_e32 v10, s10, v10
	v_mad_u64_u32 v[10:11], s[16:17], v10, 18, v[7:8]
	v_ashrrev_i32_e32 v11, 31, v10
	v_lshlrev_b64 v[10:11], 3, v[10:11]
	v_add_co_u32_e32 v10, vcc, s14, v10
	v_addc_co_u32_e32 v11, vcc, v17, v11, vcc
	global_load_dwordx2 v[10:11], v[10:11], off
	v_add_co_u32_e32 v8, vcc, 0xa20, v8
	v_addc_co_u32_e32 v9, vcc, 0, v9, vcc
	s_waitcnt vmcnt(0)
	v_fmac_f32_e32 v5, v15, v10
	v_fmac_f32_e32 v6, v16, v10
	v_fma_f32 v5, -v16, v11, v5
	v_fmac_f32_e32 v6, v15, v11
	s_branch .LBB33_7
.LBB33_10:
	s_and_b64 vcc, exec, s[12:13]
	ds_write_b64 v12, v[5:6]
	s_waitcnt lgkmcnt(0)
	s_barrier
	s_cbranch_vccz .LBB33_22
; %bb.11:
	v_cmp_gt_u16_e32 vcc, 2, v13
	s_and_saveexec_b64 s[0:1], vcc
	s_cbranch_execz .LBB33_13
; %bb.12:
	ds_read2_b64 v[7:10], v12 offset1:16
	s_waitcnt lgkmcnt(0)
	v_add_f32_e32 v7, v9, v7
	v_add_f32_e32 v8, v10, v8
	ds_write_b64 v12, v[7:8]
.LBB33_13:
	s_or_b64 exec, exec, s[0:1]
	v_cmp_gt_u16_e64 s[0:1], 8, v13
	s_waitcnt lgkmcnt(0)
	s_barrier
	s_and_saveexec_b64 s[2:3], s[0:1]
	s_cbranch_execz .LBB33_15
; %bb.14:
	ds_read2_b64 v[7:10], v12 offset1:8
	s_waitcnt lgkmcnt(0)
	v_add_f32_e32 v7, v9, v7
	v_add_f32_e32 v8, v10, v8
	ds_write_b64 v12, v[7:8]
.LBB33_15:
	s_or_b64 exec, exec, s[2:3]
	v_cmp_gt_u16_e64 s[0:1], 4, v13
	s_waitcnt lgkmcnt(0)
	s_barrier
	s_and_saveexec_b64 s[2:3], s[0:1]
	s_cbranch_execz .LBB33_17
; %bb.16:
	ds_read2_b64 v[7:10], v12 offset1:4
	s_waitcnt lgkmcnt(0)
	v_add_f32_e32 v7, v9, v7
	v_add_f32_e32 v8, v10, v8
	ds_write_b64 v12, v[7:8]
.LBB33_17:
	s_or_b64 exec, exec, s[2:3]
	s_waitcnt lgkmcnt(0)
	s_barrier
	s_and_saveexec_b64 s[0:1], vcc
	s_cbranch_execz .LBB33_19
; %bb.18:
	ds_read2_b64 v[7:10], v12 offset1:2
	s_waitcnt lgkmcnt(0)
	v_add_f32_e32 v7, v9, v7
	v_add_f32_e32 v8, v10, v8
	ds_write_b64 v12, v[7:8]
.LBB33_19:
	s_or_b64 exec, exec, s[0:1]
	v_cmp_gt_u32_e32 vcc, 18, v0
	v_mov_b32_e32 v8, v6
	v_mov_b32_e32 v7, v5
	s_waitcnt lgkmcnt(0)
	s_barrier
	s_and_saveexec_b64 s[0:1], vcc
	s_cbranch_execz .LBB33_21
; %bb.20:
	s_movk_i32 s2, 0x88
	v_mad_u32_u24 v7, v0, s2, v12
	ds_read2_b64 v[7:10], v7 offset1:1
	s_waitcnt lgkmcnt(0)
	v_add_f32_e32 v7, v9, v7
	v_add_f32_e32 v8, v10, v8
.LBB33_21:
	s_or_b64 exec, exec, s[0:1]
	s_branch .LBB33_34
.LBB33_22:
                                        ; implicit-def: $vgpr8
                                        ; implicit-def: $vgpr7
	s_cbranch_execz .LBB33_34
; %bb.23:
	v_cmp_gt_u32_e32 vcc, 36, v0
	s_and_saveexec_b64 s[0:1], vcc
	s_cbranch_execz .LBB33_25
; %bb.24:
	ds_read_b64 v[7:8], v12 offset:2304
	ds_read_b64 v[9:10], v12
	s_waitcnt lgkmcnt(0)
	v_add_f32_e32 v7, v7, v9
	v_add_f32_e32 v8, v8, v10
	ds_write_b64 v12, v[7:8]
.LBB33_25:
	s_or_b64 exec, exec, s[0:1]
	s_movk_i32 s0, 0x90
	v_cmp_gt_u32_e64 s[0:1], s0, v0
	s_waitcnt lgkmcnt(0)
	s_barrier
	s_and_saveexec_b64 s[2:3], s[0:1]
	s_cbranch_execz .LBB33_27
; %bb.26:
	ds_read2_b64 v[7:10], v12 offset1:144
	s_waitcnt lgkmcnt(0)
	v_add_f32_e32 v7, v9, v7
	v_add_f32_e32 v8, v10, v8
	ds_write_b64 v12, v[7:8]
.LBB33_27:
	s_or_b64 exec, exec, s[2:3]
	s_movk_i32 s0, 0x48
	v_cmp_gt_u32_e64 s[0:1], s0, v0
	s_waitcnt lgkmcnt(0)
	s_barrier
	s_and_saveexec_b64 s[2:3], s[0:1]
	s_cbranch_execz .LBB33_29
; %bb.28:
	ds_read2_b64 v[7:10], v12 offset1:72
	s_waitcnt lgkmcnt(0)
	v_add_f32_e32 v7, v9, v7
	v_add_f32_e32 v8, v10, v8
	ds_write_b64 v12, v[7:8]
.LBB33_29:
	s_or_b64 exec, exec, s[2:3]
	s_waitcnt lgkmcnt(0)
	s_barrier
	s_and_saveexec_b64 s[0:1], vcc
	s_cbranch_execz .LBB33_31
; %bb.30:
	ds_read2_b64 v[7:10], v12 offset1:36
	s_waitcnt lgkmcnt(0)
	v_add_f32_e32 v7, v9, v7
	v_add_f32_e32 v8, v10, v8
	ds_write_b64 v12, v[7:8]
.LBB33_31:
	s_or_b64 exec, exec, s[0:1]
	v_cmp_gt_u32_e32 vcc, 18, v0
	s_waitcnt lgkmcnt(0)
	s_and_saveexec_b64 s[0:1], vcc
	s_cbranch_execz .LBB33_33
; %bb.32:
	ds_read2_b64 v[5:8], v12 offset1:18
	s_waitcnt lgkmcnt(0)
	v_add_f32_e32 v5, v7, v5
	v_add_f32_e32 v6, v8, v6
.LBB33_33:
	s_or_b64 exec, exec, s[0:1]
	v_mov_b32_e32 v8, v6
	v_mov_b32_e32 v7, v5
.LBB33_34:
	v_cmp_gt_u32_e32 vcc, 18, v0
	s_and_b64 exec, exec, vcc
	s_cbranch_execz .LBB33_39
; %bb.35:
	v_cmp_eq_f32_e32 vcc, 0, v1
	v_cmp_eq_f32_e64 s[0:1], 0, v2
	v_mul_f32_e64 v5, v8, -v4
	v_mul_f32_e32 v6, v3, v8
	s_and_b64 s[0:1], vcc, s[0:1]
	v_fmac_f32_e32 v5, v3, v7
	v_fmac_f32_e32 v6, v4, v7
	s_and_saveexec_b64 s[2:3], s[0:1]
	s_xor_b64 s[0:1], exec, s[2:3]
	s_cbranch_execz .LBB33_37
; %bb.36:
	v_mad_u64_u32 v[0:1], s[2:3], s6, 18, v[0:1]
	v_mov_b32_e32 v1, 0
	v_mov_b32_e32 v2, s9
	v_lshlrev_b64 v[0:1], 3, v[0:1]
	v_add_co_u32_e32 v0, vcc, s8, v0
	v_addc_co_u32_e32 v1, vcc, v2, v1, vcc
	global_store_dwordx2 v[0:1], v[5:6], off
                                        ; implicit-def: $vgpr0
                                        ; implicit-def: $vgpr1_vgpr2
                                        ; implicit-def: $vgpr5
.LBB33_37:
	s_andn2_saveexec_b64 s[0:1], s[0:1]
	s_cbranch_execz .LBB33_39
; %bb.38:
	v_mad_u64_u32 v[3:4], s[0:1], s6, 18, v[0:1]
	v_mov_b32_e32 v4, 0
	v_mov_b32_e32 v0, s9
	v_lshlrev_b64 v[3:4], 3, v[3:4]
	v_add_co_u32_e32 v3, vcc, s8, v3
	v_addc_co_u32_e32 v4, vcc, v0, v4, vcc
	global_load_dwordx2 v[7:8], v[3:4], off
	s_waitcnt vmcnt(0)
	v_fmac_f32_e32 v5, v1, v7
	v_fmac_f32_e32 v6, v2, v7
	v_fma_f32 v5, -v2, v8, v5
	v_fmac_f32_e32 v6, v1, v8
	global_store_dwordx2 v[3:4], v[5:6], off
.LBB33_39:
	s_endpgm
	.section	.rodata,"a",@progbits
	.p2align	6, 0x0
	.amdhsa_kernel _ZN9rocsparseL20bsrxmvn_17_32_kernelILj18E21rocsparse_complex_numIfEiiS2_S2_S2_EEvT2_20rocsparse_direction_NS_24const_host_device_scalarIT0_EES3_PKS3_PKT1_SC_S9_PKT3_PKT4_S7_PT5_21rocsparse_index_base_b
		.amdhsa_group_segment_fixed_size 2592
		.amdhsa_private_segment_fixed_size 0
		.amdhsa_kernarg_size 96
		.amdhsa_user_sgpr_count 6
		.amdhsa_user_sgpr_private_segment_buffer 1
		.amdhsa_user_sgpr_dispatch_ptr 0
		.amdhsa_user_sgpr_queue_ptr 0
		.amdhsa_user_sgpr_kernarg_segment_ptr 1
		.amdhsa_user_sgpr_dispatch_id 0
		.amdhsa_user_sgpr_flat_scratch_init 0
		.amdhsa_user_sgpr_private_segment_size 0
		.amdhsa_uses_dynamic_stack 0
		.amdhsa_system_sgpr_private_segment_wavefront_offset 0
		.amdhsa_system_sgpr_workgroup_id_x 1
		.amdhsa_system_sgpr_workgroup_id_y 0
		.amdhsa_system_sgpr_workgroup_id_z 0
		.amdhsa_system_sgpr_workgroup_info 0
		.amdhsa_system_vgpr_workitem_id 0
		.amdhsa_next_free_vgpr 25
		.amdhsa_next_free_sgpr 61
		.amdhsa_reserve_vcc 1
		.amdhsa_reserve_flat_scratch 0
		.amdhsa_float_round_mode_32 0
		.amdhsa_float_round_mode_16_64 0
		.amdhsa_float_denorm_mode_32 3
		.amdhsa_float_denorm_mode_16_64 3
		.amdhsa_dx10_clamp 1
		.amdhsa_ieee_mode 1
		.amdhsa_fp16_overflow 0
		.amdhsa_exception_fp_ieee_invalid_op 0
		.amdhsa_exception_fp_denorm_src 0
		.amdhsa_exception_fp_ieee_div_zero 0
		.amdhsa_exception_fp_ieee_overflow 0
		.amdhsa_exception_fp_ieee_underflow 0
		.amdhsa_exception_fp_ieee_inexact 0
		.amdhsa_exception_int_div_zero 0
	.end_amdhsa_kernel
	.section	.text._ZN9rocsparseL20bsrxmvn_17_32_kernelILj18E21rocsparse_complex_numIfEiiS2_S2_S2_EEvT2_20rocsparse_direction_NS_24const_host_device_scalarIT0_EES3_PKS3_PKT1_SC_S9_PKT3_PKT4_S7_PT5_21rocsparse_index_base_b,"axG",@progbits,_ZN9rocsparseL20bsrxmvn_17_32_kernelILj18E21rocsparse_complex_numIfEiiS2_S2_S2_EEvT2_20rocsparse_direction_NS_24const_host_device_scalarIT0_EES3_PKS3_PKT1_SC_S9_PKT3_PKT4_S7_PT5_21rocsparse_index_base_b,comdat
.Lfunc_end33:
	.size	_ZN9rocsparseL20bsrxmvn_17_32_kernelILj18E21rocsparse_complex_numIfEiiS2_S2_S2_EEvT2_20rocsparse_direction_NS_24const_host_device_scalarIT0_EES3_PKS3_PKT1_SC_S9_PKT3_PKT4_S7_PT5_21rocsparse_index_base_b, .Lfunc_end33-_ZN9rocsparseL20bsrxmvn_17_32_kernelILj18E21rocsparse_complex_numIfEiiS2_S2_S2_EEvT2_20rocsparse_direction_NS_24const_host_device_scalarIT0_EES3_PKS3_PKT1_SC_S9_PKT3_PKT4_S7_PT5_21rocsparse_index_base_b
                                        ; -- End function
	.set _ZN9rocsparseL20bsrxmvn_17_32_kernelILj18E21rocsparse_complex_numIfEiiS2_S2_S2_EEvT2_20rocsparse_direction_NS_24const_host_device_scalarIT0_EES3_PKS3_PKT1_SC_S9_PKT3_PKT4_S7_PT5_21rocsparse_index_base_b.num_vgpr, 18
	.set _ZN9rocsparseL20bsrxmvn_17_32_kernelILj18E21rocsparse_complex_numIfEiiS2_S2_S2_EEvT2_20rocsparse_direction_NS_24const_host_device_scalarIT0_EES3_PKS3_PKT1_SC_S9_PKT3_PKT4_S7_PT5_21rocsparse_index_base_b.num_agpr, 0
	.set _ZN9rocsparseL20bsrxmvn_17_32_kernelILj18E21rocsparse_complex_numIfEiiS2_S2_S2_EEvT2_20rocsparse_direction_NS_24const_host_device_scalarIT0_EES3_PKS3_PKT1_SC_S9_PKT3_PKT4_S7_PT5_21rocsparse_index_base_b.numbered_sgpr, 18
	.set _ZN9rocsparseL20bsrxmvn_17_32_kernelILj18E21rocsparse_complex_numIfEiiS2_S2_S2_EEvT2_20rocsparse_direction_NS_24const_host_device_scalarIT0_EES3_PKS3_PKT1_SC_S9_PKT3_PKT4_S7_PT5_21rocsparse_index_base_b.num_named_barrier, 0
	.set _ZN9rocsparseL20bsrxmvn_17_32_kernelILj18E21rocsparse_complex_numIfEiiS2_S2_S2_EEvT2_20rocsparse_direction_NS_24const_host_device_scalarIT0_EES3_PKS3_PKT1_SC_S9_PKT3_PKT4_S7_PT5_21rocsparse_index_base_b.private_seg_size, 0
	.set _ZN9rocsparseL20bsrxmvn_17_32_kernelILj18E21rocsparse_complex_numIfEiiS2_S2_S2_EEvT2_20rocsparse_direction_NS_24const_host_device_scalarIT0_EES3_PKS3_PKT1_SC_S9_PKT3_PKT4_S7_PT5_21rocsparse_index_base_b.uses_vcc, 1
	.set _ZN9rocsparseL20bsrxmvn_17_32_kernelILj18E21rocsparse_complex_numIfEiiS2_S2_S2_EEvT2_20rocsparse_direction_NS_24const_host_device_scalarIT0_EES3_PKS3_PKT1_SC_S9_PKT3_PKT4_S7_PT5_21rocsparse_index_base_b.uses_flat_scratch, 0
	.set _ZN9rocsparseL20bsrxmvn_17_32_kernelILj18E21rocsparse_complex_numIfEiiS2_S2_S2_EEvT2_20rocsparse_direction_NS_24const_host_device_scalarIT0_EES3_PKS3_PKT1_SC_S9_PKT3_PKT4_S7_PT5_21rocsparse_index_base_b.has_dyn_sized_stack, 0
	.set _ZN9rocsparseL20bsrxmvn_17_32_kernelILj18E21rocsparse_complex_numIfEiiS2_S2_S2_EEvT2_20rocsparse_direction_NS_24const_host_device_scalarIT0_EES3_PKS3_PKT1_SC_S9_PKT3_PKT4_S7_PT5_21rocsparse_index_base_b.has_recursion, 0
	.set _ZN9rocsparseL20bsrxmvn_17_32_kernelILj18E21rocsparse_complex_numIfEiiS2_S2_S2_EEvT2_20rocsparse_direction_NS_24const_host_device_scalarIT0_EES3_PKS3_PKT1_SC_S9_PKT3_PKT4_S7_PT5_21rocsparse_index_base_b.has_indirect_call, 0
	.section	.AMDGPU.csdata,"",@progbits
; Kernel info:
; codeLenInByte = 1408
; TotalNumSgprs: 22
; NumVgprs: 18
; ScratchSize: 0
; MemoryBound: 0
; FloatMode: 240
; IeeeMode: 1
; LDSByteSize: 2592 bytes/workgroup (compile time only)
; SGPRBlocks: 8
; VGPRBlocks: 6
; NumSGPRsForWavesPerEU: 65
; NumVGPRsForWavesPerEU: 25
; Occupancy: 9
; WaveLimiterHint : 1
; COMPUTE_PGM_RSRC2:SCRATCH_EN: 0
; COMPUTE_PGM_RSRC2:USER_SGPR: 6
; COMPUTE_PGM_RSRC2:TRAP_HANDLER: 0
; COMPUTE_PGM_RSRC2:TGID_X_EN: 1
; COMPUTE_PGM_RSRC2:TGID_Y_EN: 0
; COMPUTE_PGM_RSRC2:TGID_Z_EN: 0
; COMPUTE_PGM_RSRC2:TIDIG_COMP_CNT: 0
	.section	.text._ZN9rocsparseL20bsrxmvn_17_32_kernelILj19E21rocsparse_complex_numIfEiiS2_S2_S2_EEvT2_20rocsparse_direction_NS_24const_host_device_scalarIT0_EES3_PKS3_PKT1_SC_S9_PKT3_PKT4_S7_PT5_21rocsparse_index_base_b,"axG",@progbits,_ZN9rocsparseL20bsrxmvn_17_32_kernelILj19E21rocsparse_complex_numIfEiiS2_S2_S2_EEvT2_20rocsparse_direction_NS_24const_host_device_scalarIT0_EES3_PKS3_PKT1_SC_S9_PKT3_PKT4_S7_PT5_21rocsparse_index_base_b,comdat
	.globl	_ZN9rocsparseL20bsrxmvn_17_32_kernelILj19E21rocsparse_complex_numIfEiiS2_S2_S2_EEvT2_20rocsparse_direction_NS_24const_host_device_scalarIT0_EES3_PKS3_PKT1_SC_S9_PKT3_PKT4_S7_PT5_21rocsparse_index_base_b ; -- Begin function _ZN9rocsparseL20bsrxmvn_17_32_kernelILj19E21rocsparse_complex_numIfEiiS2_S2_S2_EEvT2_20rocsparse_direction_NS_24const_host_device_scalarIT0_EES3_PKS3_PKT1_SC_S9_PKT3_PKT4_S7_PT5_21rocsparse_index_base_b
	.p2align	8
	.type	_ZN9rocsparseL20bsrxmvn_17_32_kernelILj19E21rocsparse_complex_numIfEiiS2_S2_S2_EEvT2_20rocsparse_direction_NS_24const_host_device_scalarIT0_EES3_PKS3_PKT1_SC_S9_PKT3_PKT4_S7_PT5_21rocsparse_index_base_b,@function
_ZN9rocsparseL20bsrxmvn_17_32_kernelILj19E21rocsparse_complex_numIfEiiS2_S2_S2_EEvT2_20rocsparse_direction_NS_24const_host_device_scalarIT0_EES3_PKS3_PKT1_SC_S9_PKT3_PKT4_S7_PT5_21rocsparse_index_base_b: ; @_ZN9rocsparseL20bsrxmvn_17_32_kernelILj19E21rocsparse_complex_numIfEiiS2_S2_S2_EEvT2_20rocsparse_direction_NS_24const_host_device_scalarIT0_EES3_PKS3_PKT1_SC_S9_PKT3_PKT4_S7_PT5_21rocsparse_index_base_b
; %bb.0:
	s_load_dwordx2 s[0:1], s[4:5], 0x8
	s_load_dwordx2 s[10:11], s[4:5], 0x58
	s_add_u32 s7, s4, 8
	s_addc_u32 s8, s5, 0
	s_add_u32 s9, s4, 0x48
	s_load_dwordx2 s[2:3], s[4:5], 0x48
	s_addc_u32 s12, s5, 0
	s_waitcnt lgkmcnt(0)
	s_bitcmp1_b32 s11, 0
	s_cselect_b32 s1, s8, s1
	s_cselect_b32 s0, s7, s0
	v_mov_b32_e32 v1, s0
	v_mov_b32_e32 v2, s1
	flat_load_dwordx2 v[3:4], v[1:2]
	s_cselect_b32 s0, s12, s3
	s_cselect_b32 s1, s9, s2
	v_mov_b32_e32 v1, s1
	v_mov_b32_e32 v2, s0
	flat_load_dwordx2 v[1:2], v[1:2]
	s_waitcnt vmcnt(0) lgkmcnt(0)
	v_cmp_eq_f32_e32 vcc, 0, v3
	v_cmp_eq_f32_e64 s[0:1], 0, v4
	s_and_b64 s[8:9], vcc, s[0:1]
	s_mov_b64 s[0:1], -1
	s_and_saveexec_b64 s[2:3], s[8:9]
; %bb.1:
	v_cmp_neq_f32_e32 vcc, 1.0, v1
	v_cmp_neq_f32_e64 s[0:1], 0, v2
	s_or_b64 s[0:1], vcc, s[0:1]
	s_orn2_b64 s[0:1], s[0:1], exec
; %bb.2:
	s_or_b64 exec, exec, s[2:3]
	s_and_saveexec_b64 s[2:3], s[0:1]
	s_cbranch_execz .LBB34_39
; %bb.3:
	s_load_dwordx4 s[0:3], s[4:5], 0x18
	s_load_dwordx2 s[14:15], s[4:5], 0x28
	s_waitcnt lgkmcnt(0)
	s_cmp_eq_u64 s[0:1], 0
	s_cbranch_scc1 .LBB34_5
; %bb.4:
	s_ashr_i32 s7, s6, 31
	s_lshl_b64 s[6:7], s[6:7], 2
	s_add_u32 s0, s0, s6
	s_addc_u32 s1, s1, s7
	s_load_dword s0, s[0:1], 0x0
	s_waitcnt lgkmcnt(0)
	s_sub_i32 s6, s0, s10
.LBB34_5:
	s_load_dword s0, s[4:5], 0x4
	s_load_dwordx2 s[8:9], s[4:5], 0x50
	v_mul_u32_u24_e32 v7, 0xd7a, v0
	v_mov_b32_e32 v8, 19
	v_mul_lo_u16_sdwa v5, v7, v8 dst_sel:DWORD dst_unused:UNUSED_PAD src0_sel:WORD_1 src1_sel:DWORD
	s_waitcnt lgkmcnt(0)
	s_cmp_eq_u32 s0, 1
	s_cselect_b64 vcc, -1, 0
	s_cmp_lg_u32 s0, 1
	s_cselect_b64 s[12:13], -1, 0
	s_ashr_i32 s7, s6, 31
	s_lshl_b64 s[0:1], s[6:7], 2
	s_add_u32 s2, s2, s0
	s_addc_u32 s3, s3, s1
	s_load_dword s7, s[2:3], 0x0
	s_add_u32 s2, s2, 4
	s_addc_u32 s3, s3, 0
	s_add_u32 s0, s14, s0
	s_addc_u32 s1, s15, s1
	s_cmp_eq_u64 s[14:15], 0
	s_cselect_b32 s1, s3, s1
	s_cselect_b32 s0, s2, s0
	s_load_dword s11, s[0:1], 0x0
	v_sub_u16_e32 v13, v0, v5
	v_mov_b32_e32 v6, 0
	v_lshlrev_b32_e32 v12, 3, v0
	v_mov_b32_e32 v5, 0
	s_waitcnt lgkmcnt(0)
	s_cmp_ge_i32 s7, s11
	s_cbranch_scc1 .LBB34_10
; %bb.6:
	s_load_dwordx4 s[0:3], s[4:5], 0x30
	s_load_dwordx2 s[14:15], s[4:5], 0x40
	v_mov_b32_e32 v5, 14
	v_mul_lo_u16_sdwa v5, v7, v5 dst_sel:DWORD dst_unused:UNUSED_PAD src0_sel:WORD_1 src1_sel:DWORD
	s_sub_i32 s5, s7, s10
	s_sub_i32 s4, s11, s10
	v_mul_lo_u16_sdwa v5, v5, v8 dst_sel:DWORD dst_unused:UNUSED_PAD src0_sel:BYTE_1 src1_sel:DWORD
	s_mul_i32 s11, s5, 0xb48
	v_sub_u16_sdwa v5, v7, v5 dst_sel:DWORD dst_unused:UNUSED_PAD src0_sel:WORD_1 src1_sel:DWORD
	s_mul_hi_i32 s7, s5, 0xb48
	s_waitcnt lgkmcnt(0)
	s_add_u32 s2, s2, s11
	v_and_b32_e32 v5, 0xff, v5
	s_addc_u32 s3, s3, s7
	v_cndmask_b32_e32 v7, v13, v5, vcc
	v_mov_b32_e32 v6, 0
	v_mov_b32_e32 v5, s3
	v_add_co_u32_e32 v8, vcc, s2, v12
	s_movk_i32 s2, 0xb6
	v_addc_co_u32_e32 v9, vcc, 0, v5, vcc
	v_mul_u32_u24_sdwa v14, v0, s2 dst_sel:DWORD dst_unused:UNUSED_PAD src0_sel:WORD_0 src1_sel:DWORD
	v_mov_b32_e32 v5, v6
	s_branch .LBB34_8
.LBB34_7:                               ;   in Loop: Header=BB34_8 Depth=1
	s_or_b64 exec, exec, s[2:3]
	s_add_i32 s5, s5, 1
	s_cmp_lt_i32 s5, s4
	s_cbranch_scc0 .LBB34_10
.LBB34_8:                               ; =>This Inner Loop Header: Depth=1
	v_add_u32_sdwa v10, v14, s5 dst_sel:DWORD dst_unused:UNUSED_PAD src0_sel:WORD_1 src1_sel:DWORD
	v_cmp_gt_i32_e32 vcc, s4, v10
	s_and_saveexec_b64 s[2:3], vcc
	s_cbranch_execz .LBB34_7
; %bb.9:                                ;   in Loop: Header=BB34_8 Depth=1
	v_ashrrev_i32_e32 v11, 31, v10
	v_lshlrev_b64 v[10:11], 2, v[10:11]
	v_mov_b32_e32 v15, s1
	v_add_co_u32_e32 v10, vcc, s0, v10
	v_addc_co_u32_e32 v11, vcc, v15, v11, vcc
	global_load_dword v10, v[10:11], off
	v_mov_b32_e32 v17, s15
	global_load_dwordx2 v[15:16], v[8:9], off
	s_waitcnt vmcnt(1)
	v_subrev_u32_e32 v10, s10, v10
	v_mad_u64_u32 v[10:11], s[16:17], v10, 19, v[7:8]
	v_ashrrev_i32_e32 v11, 31, v10
	v_lshlrev_b64 v[10:11], 3, v[10:11]
	v_add_co_u32_e32 v10, vcc, s14, v10
	v_addc_co_u32_e32 v11, vcc, v17, v11, vcc
	global_load_dwordx2 v[10:11], v[10:11], off
	v_add_co_u32_e32 v8, vcc, 0xb48, v8
	v_addc_co_u32_e32 v9, vcc, 0, v9, vcc
	s_waitcnt vmcnt(0)
	v_fmac_f32_e32 v5, v15, v10
	v_fmac_f32_e32 v6, v16, v10
	v_fma_f32 v5, -v16, v11, v5
	v_fmac_f32_e32 v6, v15, v11
	s_branch .LBB34_7
.LBB34_10:
	s_and_b64 vcc, exec, s[12:13]
	ds_write_b64 v12, v[5:6]
	s_waitcnt lgkmcnt(0)
	s_barrier
	s_cbranch_vccz .LBB34_22
; %bb.11:
	v_cmp_gt_u16_e32 vcc, 3, v13
	s_and_saveexec_b64 s[0:1], vcc
	s_cbranch_execz .LBB34_13
; %bb.12:
	ds_read2_b64 v[7:10], v12 offset1:16
	s_waitcnt lgkmcnt(0)
	v_add_f32_e32 v7, v9, v7
	v_add_f32_e32 v8, v10, v8
	ds_write_b64 v12, v[7:8]
.LBB34_13:
	s_or_b64 exec, exec, s[0:1]
	v_cmp_gt_u16_e32 vcc, 8, v13
	s_waitcnt lgkmcnt(0)
	s_barrier
	s_and_saveexec_b64 s[0:1], vcc
	s_cbranch_execz .LBB34_15
; %bb.14:
	ds_read2_b64 v[7:10], v12 offset1:8
	s_waitcnt lgkmcnt(0)
	v_add_f32_e32 v7, v9, v7
	v_add_f32_e32 v8, v10, v8
	ds_write_b64 v12, v[7:8]
.LBB34_15:
	s_or_b64 exec, exec, s[0:1]
	v_cmp_gt_u16_e32 vcc, 4, v13
	s_waitcnt lgkmcnt(0)
	s_barrier
	;; [unrolled: 13-line block ×3, first 2 shown]
	s_and_saveexec_b64 s[0:1], vcc
	s_cbranch_execz .LBB34_19
; %bb.18:
	ds_read2_b64 v[7:10], v12 offset1:2
	s_waitcnt lgkmcnt(0)
	v_add_f32_e32 v7, v9, v7
	v_add_f32_e32 v8, v10, v8
	ds_write_b64 v12, v[7:8]
.LBB34_19:
	s_or_b64 exec, exec, s[0:1]
	v_cmp_gt_u32_e32 vcc, 19, v0
	v_mov_b32_e32 v8, v6
	v_mov_b32_e32 v7, v5
	s_waitcnt lgkmcnt(0)
	s_barrier
	s_and_saveexec_b64 s[0:1], vcc
	s_cbranch_execz .LBB34_21
; %bb.20:
	s_movk_i32 s2, 0x90
	v_mad_u32_u24 v7, v0, s2, v12
	ds_read2_b64 v[7:10], v7 offset1:1
	s_waitcnt lgkmcnt(0)
	v_add_f32_e32 v7, v9, v7
	v_add_f32_e32 v8, v10, v8
.LBB34_21:
	s_or_b64 exec, exec, s[0:1]
	s_branch .LBB34_34
.LBB34_22:
                                        ; implicit-def: $vgpr8
                                        ; implicit-def: $vgpr7
	s_cbranch_execz .LBB34_34
; %bb.23:
	v_cmp_gt_u32_e32 vcc, 57, v0
	s_and_saveexec_b64 s[0:1], vcc
	s_cbranch_execz .LBB34_25
; %bb.24:
	ds_read_b64 v[7:8], v12 offset:2432
	ds_read_b64 v[9:10], v12
	s_waitcnt lgkmcnt(0)
	v_add_f32_e32 v7, v7, v9
	v_add_f32_e32 v8, v8, v10
	ds_write_b64 v12, v[7:8]
.LBB34_25:
	s_or_b64 exec, exec, s[0:1]
	s_movk_i32 s0, 0x98
	v_cmp_gt_u32_e32 vcc, s0, v0
	s_waitcnt lgkmcnt(0)
	s_barrier
	s_and_saveexec_b64 s[0:1], vcc
	s_cbranch_execz .LBB34_27
; %bb.26:
	ds_read2_b64 v[7:10], v12 offset1:152
	s_waitcnt lgkmcnt(0)
	v_add_f32_e32 v7, v9, v7
	v_add_f32_e32 v8, v10, v8
	ds_write_b64 v12, v[7:8]
.LBB34_27:
	s_or_b64 exec, exec, s[0:1]
	s_movk_i32 s0, 0x4c
	v_cmp_gt_u32_e32 vcc, s0, v0
	s_waitcnt lgkmcnt(0)
	s_barrier
	s_and_saveexec_b64 s[0:1], vcc
	s_cbranch_execz .LBB34_29
; %bb.28:
	ds_read2_b64 v[7:10], v12 offset1:76
	s_waitcnt lgkmcnt(0)
	v_add_f32_e32 v7, v9, v7
	v_add_f32_e32 v8, v10, v8
	ds_write_b64 v12, v[7:8]
.LBB34_29:
	s_or_b64 exec, exec, s[0:1]
	v_cmp_gt_u32_e32 vcc, 38, v0
	s_waitcnt lgkmcnt(0)
	s_barrier
	s_and_saveexec_b64 s[0:1], vcc
	s_cbranch_execz .LBB34_31
; %bb.30:
	ds_read2_b64 v[7:10], v12 offset1:38
	s_waitcnt lgkmcnt(0)
	v_add_f32_e32 v7, v9, v7
	v_add_f32_e32 v8, v10, v8
	ds_write_b64 v12, v[7:8]
.LBB34_31:
	s_or_b64 exec, exec, s[0:1]
	v_cmp_gt_u32_e32 vcc, 19, v0
	s_waitcnt lgkmcnt(0)
	s_and_saveexec_b64 s[0:1], vcc
	s_cbranch_execz .LBB34_33
; %bb.32:
	ds_read2_b64 v[5:8], v12 offset1:19
	s_waitcnt lgkmcnt(0)
	v_add_f32_e32 v5, v7, v5
	v_add_f32_e32 v6, v8, v6
.LBB34_33:
	s_or_b64 exec, exec, s[0:1]
	v_mov_b32_e32 v8, v6
	v_mov_b32_e32 v7, v5
.LBB34_34:
	v_cmp_gt_u32_e32 vcc, 19, v0
	s_and_b64 exec, exec, vcc
	s_cbranch_execz .LBB34_39
; %bb.35:
	v_cmp_eq_f32_e32 vcc, 0, v1
	v_cmp_eq_f32_e64 s[0:1], 0, v2
	v_mul_f32_e64 v5, v8, -v4
	v_mul_f32_e32 v6, v3, v8
	s_and_b64 s[0:1], vcc, s[0:1]
	v_fmac_f32_e32 v5, v3, v7
	v_fmac_f32_e32 v6, v4, v7
	s_and_saveexec_b64 s[2:3], s[0:1]
	s_xor_b64 s[0:1], exec, s[2:3]
	s_cbranch_execz .LBB34_37
; %bb.36:
	v_mad_u64_u32 v[0:1], s[2:3], s6, 19, v[0:1]
	v_mov_b32_e32 v1, 0
	v_mov_b32_e32 v2, s9
	v_lshlrev_b64 v[0:1], 3, v[0:1]
	v_add_co_u32_e32 v0, vcc, s8, v0
	v_addc_co_u32_e32 v1, vcc, v2, v1, vcc
	global_store_dwordx2 v[0:1], v[5:6], off
                                        ; implicit-def: $vgpr0
                                        ; implicit-def: $vgpr1_vgpr2
                                        ; implicit-def: $vgpr5
.LBB34_37:
	s_andn2_saveexec_b64 s[0:1], s[0:1]
	s_cbranch_execz .LBB34_39
; %bb.38:
	v_mad_u64_u32 v[3:4], s[0:1], s6, 19, v[0:1]
	v_mov_b32_e32 v4, 0
	v_mov_b32_e32 v0, s9
	v_lshlrev_b64 v[3:4], 3, v[3:4]
	v_add_co_u32_e32 v3, vcc, s8, v3
	v_addc_co_u32_e32 v4, vcc, v0, v4, vcc
	global_load_dwordx2 v[7:8], v[3:4], off
	s_waitcnt vmcnt(0)
	v_fmac_f32_e32 v5, v1, v7
	v_fmac_f32_e32 v6, v2, v7
	v_fma_f32 v5, -v2, v8, v5
	v_fmac_f32_e32 v6, v1, v8
	global_store_dwordx2 v[3:4], v[5:6], off
.LBB34_39:
	s_endpgm
	.section	.rodata,"a",@progbits
	.p2align	6, 0x0
	.amdhsa_kernel _ZN9rocsparseL20bsrxmvn_17_32_kernelILj19E21rocsparse_complex_numIfEiiS2_S2_S2_EEvT2_20rocsparse_direction_NS_24const_host_device_scalarIT0_EES3_PKS3_PKT1_SC_S9_PKT3_PKT4_S7_PT5_21rocsparse_index_base_b
		.amdhsa_group_segment_fixed_size 2888
		.amdhsa_private_segment_fixed_size 0
		.amdhsa_kernarg_size 96
		.amdhsa_user_sgpr_count 6
		.amdhsa_user_sgpr_private_segment_buffer 1
		.amdhsa_user_sgpr_dispatch_ptr 0
		.amdhsa_user_sgpr_queue_ptr 0
		.amdhsa_user_sgpr_kernarg_segment_ptr 1
		.amdhsa_user_sgpr_dispatch_id 0
		.amdhsa_user_sgpr_flat_scratch_init 0
		.amdhsa_user_sgpr_private_segment_size 0
		.amdhsa_uses_dynamic_stack 0
		.amdhsa_system_sgpr_private_segment_wavefront_offset 0
		.amdhsa_system_sgpr_workgroup_id_x 1
		.amdhsa_system_sgpr_workgroup_id_y 0
		.amdhsa_system_sgpr_workgroup_id_z 0
		.amdhsa_system_sgpr_workgroup_info 0
		.amdhsa_system_vgpr_workitem_id 0
		.amdhsa_next_free_vgpr 25
		.amdhsa_next_free_sgpr 61
		.amdhsa_reserve_vcc 1
		.amdhsa_reserve_flat_scratch 0
		.amdhsa_float_round_mode_32 0
		.amdhsa_float_round_mode_16_64 0
		.amdhsa_float_denorm_mode_32 3
		.amdhsa_float_denorm_mode_16_64 3
		.amdhsa_dx10_clamp 1
		.amdhsa_ieee_mode 1
		.amdhsa_fp16_overflow 0
		.amdhsa_exception_fp_ieee_invalid_op 0
		.amdhsa_exception_fp_denorm_src 0
		.amdhsa_exception_fp_ieee_div_zero 0
		.amdhsa_exception_fp_ieee_overflow 0
		.amdhsa_exception_fp_ieee_underflow 0
		.amdhsa_exception_fp_ieee_inexact 0
		.amdhsa_exception_int_div_zero 0
	.end_amdhsa_kernel
	.section	.text._ZN9rocsparseL20bsrxmvn_17_32_kernelILj19E21rocsparse_complex_numIfEiiS2_S2_S2_EEvT2_20rocsparse_direction_NS_24const_host_device_scalarIT0_EES3_PKS3_PKT1_SC_S9_PKT3_PKT4_S7_PT5_21rocsparse_index_base_b,"axG",@progbits,_ZN9rocsparseL20bsrxmvn_17_32_kernelILj19E21rocsparse_complex_numIfEiiS2_S2_S2_EEvT2_20rocsparse_direction_NS_24const_host_device_scalarIT0_EES3_PKS3_PKT1_SC_S9_PKT3_PKT4_S7_PT5_21rocsparse_index_base_b,comdat
.Lfunc_end34:
	.size	_ZN9rocsparseL20bsrxmvn_17_32_kernelILj19E21rocsparse_complex_numIfEiiS2_S2_S2_EEvT2_20rocsparse_direction_NS_24const_host_device_scalarIT0_EES3_PKS3_PKT1_SC_S9_PKT3_PKT4_S7_PT5_21rocsparse_index_base_b, .Lfunc_end34-_ZN9rocsparseL20bsrxmvn_17_32_kernelILj19E21rocsparse_complex_numIfEiiS2_S2_S2_EEvT2_20rocsparse_direction_NS_24const_host_device_scalarIT0_EES3_PKS3_PKT1_SC_S9_PKT3_PKT4_S7_PT5_21rocsparse_index_base_b
                                        ; -- End function
	.set _ZN9rocsparseL20bsrxmvn_17_32_kernelILj19E21rocsparse_complex_numIfEiiS2_S2_S2_EEvT2_20rocsparse_direction_NS_24const_host_device_scalarIT0_EES3_PKS3_PKT1_SC_S9_PKT3_PKT4_S7_PT5_21rocsparse_index_base_b.num_vgpr, 18
	.set _ZN9rocsparseL20bsrxmvn_17_32_kernelILj19E21rocsparse_complex_numIfEiiS2_S2_S2_EEvT2_20rocsparse_direction_NS_24const_host_device_scalarIT0_EES3_PKS3_PKT1_SC_S9_PKT3_PKT4_S7_PT5_21rocsparse_index_base_b.num_agpr, 0
	.set _ZN9rocsparseL20bsrxmvn_17_32_kernelILj19E21rocsparse_complex_numIfEiiS2_S2_S2_EEvT2_20rocsparse_direction_NS_24const_host_device_scalarIT0_EES3_PKS3_PKT1_SC_S9_PKT3_PKT4_S7_PT5_21rocsparse_index_base_b.numbered_sgpr, 18
	.set _ZN9rocsparseL20bsrxmvn_17_32_kernelILj19E21rocsparse_complex_numIfEiiS2_S2_S2_EEvT2_20rocsparse_direction_NS_24const_host_device_scalarIT0_EES3_PKS3_PKT1_SC_S9_PKT3_PKT4_S7_PT5_21rocsparse_index_base_b.num_named_barrier, 0
	.set _ZN9rocsparseL20bsrxmvn_17_32_kernelILj19E21rocsparse_complex_numIfEiiS2_S2_S2_EEvT2_20rocsparse_direction_NS_24const_host_device_scalarIT0_EES3_PKS3_PKT1_SC_S9_PKT3_PKT4_S7_PT5_21rocsparse_index_base_b.private_seg_size, 0
	.set _ZN9rocsparseL20bsrxmvn_17_32_kernelILj19E21rocsparse_complex_numIfEiiS2_S2_S2_EEvT2_20rocsparse_direction_NS_24const_host_device_scalarIT0_EES3_PKS3_PKT1_SC_S9_PKT3_PKT4_S7_PT5_21rocsparse_index_base_b.uses_vcc, 1
	.set _ZN9rocsparseL20bsrxmvn_17_32_kernelILj19E21rocsparse_complex_numIfEiiS2_S2_S2_EEvT2_20rocsparse_direction_NS_24const_host_device_scalarIT0_EES3_PKS3_PKT1_SC_S9_PKT3_PKT4_S7_PT5_21rocsparse_index_base_b.uses_flat_scratch, 0
	.set _ZN9rocsparseL20bsrxmvn_17_32_kernelILj19E21rocsparse_complex_numIfEiiS2_S2_S2_EEvT2_20rocsparse_direction_NS_24const_host_device_scalarIT0_EES3_PKS3_PKT1_SC_S9_PKT3_PKT4_S7_PT5_21rocsparse_index_base_b.has_dyn_sized_stack, 0
	.set _ZN9rocsparseL20bsrxmvn_17_32_kernelILj19E21rocsparse_complex_numIfEiiS2_S2_S2_EEvT2_20rocsparse_direction_NS_24const_host_device_scalarIT0_EES3_PKS3_PKT1_SC_S9_PKT3_PKT4_S7_PT5_21rocsparse_index_base_b.has_recursion, 0
	.set _ZN9rocsparseL20bsrxmvn_17_32_kernelILj19E21rocsparse_complex_numIfEiiS2_S2_S2_EEvT2_20rocsparse_direction_NS_24const_host_device_scalarIT0_EES3_PKS3_PKT1_SC_S9_PKT3_PKT4_S7_PT5_21rocsparse_index_base_b.has_indirect_call, 0
	.section	.AMDGPU.csdata,"",@progbits
; Kernel info:
; codeLenInByte = 1400
; TotalNumSgprs: 22
; NumVgprs: 18
; ScratchSize: 0
; MemoryBound: 0
; FloatMode: 240
; IeeeMode: 1
; LDSByteSize: 2888 bytes/workgroup (compile time only)
; SGPRBlocks: 8
; VGPRBlocks: 6
; NumSGPRsForWavesPerEU: 65
; NumVGPRsForWavesPerEU: 25
; Occupancy: 9
; WaveLimiterHint : 1
; COMPUTE_PGM_RSRC2:SCRATCH_EN: 0
; COMPUTE_PGM_RSRC2:USER_SGPR: 6
; COMPUTE_PGM_RSRC2:TRAP_HANDLER: 0
; COMPUTE_PGM_RSRC2:TGID_X_EN: 1
; COMPUTE_PGM_RSRC2:TGID_Y_EN: 0
; COMPUTE_PGM_RSRC2:TGID_Z_EN: 0
; COMPUTE_PGM_RSRC2:TIDIG_COMP_CNT: 0
	.section	.text._ZN9rocsparseL20bsrxmvn_17_32_kernelILj20E21rocsparse_complex_numIfEiiS2_S2_S2_EEvT2_20rocsparse_direction_NS_24const_host_device_scalarIT0_EES3_PKS3_PKT1_SC_S9_PKT3_PKT4_S7_PT5_21rocsparse_index_base_b,"axG",@progbits,_ZN9rocsparseL20bsrxmvn_17_32_kernelILj20E21rocsparse_complex_numIfEiiS2_S2_S2_EEvT2_20rocsparse_direction_NS_24const_host_device_scalarIT0_EES3_PKS3_PKT1_SC_S9_PKT3_PKT4_S7_PT5_21rocsparse_index_base_b,comdat
	.globl	_ZN9rocsparseL20bsrxmvn_17_32_kernelILj20E21rocsparse_complex_numIfEiiS2_S2_S2_EEvT2_20rocsparse_direction_NS_24const_host_device_scalarIT0_EES3_PKS3_PKT1_SC_S9_PKT3_PKT4_S7_PT5_21rocsparse_index_base_b ; -- Begin function _ZN9rocsparseL20bsrxmvn_17_32_kernelILj20E21rocsparse_complex_numIfEiiS2_S2_S2_EEvT2_20rocsparse_direction_NS_24const_host_device_scalarIT0_EES3_PKS3_PKT1_SC_S9_PKT3_PKT4_S7_PT5_21rocsparse_index_base_b
	.p2align	8
	.type	_ZN9rocsparseL20bsrxmvn_17_32_kernelILj20E21rocsparse_complex_numIfEiiS2_S2_S2_EEvT2_20rocsparse_direction_NS_24const_host_device_scalarIT0_EES3_PKS3_PKT1_SC_S9_PKT3_PKT4_S7_PT5_21rocsparse_index_base_b,@function
_ZN9rocsparseL20bsrxmvn_17_32_kernelILj20E21rocsparse_complex_numIfEiiS2_S2_S2_EEvT2_20rocsparse_direction_NS_24const_host_device_scalarIT0_EES3_PKS3_PKT1_SC_S9_PKT3_PKT4_S7_PT5_21rocsparse_index_base_b: ; @_ZN9rocsparseL20bsrxmvn_17_32_kernelILj20E21rocsparse_complex_numIfEiiS2_S2_S2_EEvT2_20rocsparse_direction_NS_24const_host_device_scalarIT0_EES3_PKS3_PKT1_SC_S9_PKT3_PKT4_S7_PT5_21rocsparse_index_base_b
; %bb.0:
	s_load_dwordx2 s[0:1], s[4:5], 0x8
	s_load_dwordx2 s[10:11], s[4:5], 0x58
	s_add_u32 s7, s4, 8
	s_addc_u32 s8, s5, 0
	s_add_u32 s9, s4, 0x48
	s_load_dwordx2 s[2:3], s[4:5], 0x48
	s_addc_u32 s12, s5, 0
	s_waitcnt lgkmcnt(0)
	s_bitcmp1_b32 s11, 0
	s_cselect_b32 s1, s8, s1
	s_cselect_b32 s0, s7, s0
	v_mov_b32_e32 v1, s0
	v_mov_b32_e32 v2, s1
	flat_load_dwordx2 v[3:4], v[1:2]
	s_cselect_b32 s0, s12, s3
	s_cselect_b32 s1, s9, s2
	v_mov_b32_e32 v1, s1
	v_mov_b32_e32 v2, s0
	flat_load_dwordx2 v[1:2], v[1:2]
	s_waitcnt vmcnt(0) lgkmcnt(0)
	v_cmp_eq_f32_e32 vcc, 0, v3
	v_cmp_eq_f32_e64 s[0:1], 0, v4
	s_and_b64 s[8:9], vcc, s[0:1]
	s_mov_b64 s[0:1], -1
	s_and_saveexec_b64 s[2:3], s[8:9]
; %bb.1:
	v_cmp_neq_f32_e32 vcc, 1.0, v1
	v_cmp_neq_f32_e64 s[0:1], 0, v2
	s_or_b64 s[0:1], vcc, s[0:1]
	s_orn2_b64 s[0:1], s[0:1], exec
; %bb.2:
	s_or_b64 exec, exec, s[2:3]
	s_and_saveexec_b64 s[2:3], s[0:1]
	s_cbranch_execz .LBB35_39
; %bb.3:
	s_load_dwordx4 s[0:3], s[4:5], 0x18
	s_load_dwordx2 s[14:15], s[4:5], 0x28
	s_waitcnt lgkmcnt(0)
	s_cmp_eq_u64 s[0:1], 0
	s_cbranch_scc1 .LBB35_5
; %bb.4:
	s_ashr_i32 s7, s6, 31
	s_lshl_b64 s[6:7], s[6:7], 2
	s_add_u32 s0, s0, s6
	s_addc_u32 s1, s1, s7
	s_load_dword s0, s[0:1], 0x0
	s_waitcnt lgkmcnt(0)
	s_sub_i32 s6, s0, s10
.LBB35_5:
	s_load_dword s0, s[4:5], 0x4
	s_load_dwordx2 s[8:9], s[4:5], 0x50
	v_mul_u32_u24_e32 v7, 0xccd, v0
	v_mov_b32_e32 v8, 20
	v_mul_lo_u16_sdwa v5, v7, v8 dst_sel:DWORD dst_unused:UNUSED_PAD src0_sel:WORD_1 src1_sel:DWORD
	s_waitcnt lgkmcnt(0)
	s_cmp_eq_u32 s0, 1
	s_cselect_b64 vcc, -1, 0
	s_cmp_lg_u32 s0, 1
	s_cselect_b64 s[12:13], -1, 0
	s_ashr_i32 s7, s6, 31
	s_lshl_b64 s[0:1], s[6:7], 2
	s_add_u32 s2, s2, s0
	s_addc_u32 s3, s3, s1
	s_load_dword s7, s[2:3], 0x0
	s_add_u32 s2, s2, 4
	s_addc_u32 s3, s3, 0
	s_add_u32 s0, s14, s0
	s_addc_u32 s1, s15, s1
	s_cmp_eq_u64 s[14:15], 0
	s_cselect_b32 s1, s3, s1
	s_cselect_b32 s0, s2, s0
	s_load_dword s11, s[0:1], 0x0
	v_sub_u16_e32 v13, v0, v5
	v_mov_b32_e32 v6, 0
	v_lshlrev_b32_e32 v12, 3, v0
	v_mov_b32_e32 v5, 0
	s_waitcnt lgkmcnt(0)
	s_cmp_ge_i32 s7, s11
	s_cbranch_scc1 .LBB35_10
; %bb.6:
	s_load_dwordx4 s[0:3], s[4:5], 0x30
	s_load_dwordx2 s[14:15], s[4:5], 0x40
	v_mov_b32_e32 v5, 13
	v_mul_lo_u16_sdwa v5, v7, v5 dst_sel:DWORD dst_unused:UNUSED_PAD src0_sel:WORD_1 src1_sel:DWORD
	s_sub_i32 s5, s7, s10
	s_sub_i32 s4, s11, s10
	v_mul_lo_u16_sdwa v5, v5, v8 dst_sel:DWORD dst_unused:UNUSED_PAD src0_sel:BYTE_1 src1_sel:DWORD
	s_mul_i32 s11, s5, 0xc80
	v_sub_u16_sdwa v5, v7, v5 dst_sel:DWORD dst_unused:UNUSED_PAD src0_sel:WORD_1 src1_sel:DWORD
	s_mul_hi_i32 s7, s5, 0xc80
	s_waitcnt lgkmcnt(0)
	s_add_u32 s2, s2, s11
	v_and_b32_e32 v5, 0xff, v5
	s_addc_u32 s3, s3, s7
	v_cndmask_b32_e32 v7, v13, v5, vcc
	v_mov_b32_e32 v6, 0
	v_mov_b32_e32 v5, s3
	v_add_co_u32_e32 v8, vcc, s2, v12
	s_movk_i32 s2, 0xa4
	v_addc_co_u32_e32 v9, vcc, 0, v5, vcc
	v_mul_u32_u24_sdwa v14, v0, s2 dst_sel:DWORD dst_unused:UNUSED_PAD src0_sel:WORD_0 src1_sel:DWORD
	v_mov_b32_e32 v5, v6
	s_branch .LBB35_8
.LBB35_7:                               ;   in Loop: Header=BB35_8 Depth=1
	s_or_b64 exec, exec, s[2:3]
	s_add_i32 s5, s5, 1
	s_cmp_lt_i32 s5, s4
	s_cbranch_scc0 .LBB35_10
.LBB35_8:                               ; =>This Inner Loop Header: Depth=1
	v_add_u32_sdwa v10, v14, s5 dst_sel:DWORD dst_unused:UNUSED_PAD src0_sel:WORD_1 src1_sel:DWORD
	v_cmp_gt_i32_e32 vcc, s4, v10
	s_and_saveexec_b64 s[2:3], vcc
	s_cbranch_execz .LBB35_7
; %bb.9:                                ;   in Loop: Header=BB35_8 Depth=1
	v_ashrrev_i32_e32 v11, 31, v10
	v_lshlrev_b64 v[10:11], 2, v[10:11]
	v_mov_b32_e32 v15, s1
	v_add_co_u32_e32 v10, vcc, s0, v10
	v_addc_co_u32_e32 v11, vcc, v15, v11, vcc
	global_load_dword v10, v[10:11], off
	v_mov_b32_e32 v17, s15
	global_load_dwordx2 v[15:16], v[8:9], off
	s_waitcnt vmcnt(1)
	v_subrev_u32_e32 v10, s10, v10
	v_mad_u64_u32 v[10:11], s[16:17], v10, 20, v[7:8]
	v_ashrrev_i32_e32 v11, 31, v10
	v_lshlrev_b64 v[10:11], 3, v[10:11]
	v_add_co_u32_e32 v10, vcc, s14, v10
	v_addc_co_u32_e32 v11, vcc, v17, v11, vcc
	global_load_dwordx2 v[10:11], v[10:11], off
	v_add_co_u32_e32 v8, vcc, 0xc80, v8
	v_addc_co_u32_e32 v9, vcc, 0, v9, vcc
	s_waitcnt vmcnt(0)
	v_fmac_f32_e32 v5, v15, v10
	v_fmac_f32_e32 v6, v16, v10
	v_fma_f32 v5, -v16, v11, v5
	v_fmac_f32_e32 v6, v15, v11
	s_branch .LBB35_7
.LBB35_10:
	s_and_b64 vcc, exec, s[12:13]
	ds_write_b64 v12, v[5:6]
	s_waitcnt lgkmcnt(0)
	s_barrier
	s_cbranch_vccz .LBB35_22
; %bb.11:
	v_cmp_gt_u16_e32 vcc, 4, v13
	s_and_saveexec_b64 s[0:1], vcc
	s_cbranch_execz .LBB35_13
; %bb.12:
	ds_read2_b64 v[7:10], v12 offset1:16
	s_waitcnt lgkmcnt(0)
	v_add_f32_e32 v7, v9, v7
	v_add_f32_e32 v8, v10, v8
	ds_write_b64 v12, v[7:8]
.LBB35_13:
	s_or_b64 exec, exec, s[0:1]
	v_cmp_gt_u16_e64 s[0:1], 8, v13
	s_waitcnt lgkmcnt(0)
	s_barrier
	s_and_saveexec_b64 s[2:3], s[0:1]
	s_cbranch_execz .LBB35_15
; %bb.14:
	ds_read2_b64 v[7:10], v12 offset1:8
	s_waitcnt lgkmcnt(0)
	v_add_f32_e32 v7, v9, v7
	v_add_f32_e32 v8, v10, v8
	ds_write_b64 v12, v[7:8]
.LBB35_15:
	s_or_b64 exec, exec, s[2:3]
	s_waitcnt lgkmcnt(0)
	s_barrier
	s_and_saveexec_b64 s[0:1], vcc
	s_cbranch_execz .LBB35_17
; %bb.16:
	ds_read2_b64 v[7:10], v12 offset1:4
	s_waitcnt lgkmcnt(0)
	v_add_f32_e32 v7, v9, v7
	v_add_f32_e32 v8, v10, v8
	ds_write_b64 v12, v[7:8]
.LBB35_17:
	s_or_b64 exec, exec, s[0:1]
	v_cmp_gt_u16_e32 vcc, 2, v13
	s_waitcnt lgkmcnt(0)
	s_barrier
	s_and_saveexec_b64 s[0:1], vcc
	s_cbranch_execz .LBB35_19
; %bb.18:
	ds_read2_b64 v[7:10], v12 offset1:2
	s_waitcnt lgkmcnt(0)
	v_add_f32_e32 v7, v9, v7
	v_add_f32_e32 v8, v10, v8
	ds_write_b64 v12, v[7:8]
.LBB35_19:
	s_or_b64 exec, exec, s[0:1]
	v_cmp_gt_u32_e32 vcc, 20, v0
	v_mov_b32_e32 v8, v6
	v_mov_b32_e32 v7, v5
	s_waitcnt lgkmcnt(0)
	s_barrier
	s_and_saveexec_b64 s[0:1], vcc
	s_cbranch_execz .LBB35_21
; %bb.20:
	s_movk_i32 s2, 0x98
	v_mad_u32_u24 v7, v0, s2, v12
	ds_read2_b64 v[7:10], v7 offset1:1
	s_waitcnt lgkmcnt(0)
	v_add_f32_e32 v7, v9, v7
	v_add_f32_e32 v8, v10, v8
.LBB35_21:
	s_or_b64 exec, exec, s[0:1]
	s_branch .LBB35_34
.LBB35_22:
                                        ; implicit-def: $vgpr8
                                        ; implicit-def: $vgpr7
	s_cbranch_execz .LBB35_34
; %bb.23:
	s_movk_i32 s0, 0x50
	v_cmp_gt_u32_e32 vcc, s0, v0
	s_and_saveexec_b64 s[0:1], vcc
	s_cbranch_execz .LBB35_25
; %bb.24:
	ds_read2st64_b64 v[7:10], v12 offset1:5
	s_waitcnt lgkmcnt(0)
	v_add_f32_e32 v7, v9, v7
	v_add_f32_e32 v8, v10, v8
	ds_write_b64 v12, v[7:8]
.LBB35_25:
	s_or_b64 exec, exec, s[0:1]
	s_movk_i32 s0, 0xa0
	v_cmp_gt_u32_e64 s[0:1], s0, v0
	s_waitcnt lgkmcnt(0)
	s_barrier
	s_and_saveexec_b64 s[2:3], s[0:1]
	s_cbranch_execz .LBB35_27
; %bb.26:
	ds_read2_b64 v[7:10], v12 offset1:160
	s_waitcnt lgkmcnt(0)
	v_add_f32_e32 v7, v9, v7
	v_add_f32_e32 v8, v10, v8
	ds_write_b64 v12, v[7:8]
.LBB35_27:
	s_or_b64 exec, exec, s[2:3]
	s_waitcnt lgkmcnt(0)
	s_barrier
	s_and_saveexec_b64 s[0:1], vcc
	s_cbranch_execz .LBB35_29
; %bb.28:
	ds_read2_b64 v[7:10], v12 offset1:80
	s_waitcnt lgkmcnt(0)
	v_add_f32_e32 v7, v9, v7
	v_add_f32_e32 v8, v10, v8
	ds_write_b64 v12, v[7:8]
.LBB35_29:
	s_or_b64 exec, exec, s[0:1]
	v_cmp_gt_u32_e32 vcc, 40, v0
	s_waitcnt lgkmcnt(0)
	s_barrier
	s_and_saveexec_b64 s[0:1], vcc
	s_cbranch_execz .LBB35_31
; %bb.30:
	ds_read2_b64 v[7:10], v12 offset1:40
	s_waitcnt lgkmcnt(0)
	v_add_f32_e32 v7, v9, v7
	v_add_f32_e32 v8, v10, v8
	ds_write_b64 v12, v[7:8]
.LBB35_31:
	s_or_b64 exec, exec, s[0:1]
	v_cmp_gt_u32_e32 vcc, 20, v0
	s_waitcnt lgkmcnt(0)
	s_and_saveexec_b64 s[0:1], vcc
	s_cbranch_execz .LBB35_33
; %bb.32:
	ds_read2_b64 v[5:8], v12 offset1:20
	s_waitcnt lgkmcnt(0)
	v_add_f32_e32 v5, v7, v5
	v_add_f32_e32 v6, v8, v6
.LBB35_33:
	s_or_b64 exec, exec, s[0:1]
	v_mov_b32_e32 v8, v6
	v_mov_b32_e32 v7, v5
.LBB35_34:
	v_cmp_gt_u32_e32 vcc, 20, v0
	s_and_b64 exec, exec, vcc
	s_cbranch_execz .LBB35_39
; %bb.35:
	v_cmp_eq_f32_e32 vcc, 0, v1
	v_cmp_eq_f32_e64 s[0:1], 0, v2
	v_mul_f32_e64 v5, v8, -v4
	v_mul_f32_e32 v6, v3, v8
	s_and_b64 s[0:1], vcc, s[0:1]
	v_fmac_f32_e32 v5, v3, v7
	v_fmac_f32_e32 v6, v4, v7
	s_and_saveexec_b64 s[2:3], s[0:1]
	s_xor_b64 s[0:1], exec, s[2:3]
	s_cbranch_execz .LBB35_37
; %bb.36:
	v_mad_u64_u32 v[0:1], s[2:3], s6, 20, v[0:1]
	v_mov_b32_e32 v1, 0
	v_mov_b32_e32 v2, s9
	v_lshlrev_b64 v[0:1], 3, v[0:1]
	v_add_co_u32_e32 v0, vcc, s8, v0
	v_addc_co_u32_e32 v1, vcc, v2, v1, vcc
	global_store_dwordx2 v[0:1], v[5:6], off
                                        ; implicit-def: $vgpr0
                                        ; implicit-def: $vgpr1_vgpr2
                                        ; implicit-def: $vgpr5
.LBB35_37:
	s_andn2_saveexec_b64 s[0:1], s[0:1]
	s_cbranch_execz .LBB35_39
; %bb.38:
	v_mad_u64_u32 v[3:4], s[0:1], s6, 20, v[0:1]
	v_mov_b32_e32 v4, 0
	v_mov_b32_e32 v0, s9
	v_lshlrev_b64 v[3:4], 3, v[3:4]
	v_add_co_u32_e32 v3, vcc, s8, v3
	v_addc_co_u32_e32 v4, vcc, v0, v4, vcc
	global_load_dwordx2 v[7:8], v[3:4], off
	s_waitcnt vmcnt(0)
	v_fmac_f32_e32 v5, v1, v7
	v_fmac_f32_e32 v6, v2, v7
	v_fma_f32 v5, -v2, v8, v5
	v_fmac_f32_e32 v6, v1, v8
	global_store_dwordx2 v[3:4], v[5:6], off
.LBB35_39:
	s_endpgm
	.section	.rodata,"a",@progbits
	.p2align	6, 0x0
	.amdhsa_kernel _ZN9rocsparseL20bsrxmvn_17_32_kernelILj20E21rocsparse_complex_numIfEiiS2_S2_S2_EEvT2_20rocsparse_direction_NS_24const_host_device_scalarIT0_EES3_PKS3_PKT1_SC_S9_PKT3_PKT4_S7_PT5_21rocsparse_index_base_b
		.amdhsa_group_segment_fixed_size 3200
		.amdhsa_private_segment_fixed_size 0
		.amdhsa_kernarg_size 96
		.amdhsa_user_sgpr_count 6
		.amdhsa_user_sgpr_private_segment_buffer 1
		.amdhsa_user_sgpr_dispatch_ptr 0
		.amdhsa_user_sgpr_queue_ptr 0
		.amdhsa_user_sgpr_kernarg_segment_ptr 1
		.amdhsa_user_sgpr_dispatch_id 0
		.amdhsa_user_sgpr_flat_scratch_init 0
		.amdhsa_user_sgpr_private_segment_size 0
		.amdhsa_uses_dynamic_stack 0
		.amdhsa_system_sgpr_private_segment_wavefront_offset 0
		.amdhsa_system_sgpr_workgroup_id_x 1
		.amdhsa_system_sgpr_workgroup_id_y 0
		.amdhsa_system_sgpr_workgroup_id_z 0
		.amdhsa_system_sgpr_workgroup_info 0
		.amdhsa_system_vgpr_workitem_id 0
		.amdhsa_next_free_vgpr 25
		.amdhsa_next_free_sgpr 61
		.amdhsa_reserve_vcc 1
		.amdhsa_reserve_flat_scratch 0
		.amdhsa_float_round_mode_32 0
		.amdhsa_float_round_mode_16_64 0
		.amdhsa_float_denorm_mode_32 3
		.amdhsa_float_denorm_mode_16_64 3
		.amdhsa_dx10_clamp 1
		.amdhsa_ieee_mode 1
		.amdhsa_fp16_overflow 0
		.amdhsa_exception_fp_ieee_invalid_op 0
		.amdhsa_exception_fp_denorm_src 0
		.amdhsa_exception_fp_ieee_div_zero 0
		.amdhsa_exception_fp_ieee_overflow 0
		.amdhsa_exception_fp_ieee_underflow 0
		.amdhsa_exception_fp_ieee_inexact 0
		.amdhsa_exception_int_div_zero 0
	.end_amdhsa_kernel
	.section	.text._ZN9rocsparseL20bsrxmvn_17_32_kernelILj20E21rocsparse_complex_numIfEiiS2_S2_S2_EEvT2_20rocsparse_direction_NS_24const_host_device_scalarIT0_EES3_PKS3_PKT1_SC_S9_PKT3_PKT4_S7_PT5_21rocsparse_index_base_b,"axG",@progbits,_ZN9rocsparseL20bsrxmvn_17_32_kernelILj20E21rocsparse_complex_numIfEiiS2_S2_S2_EEvT2_20rocsparse_direction_NS_24const_host_device_scalarIT0_EES3_PKS3_PKT1_SC_S9_PKT3_PKT4_S7_PT5_21rocsparse_index_base_b,comdat
.Lfunc_end35:
	.size	_ZN9rocsparseL20bsrxmvn_17_32_kernelILj20E21rocsparse_complex_numIfEiiS2_S2_S2_EEvT2_20rocsparse_direction_NS_24const_host_device_scalarIT0_EES3_PKS3_PKT1_SC_S9_PKT3_PKT4_S7_PT5_21rocsparse_index_base_b, .Lfunc_end35-_ZN9rocsparseL20bsrxmvn_17_32_kernelILj20E21rocsparse_complex_numIfEiiS2_S2_S2_EEvT2_20rocsparse_direction_NS_24const_host_device_scalarIT0_EES3_PKS3_PKT1_SC_S9_PKT3_PKT4_S7_PT5_21rocsparse_index_base_b
                                        ; -- End function
	.set _ZN9rocsparseL20bsrxmvn_17_32_kernelILj20E21rocsparse_complex_numIfEiiS2_S2_S2_EEvT2_20rocsparse_direction_NS_24const_host_device_scalarIT0_EES3_PKS3_PKT1_SC_S9_PKT3_PKT4_S7_PT5_21rocsparse_index_base_b.num_vgpr, 18
	.set _ZN9rocsparseL20bsrxmvn_17_32_kernelILj20E21rocsparse_complex_numIfEiiS2_S2_S2_EEvT2_20rocsparse_direction_NS_24const_host_device_scalarIT0_EES3_PKS3_PKT1_SC_S9_PKT3_PKT4_S7_PT5_21rocsparse_index_base_b.num_agpr, 0
	.set _ZN9rocsparseL20bsrxmvn_17_32_kernelILj20E21rocsparse_complex_numIfEiiS2_S2_S2_EEvT2_20rocsparse_direction_NS_24const_host_device_scalarIT0_EES3_PKS3_PKT1_SC_S9_PKT3_PKT4_S7_PT5_21rocsparse_index_base_b.numbered_sgpr, 18
	.set _ZN9rocsparseL20bsrxmvn_17_32_kernelILj20E21rocsparse_complex_numIfEiiS2_S2_S2_EEvT2_20rocsparse_direction_NS_24const_host_device_scalarIT0_EES3_PKS3_PKT1_SC_S9_PKT3_PKT4_S7_PT5_21rocsparse_index_base_b.num_named_barrier, 0
	.set _ZN9rocsparseL20bsrxmvn_17_32_kernelILj20E21rocsparse_complex_numIfEiiS2_S2_S2_EEvT2_20rocsparse_direction_NS_24const_host_device_scalarIT0_EES3_PKS3_PKT1_SC_S9_PKT3_PKT4_S7_PT5_21rocsparse_index_base_b.private_seg_size, 0
	.set _ZN9rocsparseL20bsrxmvn_17_32_kernelILj20E21rocsparse_complex_numIfEiiS2_S2_S2_EEvT2_20rocsparse_direction_NS_24const_host_device_scalarIT0_EES3_PKS3_PKT1_SC_S9_PKT3_PKT4_S7_PT5_21rocsparse_index_base_b.uses_vcc, 1
	.set _ZN9rocsparseL20bsrxmvn_17_32_kernelILj20E21rocsparse_complex_numIfEiiS2_S2_S2_EEvT2_20rocsparse_direction_NS_24const_host_device_scalarIT0_EES3_PKS3_PKT1_SC_S9_PKT3_PKT4_S7_PT5_21rocsparse_index_base_b.uses_flat_scratch, 0
	.set _ZN9rocsparseL20bsrxmvn_17_32_kernelILj20E21rocsparse_complex_numIfEiiS2_S2_S2_EEvT2_20rocsparse_direction_NS_24const_host_device_scalarIT0_EES3_PKS3_PKT1_SC_S9_PKT3_PKT4_S7_PT5_21rocsparse_index_base_b.has_dyn_sized_stack, 0
	.set _ZN9rocsparseL20bsrxmvn_17_32_kernelILj20E21rocsparse_complex_numIfEiiS2_S2_S2_EEvT2_20rocsparse_direction_NS_24const_host_device_scalarIT0_EES3_PKS3_PKT1_SC_S9_PKT3_PKT4_S7_PT5_21rocsparse_index_base_b.has_recursion, 0
	.set _ZN9rocsparseL20bsrxmvn_17_32_kernelILj20E21rocsparse_complex_numIfEiiS2_S2_S2_EEvT2_20rocsparse_direction_NS_24const_host_device_scalarIT0_EES3_PKS3_PKT1_SC_S9_PKT3_PKT4_S7_PT5_21rocsparse_index_base_b.has_indirect_call, 0
	.section	.AMDGPU.csdata,"",@progbits
; Kernel info:
; codeLenInByte = 1392
; TotalNumSgprs: 22
; NumVgprs: 18
; ScratchSize: 0
; MemoryBound: 0
; FloatMode: 240
; IeeeMode: 1
; LDSByteSize: 3200 bytes/workgroup (compile time only)
; SGPRBlocks: 8
; VGPRBlocks: 6
; NumSGPRsForWavesPerEU: 65
; NumVGPRsForWavesPerEU: 25
; Occupancy: 9
; WaveLimiterHint : 1
; COMPUTE_PGM_RSRC2:SCRATCH_EN: 0
; COMPUTE_PGM_RSRC2:USER_SGPR: 6
; COMPUTE_PGM_RSRC2:TRAP_HANDLER: 0
; COMPUTE_PGM_RSRC2:TGID_X_EN: 1
; COMPUTE_PGM_RSRC2:TGID_Y_EN: 0
; COMPUTE_PGM_RSRC2:TGID_Z_EN: 0
; COMPUTE_PGM_RSRC2:TIDIG_COMP_CNT: 0
	.section	.text._ZN9rocsparseL20bsrxmvn_17_32_kernelILj21E21rocsparse_complex_numIfEiiS2_S2_S2_EEvT2_20rocsparse_direction_NS_24const_host_device_scalarIT0_EES3_PKS3_PKT1_SC_S9_PKT3_PKT4_S7_PT5_21rocsparse_index_base_b,"axG",@progbits,_ZN9rocsparseL20bsrxmvn_17_32_kernelILj21E21rocsparse_complex_numIfEiiS2_S2_S2_EEvT2_20rocsparse_direction_NS_24const_host_device_scalarIT0_EES3_PKS3_PKT1_SC_S9_PKT3_PKT4_S7_PT5_21rocsparse_index_base_b,comdat
	.globl	_ZN9rocsparseL20bsrxmvn_17_32_kernelILj21E21rocsparse_complex_numIfEiiS2_S2_S2_EEvT2_20rocsparse_direction_NS_24const_host_device_scalarIT0_EES3_PKS3_PKT1_SC_S9_PKT3_PKT4_S7_PT5_21rocsparse_index_base_b ; -- Begin function _ZN9rocsparseL20bsrxmvn_17_32_kernelILj21E21rocsparse_complex_numIfEiiS2_S2_S2_EEvT2_20rocsparse_direction_NS_24const_host_device_scalarIT0_EES3_PKS3_PKT1_SC_S9_PKT3_PKT4_S7_PT5_21rocsparse_index_base_b
	.p2align	8
	.type	_ZN9rocsparseL20bsrxmvn_17_32_kernelILj21E21rocsparse_complex_numIfEiiS2_S2_S2_EEvT2_20rocsparse_direction_NS_24const_host_device_scalarIT0_EES3_PKS3_PKT1_SC_S9_PKT3_PKT4_S7_PT5_21rocsparse_index_base_b,@function
_ZN9rocsparseL20bsrxmvn_17_32_kernelILj21E21rocsparse_complex_numIfEiiS2_S2_S2_EEvT2_20rocsparse_direction_NS_24const_host_device_scalarIT0_EES3_PKS3_PKT1_SC_S9_PKT3_PKT4_S7_PT5_21rocsparse_index_base_b: ; @_ZN9rocsparseL20bsrxmvn_17_32_kernelILj21E21rocsparse_complex_numIfEiiS2_S2_S2_EEvT2_20rocsparse_direction_NS_24const_host_device_scalarIT0_EES3_PKS3_PKT1_SC_S9_PKT3_PKT4_S7_PT5_21rocsparse_index_base_b
; %bb.0:
	s_load_dwordx2 s[0:1], s[4:5], 0x8
	s_load_dwordx2 s[10:11], s[4:5], 0x58
	s_add_u32 s7, s4, 8
	s_addc_u32 s8, s5, 0
	s_add_u32 s9, s4, 0x48
	s_load_dwordx2 s[2:3], s[4:5], 0x48
	s_addc_u32 s12, s5, 0
	s_waitcnt lgkmcnt(0)
	s_bitcmp1_b32 s11, 0
	s_cselect_b32 s1, s8, s1
	s_cselect_b32 s0, s7, s0
	v_mov_b32_e32 v1, s0
	v_mov_b32_e32 v2, s1
	flat_load_dwordx2 v[3:4], v[1:2]
	s_cselect_b32 s0, s12, s3
	s_cselect_b32 s1, s9, s2
	v_mov_b32_e32 v1, s1
	v_mov_b32_e32 v2, s0
	flat_load_dwordx2 v[1:2], v[1:2]
	s_waitcnt vmcnt(0) lgkmcnt(0)
	v_cmp_eq_f32_e32 vcc, 0, v3
	v_cmp_eq_f32_e64 s[0:1], 0, v4
	s_and_b64 s[8:9], vcc, s[0:1]
	s_mov_b64 s[0:1], -1
	s_and_saveexec_b64 s[2:3], s[8:9]
; %bb.1:
	v_cmp_neq_f32_e32 vcc, 1.0, v1
	v_cmp_neq_f32_e64 s[0:1], 0, v2
	s_or_b64 s[0:1], vcc, s[0:1]
	s_orn2_b64 s[0:1], s[0:1], exec
; %bb.2:
	s_or_b64 exec, exec, s[2:3]
	s_and_saveexec_b64 s[2:3], s[0:1]
	s_cbranch_execz .LBB36_39
; %bb.3:
	s_load_dwordx4 s[0:3], s[4:5], 0x18
	s_load_dwordx2 s[14:15], s[4:5], 0x28
	s_waitcnt lgkmcnt(0)
	s_cmp_eq_u64 s[0:1], 0
	s_cbranch_scc1 .LBB36_5
; %bb.4:
	s_ashr_i32 s7, s6, 31
	s_lshl_b64 s[6:7], s[6:7], 2
	s_add_u32 s0, s0, s6
	s_addc_u32 s1, s1, s7
	s_load_dword s0, s[0:1], 0x0
	s_waitcnt lgkmcnt(0)
	s_sub_i32 s6, s0, s10
.LBB36_5:
	s_load_dword s0, s[4:5], 0x4
	s_load_dwordx2 s[8:9], s[4:5], 0x50
	v_mul_u32_u24_e32 v7, 0xc31, v0
	v_mov_b32_e32 v5, 21
	v_mul_lo_u16_sdwa v5, v7, v5 dst_sel:DWORD dst_unused:UNUSED_PAD src0_sel:WORD_1 src1_sel:DWORD
	s_waitcnt lgkmcnt(0)
	s_cmp_eq_u32 s0, 1
	s_cselect_b64 vcc, -1, 0
	s_cmp_lg_u32 s0, 1
	s_cselect_b64 s[12:13], -1, 0
	s_ashr_i32 s7, s6, 31
	s_lshl_b64 s[0:1], s[6:7], 2
	s_add_u32 s2, s2, s0
	s_addc_u32 s3, s3, s1
	s_load_dword s7, s[2:3], 0x0
	s_add_u32 s2, s2, 4
	s_addc_u32 s3, s3, 0
	s_add_u32 s0, s14, s0
	s_addc_u32 s1, s15, s1
	s_cmp_eq_u64 s[14:15], 0
	s_cselect_b32 s1, s3, s1
	s_cselect_b32 s0, s2, s0
	s_load_dword s11, s[0:1], 0x0
	v_sub_u16_e32 v13, v0, v5
	v_mov_b32_e32 v6, 0
	v_lshlrev_b32_e32 v12, 3, v0
	v_mov_b32_e32 v5, 0
	s_waitcnt lgkmcnt(0)
	s_cmp_ge_i32 s7, s11
	s_cbranch_scc1 .LBB36_10
; %bb.6:
	s_load_dwordx4 s[0:3], s[4:5], 0x30
	s_load_dwordx2 s[14:15], s[4:5], 0x40
	v_mov_b32_e32 v5, 25
	v_mul_lo_u16_sdwa v5, v7, v5 dst_sel:DWORD dst_unused:UNUSED_PAD src0_sel:WORD_1 src1_sel:DWORD
	v_lshrrev_b16_e32 v5, 9, v5
	s_sub_i32 s5, s7, s10
	s_sub_i32 s4, s11, s10
	v_mul_lo_u16_e32 v5, 21, v5
	s_mul_i32 s11, s5, 0xdc8
	v_sub_u16_sdwa v5, v7, v5 dst_sel:DWORD dst_unused:UNUSED_PAD src0_sel:WORD_1 src1_sel:DWORD
	s_mul_hi_i32 s7, s5, 0xdc8
	s_waitcnt lgkmcnt(0)
	s_add_u32 s2, s2, s11
	v_and_b32_e32 v5, 0xff, v5
	s_addc_u32 s3, s3, s7
	v_cndmask_b32_e32 v7, v13, v5, vcc
	v_mov_b32_e32 v5, s3
	v_add_co_u32_e32 v8, vcc, s2, v12
	s_movk_i32 s2, 0x253
	v_mov_b32_e32 v6, 0
	v_addc_co_u32_e32 v9, vcc, 0, v5, vcc
	v_mul_u32_u24_sdwa v5, v0, s2 dst_sel:DWORD dst_unused:UNUSED_PAD src0_sel:WORD_0 src1_sel:DWORD
	v_lshrrev_b32_e32 v14, 18, v5
	v_mov_b32_e32 v5, v6
	s_branch .LBB36_8
.LBB36_7:                               ;   in Loop: Header=BB36_8 Depth=1
	s_or_b64 exec, exec, s[2:3]
	s_add_i32 s5, s5, 1
	s_cmp_lt_i32 s5, s4
	s_cbranch_scc0 .LBB36_10
.LBB36_8:                               ; =>This Inner Loop Header: Depth=1
	v_add_u32_e32 v10, s5, v14
	v_cmp_gt_i32_e32 vcc, s4, v10
	s_and_saveexec_b64 s[2:3], vcc
	s_cbranch_execz .LBB36_7
; %bb.9:                                ;   in Loop: Header=BB36_8 Depth=1
	v_ashrrev_i32_e32 v11, 31, v10
	v_lshlrev_b64 v[10:11], 2, v[10:11]
	v_mov_b32_e32 v15, s1
	v_add_co_u32_e32 v10, vcc, s0, v10
	v_addc_co_u32_e32 v11, vcc, v15, v11, vcc
	global_load_dword v10, v[10:11], off
	v_mov_b32_e32 v17, s15
	global_load_dwordx2 v[15:16], v[8:9], off
	s_waitcnt vmcnt(1)
	v_subrev_u32_e32 v10, s10, v10
	v_mad_u64_u32 v[10:11], s[16:17], v10, 21, v[7:8]
	v_ashrrev_i32_e32 v11, 31, v10
	v_lshlrev_b64 v[10:11], 3, v[10:11]
	v_add_co_u32_e32 v10, vcc, s14, v10
	v_addc_co_u32_e32 v11, vcc, v17, v11, vcc
	global_load_dwordx2 v[10:11], v[10:11], off
	v_add_co_u32_e32 v8, vcc, 0xdc8, v8
	v_addc_co_u32_e32 v9, vcc, 0, v9, vcc
	s_waitcnt vmcnt(0)
	v_fmac_f32_e32 v5, v15, v10
	v_fmac_f32_e32 v6, v16, v10
	v_fma_f32 v5, -v16, v11, v5
	v_fmac_f32_e32 v6, v15, v11
	s_branch .LBB36_7
.LBB36_10:
	s_and_b64 vcc, exec, s[12:13]
	ds_write_b64 v12, v[5:6]
	s_waitcnt lgkmcnt(0)
	s_barrier
	s_cbranch_vccz .LBB36_22
; %bb.11:
	v_cmp_gt_u16_e32 vcc, 5, v13
	s_and_saveexec_b64 s[0:1], vcc
	s_cbranch_execz .LBB36_13
; %bb.12:
	ds_read2_b64 v[7:10], v12 offset1:16
	s_waitcnt lgkmcnt(0)
	v_add_f32_e32 v7, v9, v7
	v_add_f32_e32 v8, v10, v8
	ds_write_b64 v12, v[7:8]
.LBB36_13:
	s_or_b64 exec, exec, s[0:1]
	v_cmp_gt_u16_e32 vcc, 8, v13
	s_waitcnt lgkmcnt(0)
	s_barrier
	s_and_saveexec_b64 s[0:1], vcc
	s_cbranch_execz .LBB36_15
; %bb.14:
	ds_read2_b64 v[7:10], v12 offset1:8
	s_waitcnt lgkmcnt(0)
	v_add_f32_e32 v7, v9, v7
	v_add_f32_e32 v8, v10, v8
	ds_write_b64 v12, v[7:8]
.LBB36_15:
	s_or_b64 exec, exec, s[0:1]
	v_cmp_gt_u16_e32 vcc, 4, v13
	s_waitcnt lgkmcnt(0)
	s_barrier
	;; [unrolled: 13-line block ×3, first 2 shown]
	s_and_saveexec_b64 s[0:1], vcc
	s_cbranch_execz .LBB36_19
; %bb.18:
	ds_read2_b64 v[7:10], v12 offset1:2
	s_waitcnt lgkmcnt(0)
	v_add_f32_e32 v7, v9, v7
	v_add_f32_e32 v8, v10, v8
	ds_write_b64 v12, v[7:8]
.LBB36_19:
	s_or_b64 exec, exec, s[0:1]
	v_cmp_gt_u32_e32 vcc, 21, v0
	v_mov_b32_e32 v8, v6
	v_mov_b32_e32 v7, v5
	s_waitcnt lgkmcnt(0)
	s_barrier
	s_and_saveexec_b64 s[0:1], vcc
	s_cbranch_execz .LBB36_21
; %bb.20:
	s_movk_i32 s2, 0xa0
	v_mad_u32_u24 v7, v0, s2, v12
	ds_read2_b64 v[7:10], v7 offset1:1
	s_waitcnt lgkmcnt(0)
	v_add_f32_e32 v7, v9, v7
	v_add_f32_e32 v8, v10, v8
.LBB36_21:
	s_or_b64 exec, exec, s[0:1]
	s_branch .LBB36_34
.LBB36_22:
                                        ; implicit-def: $vgpr8
                                        ; implicit-def: $vgpr7
	s_cbranch_execz .LBB36_34
; %bb.23:
	s_movk_i32 s0, 0x69
	v_cmp_gt_u32_e32 vcc, s0, v0
	s_and_saveexec_b64 s[0:1], vcc
	s_cbranch_execz .LBB36_25
; %bb.24:
	ds_read_b64 v[7:8], v12 offset:2688
	ds_read_b64 v[9:10], v12
	s_waitcnt lgkmcnt(0)
	v_add_f32_e32 v7, v7, v9
	v_add_f32_e32 v8, v8, v10
	ds_write_b64 v12, v[7:8]
.LBB36_25:
	s_or_b64 exec, exec, s[0:1]
	s_movk_i32 s0, 0xa8
	v_cmp_gt_u32_e32 vcc, s0, v0
	s_waitcnt lgkmcnt(0)
	s_barrier
	s_and_saveexec_b64 s[0:1], vcc
	s_cbranch_execz .LBB36_27
; %bb.26:
	ds_read2_b64 v[7:10], v12 offset1:168
	s_waitcnt lgkmcnt(0)
	v_add_f32_e32 v7, v9, v7
	v_add_f32_e32 v8, v10, v8
	ds_write_b64 v12, v[7:8]
.LBB36_27:
	s_or_b64 exec, exec, s[0:1]
	s_movk_i32 s0, 0x54
	v_cmp_gt_u32_e32 vcc, s0, v0
	s_waitcnt lgkmcnt(0)
	s_barrier
	s_and_saveexec_b64 s[0:1], vcc
	s_cbranch_execz .LBB36_29
; %bb.28:
	ds_read2_b64 v[7:10], v12 offset1:84
	s_waitcnt lgkmcnt(0)
	v_add_f32_e32 v7, v9, v7
	v_add_f32_e32 v8, v10, v8
	ds_write_b64 v12, v[7:8]
.LBB36_29:
	s_or_b64 exec, exec, s[0:1]
	v_cmp_gt_u32_e32 vcc, 42, v0
	s_waitcnt lgkmcnt(0)
	s_barrier
	s_and_saveexec_b64 s[0:1], vcc
	s_cbranch_execz .LBB36_31
; %bb.30:
	ds_read2_b64 v[7:10], v12 offset1:42
	s_waitcnt lgkmcnt(0)
	v_add_f32_e32 v7, v9, v7
	v_add_f32_e32 v8, v10, v8
	ds_write_b64 v12, v[7:8]
.LBB36_31:
	s_or_b64 exec, exec, s[0:1]
	v_cmp_gt_u32_e32 vcc, 21, v0
	s_waitcnt lgkmcnt(0)
	s_and_saveexec_b64 s[0:1], vcc
	s_cbranch_execz .LBB36_33
; %bb.32:
	ds_read2_b64 v[5:8], v12 offset1:21
	s_waitcnt lgkmcnt(0)
	v_add_f32_e32 v5, v7, v5
	v_add_f32_e32 v6, v8, v6
.LBB36_33:
	s_or_b64 exec, exec, s[0:1]
	v_mov_b32_e32 v8, v6
	v_mov_b32_e32 v7, v5
.LBB36_34:
	v_cmp_gt_u32_e32 vcc, 21, v0
	s_and_b64 exec, exec, vcc
	s_cbranch_execz .LBB36_39
; %bb.35:
	v_cmp_eq_f32_e32 vcc, 0, v1
	v_cmp_eq_f32_e64 s[0:1], 0, v2
	v_mul_f32_e64 v5, v8, -v4
	v_mul_f32_e32 v6, v3, v8
	s_and_b64 s[0:1], vcc, s[0:1]
	v_fmac_f32_e32 v5, v3, v7
	v_fmac_f32_e32 v6, v4, v7
	s_and_saveexec_b64 s[2:3], s[0:1]
	s_xor_b64 s[0:1], exec, s[2:3]
	s_cbranch_execz .LBB36_37
; %bb.36:
	v_mad_u64_u32 v[0:1], s[2:3], s6, 21, v[0:1]
	v_mov_b32_e32 v1, 0
	v_mov_b32_e32 v2, s9
	v_lshlrev_b64 v[0:1], 3, v[0:1]
	v_add_co_u32_e32 v0, vcc, s8, v0
	v_addc_co_u32_e32 v1, vcc, v2, v1, vcc
	global_store_dwordx2 v[0:1], v[5:6], off
                                        ; implicit-def: $vgpr0
                                        ; implicit-def: $vgpr1_vgpr2
                                        ; implicit-def: $vgpr5
.LBB36_37:
	s_andn2_saveexec_b64 s[0:1], s[0:1]
	s_cbranch_execz .LBB36_39
; %bb.38:
	v_mad_u64_u32 v[3:4], s[0:1], s6, 21, v[0:1]
	v_mov_b32_e32 v4, 0
	v_mov_b32_e32 v0, s9
	v_lshlrev_b64 v[3:4], 3, v[3:4]
	v_add_co_u32_e32 v3, vcc, s8, v3
	v_addc_co_u32_e32 v4, vcc, v0, v4, vcc
	global_load_dwordx2 v[7:8], v[3:4], off
	s_waitcnt vmcnt(0)
	v_fmac_f32_e32 v5, v1, v7
	v_fmac_f32_e32 v6, v2, v7
	v_fma_f32 v5, -v2, v8, v5
	v_fmac_f32_e32 v6, v1, v8
	global_store_dwordx2 v[3:4], v[5:6], off
.LBB36_39:
	s_endpgm
	.section	.rodata,"a",@progbits
	.p2align	6, 0x0
	.amdhsa_kernel _ZN9rocsparseL20bsrxmvn_17_32_kernelILj21E21rocsparse_complex_numIfEiiS2_S2_S2_EEvT2_20rocsparse_direction_NS_24const_host_device_scalarIT0_EES3_PKS3_PKT1_SC_S9_PKT3_PKT4_S7_PT5_21rocsparse_index_base_b
		.amdhsa_group_segment_fixed_size 3528
		.amdhsa_private_segment_fixed_size 0
		.amdhsa_kernarg_size 96
		.amdhsa_user_sgpr_count 6
		.amdhsa_user_sgpr_private_segment_buffer 1
		.amdhsa_user_sgpr_dispatch_ptr 0
		.amdhsa_user_sgpr_queue_ptr 0
		.amdhsa_user_sgpr_kernarg_segment_ptr 1
		.amdhsa_user_sgpr_dispatch_id 0
		.amdhsa_user_sgpr_flat_scratch_init 0
		.amdhsa_user_sgpr_private_segment_size 0
		.amdhsa_uses_dynamic_stack 0
		.amdhsa_system_sgpr_private_segment_wavefront_offset 0
		.amdhsa_system_sgpr_workgroup_id_x 1
		.amdhsa_system_sgpr_workgroup_id_y 0
		.amdhsa_system_sgpr_workgroup_id_z 0
		.amdhsa_system_sgpr_workgroup_info 0
		.amdhsa_system_vgpr_workitem_id 0
		.amdhsa_next_free_vgpr 25
		.amdhsa_next_free_sgpr 61
		.amdhsa_reserve_vcc 1
		.amdhsa_reserve_flat_scratch 0
		.amdhsa_float_round_mode_32 0
		.amdhsa_float_round_mode_16_64 0
		.amdhsa_float_denorm_mode_32 3
		.amdhsa_float_denorm_mode_16_64 3
		.amdhsa_dx10_clamp 1
		.amdhsa_ieee_mode 1
		.amdhsa_fp16_overflow 0
		.amdhsa_exception_fp_ieee_invalid_op 0
		.amdhsa_exception_fp_denorm_src 0
		.amdhsa_exception_fp_ieee_div_zero 0
		.amdhsa_exception_fp_ieee_overflow 0
		.amdhsa_exception_fp_ieee_underflow 0
		.amdhsa_exception_fp_ieee_inexact 0
		.amdhsa_exception_int_div_zero 0
	.end_amdhsa_kernel
	.section	.text._ZN9rocsparseL20bsrxmvn_17_32_kernelILj21E21rocsparse_complex_numIfEiiS2_S2_S2_EEvT2_20rocsparse_direction_NS_24const_host_device_scalarIT0_EES3_PKS3_PKT1_SC_S9_PKT3_PKT4_S7_PT5_21rocsparse_index_base_b,"axG",@progbits,_ZN9rocsparseL20bsrxmvn_17_32_kernelILj21E21rocsparse_complex_numIfEiiS2_S2_S2_EEvT2_20rocsparse_direction_NS_24const_host_device_scalarIT0_EES3_PKS3_PKT1_SC_S9_PKT3_PKT4_S7_PT5_21rocsparse_index_base_b,comdat
.Lfunc_end36:
	.size	_ZN9rocsparseL20bsrxmvn_17_32_kernelILj21E21rocsparse_complex_numIfEiiS2_S2_S2_EEvT2_20rocsparse_direction_NS_24const_host_device_scalarIT0_EES3_PKS3_PKT1_SC_S9_PKT3_PKT4_S7_PT5_21rocsparse_index_base_b, .Lfunc_end36-_ZN9rocsparseL20bsrxmvn_17_32_kernelILj21E21rocsparse_complex_numIfEiiS2_S2_S2_EEvT2_20rocsparse_direction_NS_24const_host_device_scalarIT0_EES3_PKS3_PKT1_SC_S9_PKT3_PKT4_S7_PT5_21rocsparse_index_base_b
                                        ; -- End function
	.set _ZN9rocsparseL20bsrxmvn_17_32_kernelILj21E21rocsparse_complex_numIfEiiS2_S2_S2_EEvT2_20rocsparse_direction_NS_24const_host_device_scalarIT0_EES3_PKS3_PKT1_SC_S9_PKT3_PKT4_S7_PT5_21rocsparse_index_base_b.num_vgpr, 18
	.set _ZN9rocsparseL20bsrxmvn_17_32_kernelILj21E21rocsparse_complex_numIfEiiS2_S2_S2_EEvT2_20rocsparse_direction_NS_24const_host_device_scalarIT0_EES3_PKS3_PKT1_SC_S9_PKT3_PKT4_S7_PT5_21rocsparse_index_base_b.num_agpr, 0
	.set _ZN9rocsparseL20bsrxmvn_17_32_kernelILj21E21rocsparse_complex_numIfEiiS2_S2_S2_EEvT2_20rocsparse_direction_NS_24const_host_device_scalarIT0_EES3_PKS3_PKT1_SC_S9_PKT3_PKT4_S7_PT5_21rocsparse_index_base_b.numbered_sgpr, 18
	.set _ZN9rocsparseL20bsrxmvn_17_32_kernelILj21E21rocsparse_complex_numIfEiiS2_S2_S2_EEvT2_20rocsparse_direction_NS_24const_host_device_scalarIT0_EES3_PKS3_PKT1_SC_S9_PKT3_PKT4_S7_PT5_21rocsparse_index_base_b.num_named_barrier, 0
	.set _ZN9rocsparseL20bsrxmvn_17_32_kernelILj21E21rocsparse_complex_numIfEiiS2_S2_S2_EEvT2_20rocsparse_direction_NS_24const_host_device_scalarIT0_EES3_PKS3_PKT1_SC_S9_PKT3_PKT4_S7_PT5_21rocsparse_index_base_b.private_seg_size, 0
	.set _ZN9rocsparseL20bsrxmvn_17_32_kernelILj21E21rocsparse_complex_numIfEiiS2_S2_S2_EEvT2_20rocsparse_direction_NS_24const_host_device_scalarIT0_EES3_PKS3_PKT1_SC_S9_PKT3_PKT4_S7_PT5_21rocsparse_index_base_b.uses_vcc, 1
	.set _ZN9rocsparseL20bsrxmvn_17_32_kernelILj21E21rocsparse_complex_numIfEiiS2_S2_S2_EEvT2_20rocsparse_direction_NS_24const_host_device_scalarIT0_EES3_PKS3_PKT1_SC_S9_PKT3_PKT4_S7_PT5_21rocsparse_index_base_b.uses_flat_scratch, 0
	.set _ZN9rocsparseL20bsrxmvn_17_32_kernelILj21E21rocsparse_complex_numIfEiiS2_S2_S2_EEvT2_20rocsparse_direction_NS_24const_host_device_scalarIT0_EES3_PKS3_PKT1_SC_S9_PKT3_PKT4_S7_PT5_21rocsparse_index_base_b.has_dyn_sized_stack, 0
	.set _ZN9rocsparseL20bsrxmvn_17_32_kernelILj21E21rocsparse_complex_numIfEiiS2_S2_S2_EEvT2_20rocsparse_direction_NS_24const_host_device_scalarIT0_EES3_PKS3_PKT1_SC_S9_PKT3_PKT4_S7_PT5_21rocsparse_index_base_b.has_recursion, 0
	.set _ZN9rocsparseL20bsrxmvn_17_32_kernelILj21E21rocsparse_complex_numIfEiiS2_S2_S2_EEvT2_20rocsparse_direction_NS_24const_host_device_scalarIT0_EES3_PKS3_PKT1_SC_S9_PKT3_PKT4_S7_PT5_21rocsparse_index_base_b.has_indirect_call, 0
	.section	.AMDGPU.csdata,"",@progbits
; Kernel info:
; codeLenInByte = 1404
; TotalNumSgprs: 22
; NumVgprs: 18
; ScratchSize: 0
; MemoryBound: 0
; FloatMode: 240
; IeeeMode: 1
; LDSByteSize: 3528 bytes/workgroup (compile time only)
; SGPRBlocks: 8
; VGPRBlocks: 6
; NumSGPRsForWavesPerEU: 65
; NumVGPRsForWavesPerEU: 25
; Occupancy: 9
; WaveLimiterHint : 1
; COMPUTE_PGM_RSRC2:SCRATCH_EN: 0
; COMPUTE_PGM_RSRC2:USER_SGPR: 6
; COMPUTE_PGM_RSRC2:TRAP_HANDLER: 0
; COMPUTE_PGM_RSRC2:TGID_X_EN: 1
; COMPUTE_PGM_RSRC2:TGID_Y_EN: 0
; COMPUTE_PGM_RSRC2:TGID_Z_EN: 0
; COMPUTE_PGM_RSRC2:TIDIG_COMP_CNT: 0
	.section	.text._ZN9rocsparseL20bsrxmvn_17_32_kernelILj22E21rocsparse_complex_numIfEiiS2_S2_S2_EEvT2_20rocsparse_direction_NS_24const_host_device_scalarIT0_EES3_PKS3_PKT1_SC_S9_PKT3_PKT4_S7_PT5_21rocsparse_index_base_b,"axG",@progbits,_ZN9rocsparseL20bsrxmvn_17_32_kernelILj22E21rocsparse_complex_numIfEiiS2_S2_S2_EEvT2_20rocsparse_direction_NS_24const_host_device_scalarIT0_EES3_PKS3_PKT1_SC_S9_PKT3_PKT4_S7_PT5_21rocsparse_index_base_b,comdat
	.globl	_ZN9rocsparseL20bsrxmvn_17_32_kernelILj22E21rocsparse_complex_numIfEiiS2_S2_S2_EEvT2_20rocsparse_direction_NS_24const_host_device_scalarIT0_EES3_PKS3_PKT1_SC_S9_PKT3_PKT4_S7_PT5_21rocsparse_index_base_b ; -- Begin function _ZN9rocsparseL20bsrxmvn_17_32_kernelILj22E21rocsparse_complex_numIfEiiS2_S2_S2_EEvT2_20rocsparse_direction_NS_24const_host_device_scalarIT0_EES3_PKS3_PKT1_SC_S9_PKT3_PKT4_S7_PT5_21rocsparse_index_base_b
	.p2align	8
	.type	_ZN9rocsparseL20bsrxmvn_17_32_kernelILj22E21rocsparse_complex_numIfEiiS2_S2_S2_EEvT2_20rocsparse_direction_NS_24const_host_device_scalarIT0_EES3_PKS3_PKT1_SC_S9_PKT3_PKT4_S7_PT5_21rocsparse_index_base_b,@function
_ZN9rocsparseL20bsrxmvn_17_32_kernelILj22E21rocsparse_complex_numIfEiiS2_S2_S2_EEvT2_20rocsparse_direction_NS_24const_host_device_scalarIT0_EES3_PKS3_PKT1_SC_S9_PKT3_PKT4_S7_PT5_21rocsparse_index_base_b: ; @_ZN9rocsparseL20bsrxmvn_17_32_kernelILj22E21rocsparse_complex_numIfEiiS2_S2_S2_EEvT2_20rocsparse_direction_NS_24const_host_device_scalarIT0_EES3_PKS3_PKT1_SC_S9_PKT3_PKT4_S7_PT5_21rocsparse_index_base_b
; %bb.0:
	s_load_dwordx2 s[0:1], s[4:5], 0x8
	s_load_dwordx2 s[10:11], s[4:5], 0x58
	s_add_u32 s7, s4, 8
	s_addc_u32 s8, s5, 0
	s_add_u32 s9, s4, 0x48
	s_load_dwordx2 s[2:3], s[4:5], 0x48
	s_addc_u32 s12, s5, 0
	s_waitcnt lgkmcnt(0)
	s_bitcmp1_b32 s11, 0
	s_cselect_b32 s1, s8, s1
	s_cselect_b32 s0, s7, s0
	v_mov_b32_e32 v1, s0
	v_mov_b32_e32 v2, s1
	flat_load_dwordx2 v[3:4], v[1:2]
	s_cselect_b32 s0, s12, s3
	s_cselect_b32 s1, s9, s2
	v_mov_b32_e32 v1, s1
	v_mov_b32_e32 v2, s0
	flat_load_dwordx2 v[1:2], v[1:2]
	s_waitcnt vmcnt(0) lgkmcnt(0)
	v_cmp_eq_f32_e32 vcc, 0, v3
	v_cmp_eq_f32_e64 s[0:1], 0, v4
	s_and_b64 s[8:9], vcc, s[0:1]
	s_mov_b64 s[0:1], -1
	s_and_saveexec_b64 s[2:3], s[8:9]
; %bb.1:
	v_cmp_neq_f32_e32 vcc, 1.0, v1
	v_cmp_neq_f32_e64 s[0:1], 0, v2
	s_or_b64 s[0:1], vcc, s[0:1]
	s_orn2_b64 s[0:1], s[0:1], exec
; %bb.2:
	s_or_b64 exec, exec, s[2:3]
	s_and_saveexec_b64 s[2:3], s[0:1]
	s_cbranch_execz .LBB37_39
; %bb.3:
	s_load_dwordx4 s[0:3], s[4:5], 0x18
	s_load_dwordx2 s[14:15], s[4:5], 0x28
	s_waitcnt lgkmcnt(0)
	s_cmp_eq_u64 s[0:1], 0
	s_cbranch_scc1 .LBB37_5
; %bb.4:
	s_ashr_i32 s7, s6, 31
	s_lshl_b64 s[6:7], s[6:7], 2
	s_add_u32 s0, s0, s6
	s_addc_u32 s1, s1, s7
	s_load_dword s0, s[0:1], 0x0
	s_waitcnt lgkmcnt(0)
	s_sub_i32 s6, s0, s10
.LBB37_5:
	s_load_dword s0, s[4:5], 0x4
	s_load_dwordx2 s[8:9], s[4:5], 0x50
	v_mul_u32_u24_e32 v7, 0xba3, v0
	v_mov_b32_e32 v8, 22
	v_mul_lo_u16_sdwa v5, v7, v8 dst_sel:DWORD dst_unused:UNUSED_PAD src0_sel:WORD_1 src1_sel:DWORD
	s_waitcnt lgkmcnt(0)
	s_cmp_eq_u32 s0, 1
	s_cselect_b64 vcc, -1, 0
	s_cmp_lg_u32 s0, 1
	s_cselect_b64 s[12:13], -1, 0
	s_ashr_i32 s7, s6, 31
	s_lshl_b64 s[0:1], s[6:7], 2
	s_add_u32 s2, s2, s0
	s_addc_u32 s3, s3, s1
	s_load_dword s7, s[2:3], 0x0
	s_add_u32 s2, s2, 4
	s_addc_u32 s3, s3, 0
	s_add_u32 s0, s14, s0
	s_addc_u32 s1, s15, s1
	s_cmp_eq_u64 s[14:15], 0
	s_cselect_b32 s1, s3, s1
	s_cselect_b32 s0, s2, s0
	s_load_dword s11, s[0:1], 0x0
	v_sub_u16_e32 v13, v0, v5
	v_mov_b32_e32 v6, 0
	v_lshlrev_b32_e32 v12, 3, v0
	v_mov_b32_e32 v5, 0
	s_waitcnt lgkmcnt(0)
	s_cmp_ge_i32 s7, s11
	s_cbranch_scc1 .LBB37_10
; %bb.6:
	s_load_dwordx4 s[0:3], s[4:5], 0x30
	s_load_dwordx2 s[14:15], s[4:5], 0x40
	v_mov_b32_e32 v5, 12
	v_mul_lo_u16_sdwa v5, v7, v5 dst_sel:DWORD dst_unused:UNUSED_PAD src0_sel:WORD_1 src1_sel:DWORD
	s_sub_i32 s5, s7, s10
	s_sub_i32 s4, s11, s10
	v_mul_lo_u16_sdwa v5, v5, v8 dst_sel:DWORD dst_unused:UNUSED_PAD src0_sel:BYTE_1 src1_sel:DWORD
	s_mul_i32 s11, s5, 0xf20
	v_sub_u16_sdwa v5, v7, v5 dst_sel:DWORD dst_unused:UNUSED_PAD src0_sel:WORD_1 src1_sel:DWORD
	s_mul_hi_i32 s7, s5, 0xf20
	s_waitcnt lgkmcnt(0)
	s_add_u32 s2, s2, s11
	v_and_b32_e32 v5, 0xff, v5
	s_addc_u32 s3, s3, s7
	v_cndmask_b32_e32 v7, v13, v5, vcc
	v_mov_b32_e32 v5, s3
	v_add_co_u32_e32 v8, vcc, s2, v12
	s_movk_i32 s2, 0x10f
	v_mov_b32_e32 v6, 0
	v_addc_co_u32_e32 v9, vcc, 0, v5, vcc
	v_mul_u32_u24_sdwa v5, v0, s2 dst_sel:DWORD dst_unused:UNUSED_PAD src0_sel:WORD_0 src1_sel:DWORD
	v_lshrrev_b32_e32 v14, 17, v5
	v_mov_b32_e32 v5, v6
	s_branch .LBB37_8
.LBB37_7:                               ;   in Loop: Header=BB37_8 Depth=1
	s_or_b64 exec, exec, s[2:3]
	s_add_i32 s5, s5, 1
	s_cmp_lt_i32 s5, s4
	s_cbranch_scc0 .LBB37_10
.LBB37_8:                               ; =>This Inner Loop Header: Depth=1
	v_add_u32_e32 v10, s5, v14
	v_cmp_gt_i32_e32 vcc, s4, v10
	s_and_saveexec_b64 s[2:3], vcc
	s_cbranch_execz .LBB37_7
; %bb.9:                                ;   in Loop: Header=BB37_8 Depth=1
	v_ashrrev_i32_e32 v11, 31, v10
	v_lshlrev_b64 v[10:11], 2, v[10:11]
	v_mov_b32_e32 v15, s1
	v_add_co_u32_e32 v10, vcc, s0, v10
	v_addc_co_u32_e32 v11, vcc, v15, v11, vcc
	global_load_dword v10, v[10:11], off
	v_mov_b32_e32 v17, s15
	global_load_dwordx2 v[15:16], v[8:9], off
	s_waitcnt vmcnt(1)
	v_subrev_u32_e32 v10, s10, v10
	v_mad_u64_u32 v[10:11], s[16:17], v10, 22, v[7:8]
	v_ashrrev_i32_e32 v11, 31, v10
	v_lshlrev_b64 v[10:11], 3, v[10:11]
	v_add_co_u32_e32 v10, vcc, s14, v10
	v_addc_co_u32_e32 v11, vcc, v17, v11, vcc
	global_load_dwordx2 v[10:11], v[10:11], off
	v_add_co_u32_e32 v8, vcc, 0xf20, v8
	v_addc_co_u32_e32 v9, vcc, 0, v9, vcc
	s_waitcnt vmcnt(0)
	v_fmac_f32_e32 v5, v15, v10
	v_fmac_f32_e32 v6, v16, v10
	v_fma_f32 v5, -v16, v11, v5
	v_fmac_f32_e32 v6, v15, v11
	s_branch .LBB37_7
.LBB37_10:
	s_and_b64 vcc, exec, s[12:13]
	ds_write_b64 v12, v[5:6]
	s_waitcnt lgkmcnt(0)
	s_barrier
	s_cbranch_vccz .LBB37_22
; %bb.11:
	v_cmp_gt_u16_e32 vcc, 6, v13
	s_and_saveexec_b64 s[0:1], vcc
	s_cbranch_execz .LBB37_13
; %bb.12:
	ds_read2_b64 v[7:10], v12 offset1:16
	s_waitcnt lgkmcnt(0)
	v_add_f32_e32 v7, v9, v7
	v_add_f32_e32 v8, v10, v8
	ds_write_b64 v12, v[7:8]
.LBB37_13:
	s_or_b64 exec, exec, s[0:1]
	v_cmp_gt_u16_e32 vcc, 8, v13
	s_waitcnt lgkmcnt(0)
	s_barrier
	s_and_saveexec_b64 s[0:1], vcc
	s_cbranch_execz .LBB37_15
; %bb.14:
	ds_read2_b64 v[7:10], v12 offset1:8
	s_waitcnt lgkmcnt(0)
	v_add_f32_e32 v7, v9, v7
	v_add_f32_e32 v8, v10, v8
	ds_write_b64 v12, v[7:8]
.LBB37_15:
	s_or_b64 exec, exec, s[0:1]
	v_cmp_gt_u16_e32 vcc, 4, v13
	s_waitcnt lgkmcnt(0)
	s_barrier
	;; [unrolled: 13-line block ×3, first 2 shown]
	s_and_saveexec_b64 s[0:1], vcc
	s_cbranch_execz .LBB37_19
; %bb.18:
	ds_read2_b64 v[7:10], v12 offset1:2
	s_waitcnt lgkmcnt(0)
	v_add_f32_e32 v7, v9, v7
	v_add_f32_e32 v8, v10, v8
	ds_write_b64 v12, v[7:8]
.LBB37_19:
	s_or_b64 exec, exec, s[0:1]
	v_cmp_gt_u32_e32 vcc, 22, v0
	v_mov_b32_e32 v8, v6
	v_mov_b32_e32 v7, v5
	s_waitcnt lgkmcnt(0)
	s_barrier
	s_and_saveexec_b64 s[0:1], vcc
	s_cbranch_execz .LBB37_21
; %bb.20:
	s_movk_i32 s2, 0xa8
	v_mad_u32_u24 v7, v0, s2, v12
	ds_read2_b64 v[7:10], v7 offset1:1
	s_waitcnt lgkmcnt(0)
	v_add_f32_e32 v7, v9, v7
	v_add_f32_e32 v8, v10, v8
.LBB37_21:
	s_or_b64 exec, exec, s[0:1]
	s_branch .LBB37_34
.LBB37_22:
                                        ; implicit-def: $vgpr8
                                        ; implicit-def: $vgpr7
	s_cbranch_execz .LBB37_34
; %bb.23:
	s_movk_i32 s0, 0x84
	v_cmp_gt_u32_e32 vcc, s0, v0
	s_and_saveexec_b64 s[0:1], vcc
	s_cbranch_execz .LBB37_25
; %bb.24:
	ds_read_b64 v[7:8], v12 offset:2816
	ds_read_b64 v[9:10], v12
	s_waitcnt lgkmcnt(0)
	v_add_f32_e32 v7, v7, v9
	v_add_f32_e32 v8, v8, v10
	ds_write_b64 v12, v[7:8]
.LBB37_25:
	s_or_b64 exec, exec, s[0:1]
	s_movk_i32 s0, 0xb0
	v_cmp_gt_u32_e32 vcc, s0, v0
	s_waitcnt lgkmcnt(0)
	s_barrier
	s_and_saveexec_b64 s[0:1], vcc
	s_cbranch_execz .LBB37_27
; %bb.26:
	ds_read2_b64 v[7:10], v12 offset1:176
	s_waitcnt lgkmcnt(0)
	v_add_f32_e32 v7, v9, v7
	v_add_f32_e32 v8, v10, v8
	ds_write_b64 v12, v[7:8]
.LBB37_27:
	s_or_b64 exec, exec, s[0:1]
	s_movk_i32 s0, 0x58
	v_cmp_gt_u32_e32 vcc, s0, v0
	s_waitcnt lgkmcnt(0)
	s_barrier
	s_and_saveexec_b64 s[0:1], vcc
	s_cbranch_execz .LBB37_29
; %bb.28:
	ds_read2_b64 v[7:10], v12 offset1:88
	s_waitcnt lgkmcnt(0)
	v_add_f32_e32 v7, v9, v7
	v_add_f32_e32 v8, v10, v8
	ds_write_b64 v12, v[7:8]
.LBB37_29:
	s_or_b64 exec, exec, s[0:1]
	v_cmp_gt_u32_e32 vcc, 44, v0
	s_waitcnt lgkmcnt(0)
	s_barrier
	s_and_saveexec_b64 s[0:1], vcc
	s_cbranch_execz .LBB37_31
; %bb.30:
	ds_read2_b64 v[7:10], v12 offset1:44
	s_waitcnt lgkmcnt(0)
	v_add_f32_e32 v7, v9, v7
	v_add_f32_e32 v8, v10, v8
	ds_write_b64 v12, v[7:8]
.LBB37_31:
	s_or_b64 exec, exec, s[0:1]
	v_cmp_gt_u32_e32 vcc, 22, v0
	s_waitcnt lgkmcnt(0)
	s_and_saveexec_b64 s[0:1], vcc
	s_cbranch_execz .LBB37_33
; %bb.32:
	ds_read2_b64 v[5:8], v12 offset1:22
	s_waitcnt lgkmcnt(0)
	v_add_f32_e32 v5, v7, v5
	v_add_f32_e32 v6, v8, v6
.LBB37_33:
	s_or_b64 exec, exec, s[0:1]
	v_mov_b32_e32 v8, v6
	v_mov_b32_e32 v7, v5
.LBB37_34:
	v_cmp_gt_u32_e32 vcc, 22, v0
	s_and_b64 exec, exec, vcc
	s_cbranch_execz .LBB37_39
; %bb.35:
	v_cmp_eq_f32_e32 vcc, 0, v1
	v_cmp_eq_f32_e64 s[0:1], 0, v2
	v_mul_f32_e64 v5, v8, -v4
	v_mul_f32_e32 v6, v3, v8
	s_and_b64 s[0:1], vcc, s[0:1]
	v_fmac_f32_e32 v5, v3, v7
	v_fmac_f32_e32 v6, v4, v7
	s_and_saveexec_b64 s[2:3], s[0:1]
	s_xor_b64 s[0:1], exec, s[2:3]
	s_cbranch_execz .LBB37_37
; %bb.36:
	v_mad_u64_u32 v[0:1], s[2:3], s6, 22, v[0:1]
	v_mov_b32_e32 v1, 0
	v_mov_b32_e32 v2, s9
	v_lshlrev_b64 v[0:1], 3, v[0:1]
	v_add_co_u32_e32 v0, vcc, s8, v0
	v_addc_co_u32_e32 v1, vcc, v2, v1, vcc
	global_store_dwordx2 v[0:1], v[5:6], off
                                        ; implicit-def: $vgpr0
                                        ; implicit-def: $vgpr1_vgpr2
                                        ; implicit-def: $vgpr5
.LBB37_37:
	s_andn2_saveexec_b64 s[0:1], s[0:1]
	s_cbranch_execz .LBB37_39
; %bb.38:
	v_mad_u64_u32 v[3:4], s[0:1], s6, 22, v[0:1]
	v_mov_b32_e32 v4, 0
	v_mov_b32_e32 v0, s9
	v_lshlrev_b64 v[3:4], 3, v[3:4]
	v_add_co_u32_e32 v3, vcc, s8, v3
	v_addc_co_u32_e32 v4, vcc, v0, v4, vcc
	global_load_dwordx2 v[7:8], v[3:4], off
	s_waitcnt vmcnt(0)
	v_fmac_f32_e32 v5, v1, v7
	v_fmac_f32_e32 v6, v2, v7
	v_fma_f32 v5, -v2, v8, v5
	v_fmac_f32_e32 v6, v1, v8
	global_store_dwordx2 v[3:4], v[5:6], off
.LBB37_39:
	s_endpgm
	.section	.rodata,"a",@progbits
	.p2align	6, 0x0
	.amdhsa_kernel _ZN9rocsparseL20bsrxmvn_17_32_kernelILj22E21rocsparse_complex_numIfEiiS2_S2_S2_EEvT2_20rocsparse_direction_NS_24const_host_device_scalarIT0_EES3_PKS3_PKT1_SC_S9_PKT3_PKT4_S7_PT5_21rocsparse_index_base_b
		.amdhsa_group_segment_fixed_size 3872
		.amdhsa_private_segment_fixed_size 0
		.amdhsa_kernarg_size 96
		.amdhsa_user_sgpr_count 6
		.amdhsa_user_sgpr_private_segment_buffer 1
		.amdhsa_user_sgpr_dispatch_ptr 0
		.amdhsa_user_sgpr_queue_ptr 0
		.amdhsa_user_sgpr_kernarg_segment_ptr 1
		.amdhsa_user_sgpr_dispatch_id 0
		.amdhsa_user_sgpr_flat_scratch_init 0
		.amdhsa_user_sgpr_private_segment_size 0
		.amdhsa_uses_dynamic_stack 0
		.amdhsa_system_sgpr_private_segment_wavefront_offset 0
		.amdhsa_system_sgpr_workgroup_id_x 1
		.amdhsa_system_sgpr_workgroup_id_y 0
		.amdhsa_system_sgpr_workgroup_id_z 0
		.amdhsa_system_sgpr_workgroup_info 0
		.amdhsa_system_vgpr_workitem_id 0
		.amdhsa_next_free_vgpr 18
		.amdhsa_next_free_sgpr 18
		.amdhsa_reserve_vcc 1
		.amdhsa_reserve_flat_scratch 0
		.amdhsa_float_round_mode_32 0
		.amdhsa_float_round_mode_16_64 0
		.amdhsa_float_denorm_mode_32 3
		.amdhsa_float_denorm_mode_16_64 3
		.amdhsa_dx10_clamp 1
		.amdhsa_ieee_mode 1
		.amdhsa_fp16_overflow 0
		.amdhsa_exception_fp_ieee_invalid_op 0
		.amdhsa_exception_fp_denorm_src 0
		.amdhsa_exception_fp_ieee_div_zero 0
		.amdhsa_exception_fp_ieee_overflow 0
		.amdhsa_exception_fp_ieee_underflow 0
		.amdhsa_exception_fp_ieee_inexact 0
		.amdhsa_exception_int_div_zero 0
	.end_amdhsa_kernel
	.section	.text._ZN9rocsparseL20bsrxmvn_17_32_kernelILj22E21rocsparse_complex_numIfEiiS2_S2_S2_EEvT2_20rocsparse_direction_NS_24const_host_device_scalarIT0_EES3_PKS3_PKT1_SC_S9_PKT3_PKT4_S7_PT5_21rocsparse_index_base_b,"axG",@progbits,_ZN9rocsparseL20bsrxmvn_17_32_kernelILj22E21rocsparse_complex_numIfEiiS2_S2_S2_EEvT2_20rocsparse_direction_NS_24const_host_device_scalarIT0_EES3_PKS3_PKT1_SC_S9_PKT3_PKT4_S7_PT5_21rocsparse_index_base_b,comdat
.Lfunc_end37:
	.size	_ZN9rocsparseL20bsrxmvn_17_32_kernelILj22E21rocsparse_complex_numIfEiiS2_S2_S2_EEvT2_20rocsparse_direction_NS_24const_host_device_scalarIT0_EES3_PKS3_PKT1_SC_S9_PKT3_PKT4_S7_PT5_21rocsparse_index_base_b, .Lfunc_end37-_ZN9rocsparseL20bsrxmvn_17_32_kernelILj22E21rocsparse_complex_numIfEiiS2_S2_S2_EEvT2_20rocsparse_direction_NS_24const_host_device_scalarIT0_EES3_PKS3_PKT1_SC_S9_PKT3_PKT4_S7_PT5_21rocsparse_index_base_b
                                        ; -- End function
	.set _ZN9rocsparseL20bsrxmvn_17_32_kernelILj22E21rocsparse_complex_numIfEiiS2_S2_S2_EEvT2_20rocsparse_direction_NS_24const_host_device_scalarIT0_EES3_PKS3_PKT1_SC_S9_PKT3_PKT4_S7_PT5_21rocsparse_index_base_b.num_vgpr, 18
	.set _ZN9rocsparseL20bsrxmvn_17_32_kernelILj22E21rocsparse_complex_numIfEiiS2_S2_S2_EEvT2_20rocsparse_direction_NS_24const_host_device_scalarIT0_EES3_PKS3_PKT1_SC_S9_PKT3_PKT4_S7_PT5_21rocsparse_index_base_b.num_agpr, 0
	.set _ZN9rocsparseL20bsrxmvn_17_32_kernelILj22E21rocsparse_complex_numIfEiiS2_S2_S2_EEvT2_20rocsparse_direction_NS_24const_host_device_scalarIT0_EES3_PKS3_PKT1_SC_S9_PKT3_PKT4_S7_PT5_21rocsparse_index_base_b.numbered_sgpr, 18
	.set _ZN9rocsparseL20bsrxmvn_17_32_kernelILj22E21rocsparse_complex_numIfEiiS2_S2_S2_EEvT2_20rocsparse_direction_NS_24const_host_device_scalarIT0_EES3_PKS3_PKT1_SC_S9_PKT3_PKT4_S7_PT5_21rocsparse_index_base_b.num_named_barrier, 0
	.set _ZN9rocsparseL20bsrxmvn_17_32_kernelILj22E21rocsparse_complex_numIfEiiS2_S2_S2_EEvT2_20rocsparse_direction_NS_24const_host_device_scalarIT0_EES3_PKS3_PKT1_SC_S9_PKT3_PKT4_S7_PT5_21rocsparse_index_base_b.private_seg_size, 0
	.set _ZN9rocsparseL20bsrxmvn_17_32_kernelILj22E21rocsparse_complex_numIfEiiS2_S2_S2_EEvT2_20rocsparse_direction_NS_24const_host_device_scalarIT0_EES3_PKS3_PKT1_SC_S9_PKT3_PKT4_S7_PT5_21rocsparse_index_base_b.uses_vcc, 1
	.set _ZN9rocsparseL20bsrxmvn_17_32_kernelILj22E21rocsparse_complex_numIfEiiS2_S2_S2_EEvT2_20rocsparse_direction_NS_24const_host_device_scalarIT0_EES3_PKS3_PKT1_SC_S9_PKT3_PKT4_S7_PT5_21rocsparse_index_base_b.uses_flat_scratch, 0
	.set _ZN9rocsparseL20bsrxmvn_17_32_kernelILj22E21rocsparse_complex_numIfEiiS2_S2_S2_EEvT2_20rocsparse_direction_NS_24const_host_device_scalarIT0_EES3_PKS3_PKT1_SC_S9_PKT3_PKT4_S7_PT5_21rocsparse_index_base_b.has_dyn_sized_stack, 0
	.set _ZN9rocsparseL20bsrxmvn_17_32_kernelILj22E21rocsparse_complex_numIfEiiS2_S2_S2_EEvT2_20rocsparse_direction_NS_24const_host_device_scalarIT0_EES3_PKS3_PKT1_SC_S9_PKT3_PKT4_S7_PT5_21rocsparse_index_base_b.has_recursion, 0
	.set _ZN9rocsparseL20bsrxmvn_17_32_kernelILj22E21rocsparse_complex_numIfEiiS2_S2_S2_EEvT2_20rocsparse_direction_NS_24const_host_device_scalarIT0_EES3_PKS3_PKT1_SC_S9_PKT3_PKT4_S7_PT5_21rocsparse_index_base_b.has_indirect_call, 0
	.section	.AMDGPU.csdata,"",@progbits
; Kernel info:
; codeLenInByte = 1404
; TotalNumSgprs: 22
; NumVgprs: 18
; ScratchSize: 0
; MemoryBound: 0
; FloatMode: 240
; IeeeMode: 1
; LDSByteSize: 3872 bytes/workgroup (compile time only)
; SGPRBlocks: 2
; VGPRBlocks: 4
; NumSGPRsForWavesPerEU: 22
; NumVGPRsForWavesPerEU: 18
; Occupancy: 10
; WaveLimiterHint : 1
; COMPUTE_PGM_RSRC2:SCRATCH_EN: 0
; COMPUTE_PGM_RSRC2:USER_SGPR: 6
; COMPUTE_PGM_RSRC2:TRAP_HANDLER: 0
; COMPUTE_PGM_RSRC2:TGID_X_EN: 1
; COMPUTE_PGM_RSRC2:TGID_Y_EN: 0
; COMPUTE_PGM_RSRC2:TGID_Z_EN: 0
; COMPUTE_PGM_RSRC2:TIDIG_COMP_CNT: 0
	.section	.text._ZN9rocsparseL20bsrxmvn_17_32_kernelILj23E21rocsparse_complex_numIfEiiS2_S2_S2_EEvT2_20rocsparse_direction_NS_24const_host_device_scalarIT0_EES3_PKS3_PKT1_SC_S9_PKT3_PKT4_S7_PT5_21rocsparse_index_base_b,"axG",@progbits,_ZN9rocsparseL20bsrxmvn_17_32_kernelILj23E21rocsparse_complex_numIfEiiS2_S2_S2_EEvT2_20rocsparse_direction_NS_24const_host_device_scalarIT0_EES3_PKS3_PKT1_SC_S9_PKT3_PKT4_S7_PT5_21rocsparse_index_base_b,comdat
	.globl	_ZN9rocsparseL20bsrxmvn_17_32_kernelILj23E21rocsparse_complex_numIfEiiS2_S2_S2_EEvT2_20rocsparse_direction_NS_24const_host_device_scalarIT0_EES3_PKS3_PKT1_SC_S9_PKT3_PKT4_S7_PT5_21rocsparse_index_base_b ; -- Begin function _ZN9rocsparseL20bsrxmvn_17_32_kernelILj23E21rocsparse_complex_numIfEiiS2_S2_S2_EEvT2_20rocsparse_direction_NS_24const_host_device_scalarIT0_EES3_PKS3_PKT1_SC_S9_PKT3_PKT4_S7_PT5_21rocsparse_index_base_b
	.p2align	8
	.type	_ZN9rocsparseL20bsrxmvn_17_32_kernelILj23E21rocsparse_complex_numIfEiiS2_S2_S2_EEvT2_20rocsparse_direction_NS_24const_host_device_scalarIT0_EES3_PKS3_PKT1_SC_S9_PKT3_PKT4_S7_PT5_21rocsparse_index_base_b,@function
_ZN9rocsparseL20bsrxmvn_17_32_kernelILj23E21rocsparse_complex_numIfEiiS2_S2_S2_EEvT2_20rocsparse_direction_NS_24const_host_device_scalarIT0_EES3_PKS3_PKT1_SC_S9_PKT3_PKT4_S7_PT5_21rocsparse_index_base_b: ; @_ZN9rocsparseL20bsrxmvn_17_32_kernelILj23E21rocsparse_complex_numIfEiiS2_S2_S2_EEvT2_20rocsparse_direction_NS_24const_host_device_scalarIT0_EES3_PKS3_PKT1_SC_S9_PKT3_PKT4_S7_PT5_21rocsparse_index_base_b
; %bb.0:
	s_load_dwordx2 s[0:1], s[4:5], 0x8
	s_load_dwordx2 s[14:15], s[4:5], 0x58
	s_add_u32 s7, s4, 8
	s_addc_u32 s8, s5, 0
	s_add_u32 s9, s4, 0x48
	s_load_dwordx2 s[2:3], s[4:5], 0x48
	s_addc_u32 s10, s5, 0
	s_waitcnt lgkmcnt(0)
	s_bitcmp1_b32 s15, 0
	s_cselect_b32 s1, s8, s1
	s_cselect_b32 s0, s7, s0
	v_mov_b32_e32 v1, s0
	v_mov_b32_e32 v2, s1
	flat_load_dwordx2 v[3:4], v[1:2]
	s_cselect_b32 s0, s10, s3
	s_cselect_b32 s1, s9, s2
	v_mov_b32_e32 v1, s1
	v_mov_b32_e32 v2, s0
	flat_load_dwordx2 v[1:2], v[1:2]
	s_waitcnt vmcnt(0) lgkmcnt(0)
	v_cmp_eq_f32_e32 vcc, 0, v3
	v_cmp_eq_f32_e64 s[0:1], 0, v4
	s_and_b64 s[8:9], vcc, s[0:1]
	s_mov_b64 s[0:1], -1
	s_and_saveexec_b64 s[2:3], s[8:9]
; %bb.1:
	v_cmp_neq_f32_e32 vcc, 1.0, v1
	v_cmp_neq_f32_e64 s[0:1], 0, v2
	s_or_b64 s[0:1], vcc, s[0:1]
	s_orn2_b64 s[0:1], s[0:1], exec
; %bb.2:
	s_or_b64 exec, exec, s[2:3]
	s_and_saveexec_b64 s[2:3], s[0:1]
	s_cbranch_execz .LBB38_39
; %bb.3:
	s_load_dwordx4 s[0:3], s[4:5], 0x18
	s_load_dwordx2 s[8:9], s[4:5], 0x28
	s_waitcnt lgkmcnt(0)
	s_cmp_eq_u64 s[0:1], 0
	s_cbranch_scc1 .LBB38_5
; %bb.4:
	s_ashr_i32 s7, s6, 31
	s_lshl_b64 s[6:7], s[6:7], 2
	s_add_u32 s0, s0, s6
	s_addc_u32 s1, s1, s7
	s_load_dword s0, s[0:1], 0x0
	s_waitcnt lgkmcnt(0)
	s_sub_i32 s6, s0, s14
.LBB38_5:
	s_load_dword s0, s[4:5], 0x4
	s_load_dwordx2 s[12:13], s[4:5], 0x50
	v_mul_u32_u24_e32 v7, 0xb22, v0
	v_mov_b32_e32 v5, 23
	v_mul_lo_u16_sdwa v5, v7, v5 dst_sel:DWORD dst_unused:UNUSED_PAD src0_sel:WORD_1 src1_sel:DWORD
	s_waitcnt lgkmcnt(0)
	s_cmp_eq_u32 s0, 1
	s_cselect_b64 vcc, -1, 0
	s_cmp_lg_u32 s0, 1
	s_cselect_b64 s[16:17], -1, 0
	s_ashr_i32 s7, s6, 31
	s_lshl_b64 s[0:1], s[6:7], 2
	s_add_u32 s2, s2, s0
	s_addc_u32 s3, s3, s1
	s_load_dword s7, s[2:3], 0x0
	s_add_u32 s2, s2, 4
	s_addc_u32 s3, s3, 0
	s_add_u32 s0, s8, s0
	s_addc_u32 s1, s9, s1
	s_cmp_eq_u64 s[8:9], 0
	s_cselect_b32 s1, s3, s1
	s_cselect_b32 s0, s2, s0
	s_load_dword s0, s[0:1], 0x0
	v_sub_u16_e32 v13, v0, v5
	v_mov_b32_e32 v6, 0
	v_lshlrev_b32_e32 v12, 3, v0
	v_mov_b32_e32 v5, 0
	s_waitcnt lgkmcnt(0)
	s_cmp_ge_i32 s7, s0
	s_cbranch_scc1 .LBB38_10
; %bb.6:
	s_load_dwordx4 s[8:11], s[4:5], 0x30
	s_load_dwordx2 s[2:3], s[4:5], 0x40
	s_sub_i32 s4, s0, s14
	s_mov_b32 s0, 0xffff
	s_movk_i32 s1, 0x211
	v_and_b32_sdwa v5, s0, v7 dst_sel:DWORD dst_unused:UNUSED_PAD src0_sel:DWORD src1_sel:WORD_1
	v_subrev_u32_e32 v6, 23, v5
	v_cmp_gt_u32_e64 s[0:1], s1, v0
	s_sub_i32 s5, s7, s14
	v_cndmask_b32_e64 v5, v6, v5, s[0:1]
	s_mul_i32 s1, s5, 0x1088
	s_mul_hi_i32 s0, s5, 0x1088
	s_waitcnt lgkmcnt(0)
	s_add_u32 s1, s10, s1
	s_addc_u32 s0, s11, s0
	v_cndmask_b32_e32 v7, v13, v5, vcc
	v_mov_b32_e32 v5, s0
	v_add_co_u32_e32 v8, vcc, s1, v12
	v_addc_co_u32_e32 v9, vcc, 0, v5, vcc
	s_movk_i32 s0, 0x210
	v_mov_b32_e32 v6, 0
	v_cmp_lt_u32_e32 vcc, s0, v0
	v_cndmask_b32_e64 v14, 0, 1, vcc
	v_mov_b32_e32 v5, v6
	s_branch .LBB38_8
.LBB38_7:                               ;   in Loop: Header=BB38_8 Depth=1
	s_or_b64 exec, exec, s[0:1]
	s_add_i32 s5, s5, 1
	s_cmp_lt_i32 s5, s4
	s_cbranch_scc0 .LBB38_10
.LBB38_8:                               ; =>This Inner Loop Header: Depth=1
	v_add_u32_e32 v10, s5, v14
	v_cmp_gt_i32_e32 vcc, s4, v10
	s_and_saveexec_b64 s[0:1], vcc
	s_cbranch_execz .LBB38_7
; %bb.9:                                ;   in Loop: Header=BB38_8 Depth=1
	v_ashrrev_i32_e32 v11, 31, v10
	v_lshlrev_b64 v[10:11], 2, v[10:11]
	v_mov_b32_e32 v15, s9
	v_add_co_u32_e32 v10, vcc, s8, v10
	v_addc_co_u32_e32 v11, vcc, v15, v11, vcc
	global_load_dword v10, v[10:11], off
	v_mov_b32_e32 v17, s3
	global_load_dwordx2 v[15:16], v[8:9], off
	s_waitcnt vmcnt(1)
	v_subrev_u32_e32 v10, s14, v10
	v_mad_u64_u32 v[10:11], s[10:11], v10, 23, v[7:8]
	v_ashrrev_i32_e32 v11, 31, v10
	v_lshlrev_b64 v[10:11], 3, v[10:11]
	v_add_co_u32_e32 v10, vcc, s2, v10
	v_addc_co_u32_e32 v11, vcc, v17, v11, vcc
	global_load_dwordx2 v[10:11], v[10:11], off
	v_add_co_u32_e32 v8, vcc, 0x1088, v8
	v_addc_co_u32_e32 v9, vcc, 0, v9, vcc
	s_waitcnt vmcnt(0)
	v_fmac_f32_e32 v5, v15, v10
	v_fmac_f32_e32 v6, v16, v10
	v_fma_f32 v5, -v16, v11, v5
	v_fmac_f32_e32 v6, v15, v11
	s_branch .LBB38_7
.LBB38_10:
	s_and_b64 vcc, exec, s[16:17]
	ds_write_b64 v12, v[5:6]
	s_waitcnt lgkmcnt(0)
	s_barrier
	s_cbranch_vccz .LBB38_22
; %bb.11:
	v_cmp_gt_u16_e32 vcc, 7, v13
	s_and_saveexec_b64 s[0:1], vcc
	s_cbranch_execz .LBB38_13
; %bb.12:
	ds_read2_b64 v[7:10], v12 offset1:16
	s_waitcnt lgkmcnt(0)
	v_add_f32_e32 v7, v9, v7
	v_add_f32_e32 v8, v10, v8
	ds_write_b64 v12, v[7:8]
.LBB38_13:
	s_or_b64 exec, exec, s[0:1]
	v_cmp_gt_u16_e32 vcc, 8, v13
	s_waitcnt lgkmcnt(0)
	s_barrier
	s_and_saveexec_b64 s[0:1], vcc
	s_cbranch_execz .LBB38_15
; %bb.14:
	ds_read2_b64 v[7:10], v12 offset1:8
	s_waitcnt lgkmcnt(0)
	v_add_f32_e32 v7, v9, v7
	v_add_f32_e32 v8, v10, v8
	ds_write_b64 v12, v[7:8]
.LBB38_15:
	s_or_b64 exec, exec, s[0:1]
	v_cmp_gt_u16_e32 vcc, 4, v13
	s_waitcnt lgkmcnt(0)
	s_barrier
	;; [unrolled: 13-line block ×3, first 2 shown]
	s_and_saveexec_b64 s[0:1], vcc
	s_cbranch_execz .LBB38_19
; %bb.18:
	ds_read2_b64 v[7:10], v12 offset1:2
	s_waitcnt lgkmcnt(0)
	v_add_f32_e32 v7, v9, v7
	v_add_f32_e32 v8, v10, v8
	ds_write_b64 v12, v[7:8]
.LBB38_19:
	s_or_b64 exec, exec, s[0:1]
	v_cmp_gt_u32_e32 vcc, 23, v0
	v_mov_b32_e32 v8, v6
	v_mov_b32_e32 v7, v5
	s_waitcnt lgkmcnt(0)
	s_barrier
	s_and_saveexec_b64 s[0:1], vcc
	s_cbranch_execz .LBB38_21
; %bb.20:
	s_movk_i32 s2, 0xb0
	v_mad_u32_u24 v7, v0, s2, v12
	ds_read2_b64 v[7:10], v7 offset1:1
	s_waitcnt lgkmcnt(0)
	v_add_f32_e32 v7, v9, v7
	v_add_f32_e32 v8, v10, v8
.LBB38_21:
	s_or_b64 exec, exec, s[0:1]
	s_branch .LBB38_34
.LBB38_22:
                                        ; implicit-def: $vgpr8
                                        ; implicit-def: $vgpr7
	s_cbranch_execz .LBB38_34
; %bb.23:
	s_movk_i32 s0, 0xa1
	v_cmp_gt_u32_e32 vcc, s0, v0
	s_and_saveexec_b64 s[0:1], vcc
	s_cbranch_execz .LBB38_25
; %bb.24:
	ds_read_b64 v[7:8], v12 offset:2944
	ds_read_b64 v[9:10], v12
	s_waitcnt lgkmcnt(0)
	v_add_f32_e32 v7, v7, v9
	v_add_f32_e32 v8, v8, v10
	ds_write_b64 v12, v[7:8]
.LBB38_25:
	s_or_b64 exec, exec, s[0:1]
	s_movk_i32 s0, 0xb8
	v_cmp_gt_u32_e32 vcc, s0, v0
	s_waitcnt lgkmcnt(0)
	s_barrier
	s_and_saveexec_b64 s[0:1], vcc
	s_cbranch_execz .LBB38_27
; %bb.26:
	ds_read2_b64 v[7:10], v12 offset1:184
	s_waitcnt lgkmcnt(0)
	v_add_f32_e32 v7, v9, v7
	v_add_f32_e32 v8, v10, v8
	ds_write_b64 v12, v[7:8]
.LBB38_27:
	s_or_b64 exec, exec, s[0:1]
	s_movk_i32 s0, 0x5c
	v_cmp_gt_u32_e32 vcc, s0, v0
	s_waitcnt lgkmcnt(0)
	s_barrier
	s_and_saveexec_b64 s[0:1], vcc
	s_cbranch_execz .LBB38_29
; %bb.28:
	ds_read2_b64 v[7:10], v12 offset1:92
	s_waitcnt lgkmcnt(0)
	v_add_f32_e32 v7, v9, v7
	v_add_f32_e32 v8, v10, v8
	ds_write_b64 v12, v[7:8]
.LBB38_29:
	s_or_b64 exec, exec, s[0:1]
	v_cmp_gt_u32_e32 vcc, 46, v0
	s_waitcnt lgkmcnt(0)
	s_barrier
	s_and_saveexec_b64 s[0:1], vcc
	s_cbranch_execz .LBB38_31
; %bb.30:
	ds_read2_b64 v[7:10], v12 offset1:46
	s_waitcnt lgkmcnt(0)
	v_add_f32_e32 v7, v9, v7
	v_add_f32_e32 v8, v10, v8
	ds_write_b64 v12, v[7:8]
.LBB38_31:
	s_or_b64 exec, exec, s[0:1]
	v_cmp_gt_u32_e32 vcc, 23, v0
	s_waitcnt lgkmcnt(0)
	s_and_saveexec_b64 s[0:1], vcc
	s_cbranch_execz .LBB38_33
; %bb.32:
	ds_read2_b64 v[5:8], v12 offset1:23
	s_waitcnt lgkmcnt(0)
	v_add_f32_e32 v5, v7, v5
	v_add_f32_e32 v6, v8, v6
.LBB38_33:
	s_or_b64 exec, exec, s[0:1]
	v_mov_b32_e32 v8, v6
	v_mov_b32_e32 v7, v5
.LBB38_34:
	v_cmp_gt_u32_e32 vcc, 23, v0
	s_and_b64 exec, exec, vcc
	s_cbranch_execz .LBB38_39
; %bb.35:
	v_cmp_eq_f32_e32 vcc, 0, v1
	v_cmp_eq_f32_e64 s[0:1], 0, v2
	v_mul_f32_e64 v5, v8, -v4
	v_mul_f32_e32 v6, v3, v8
	s_and_b64 s[0:1], vcc, s[0:1]
	v_fmac_f32_e32 v5, v3, v7
	v_fmac_f32_e32 v6, v4, v7
	s_and_saveexec_b64 s[2:3], s[0:1]
	s_xor_b64 s[0:1], exec, s[2:3]
	s_cbranch_execz .LBB38_37
; %bb.36:
	v_mad_u64_u32 v[0:1], s[2:3], s6, 23, v[0:1]
	v_mov_b32_e32 v1, 0
	v_mov_b32_e32 v2, s13
	v_lshlrev_b64 v[0:1], 3, v[0:1]
	v_add_co_u32_e32 v0, vcc, s12, v0
	v_addc_co_u32_e32 v1, vcc, v2, v1, vcc
	global_store_dwordx2 v[0:1], v[5:6], off
                                        ; implicit-def: $vgpr0
                                        ; implicit-def: $vgpr1_vgpr2
                                        ; implicit-def: $vgpr5
.LBB38_37:
	s_andn2_saveexec_b64 s[0:1], s[0:1]
	s_cbranch_execz .LBB38_39
; %bb.38:
	v_mad_u64_u32 v[3:4], s[0:1], s6, 23, v[0:1]
	v_mov_b32_e32 v4, 0
	v_mov_b32_e32 v0, s13
	v_lshlrev_b64 v[3:4], 3, v[3:4]
	v_add_co_u32_e32 v3, vcc, s12, v3
	v_addc_co_u32_e32 v4, vcc, v0, v4, vcc
	global_load_dwordx2 v[7:8], v[3:4], off
	s_waitcnt vmcnt(0)
	v_fmac_f32_e32 v5, v1, v7
	v_fmac_f32_e32 v6, v2, v7
	v_fma_f32 v5, -v2, v8, v5
	v_fmac_f32_e32 v6, v1, v8
	global_store_dwordx2 v[3:4], v[5:6], off
.LBB38_39:
	s_endpgm
	.section	.rodata,"a",@progbits
	.p2align	6, 0x0
	.amdhsa_kernel _ZN9rocsparseL20bsrxmvn_17_32_kernelILj23E21rocsparse_complex_numIfEiiS2_S2_S2_EEvT2_20rocsparse_direction_NS_24const_host_device_scalarIT0_EES3_PKS3_PKT1_SC_S9_PKT3_PKT4_S7_PT5_21rocsparse_index_base_b
		.amdhsa_group_segment_fixed_size 4232
		.amdhsa_private_segment_fixed_size 0
		.amdhsa_kernarg_size 96
		.amdhsa_user_sgpr_count 6
		.amdhsa_user_sgpr_private_segment_buffer 1
		.amdhsa_user_sgpr_dispatch_ptr 0
		.amdhsa_user_sgpr_queue_ptr 0
		.amdhsa_user_sgpr_kernarg_segment_ptr 1
		.amdhsa_user_sgpr_dispatch_id 0
		.amdhsa_user_sgpr_flat_scratch_init 0
		.amdhsa_user_sgpr_private_segment_size 0
		.amdhsa_uses_dynamic_stack 0
		.amdhsa_system_sgpr_private_segment_wavefront_offset 0
		.amdhsa_system_sgpr_workgroup_id_x 1
		.amdhsa_system_sgpr_workgroup_id_y 0
		.amdhsa_system_sgpr_workgroup_id_z 0
		.amdhsa_system_sgpr_workgroup_info 0
		.amdhsa_system_vgpr_workitem_id 0
		.amdhsa_next_free_vgpr 25
		.amdhsa_next_free_sgpr 61
		.amdhsa_reserve_vcc 1
		.amdhsa_reserve_flat_scratch 0
		.amdhsa_float_round_mode_32 0
		.amdhsa_float_round_mode_16_64 0
		.amdhsa_float_denorm_mode_32 3
		.amdhsa_float_denorm_mode_16_64 3
		.amdhsa_dx10_clamp 1
		.amdhsa_ieee_mode 1
		.amdhsa_fp16_overflow 0
		.amdhsa_exception_fp_ieee_invalid_op 0
		.amdhsa_exception_fp_denorm_src 0
		.amdhsa_exception_fp_ieee_div_zero 0
		.amdhsa_exception_fp_ieee_overflow 0
		.amdhsa_exception_fp_ieee_underflow 0
		.amdhsa_exception_fp_ieee_inexact 0
		.amdhsa_exception_int_div_zero 0
	.end_amdhsa_kernel
	.section	.text._ZN9rocsparseL20bsrxmvn_17_32_kernelILj23E21rocsparse_complex_numIfEiiS2_S2_S2_EEvT2_20rocsparse_direction_NS_24const_host_device_scalarIT0_EES3_PKS3_PKT1_SC_S9_PKT3_PKT4_S7_PT5_21rocsparse_index_base_b,"axG",@progbits,_ZN9rocsparseL20bsrxmvn_17_32_kernelILj23E21rocsparse_complex_numIfEiiS2_S2_S2_EEvT2_20rocsparse_direction_NS_24const_host_device_scalarIT0_EES3_PKS3_PKT1_SC_S9_PKT3_PKT4_S7_PT5_21rocsparse_index_base_b,comdat
.Lfunc_end38:
	.size	_ZN9rocsparseL20bsrxmvn_17_32_kernelILj23E21rocsparse_complex_numIfEiiS2_S2_S2_EEvT2_20rocsparse_direction_NS_24const_host_device_scalarIT0_EES3_PKS3_PKT1_SC_S9_PKT3_PKT4_S7_PT5_21rocsparse_index_base_b, .Lfunc_end38-_ZN9rocsparseL20bsrxmvn_17_32_kernelILj23E21rocsparse_complex_numIfEiiS2_S2_S2_EEvT2_20rocsparse_direction_NS_24const_host_device_scalarIT0_EES3_PKS3_PKT1_SC_S9_PKT3_PKT4_S7_PT5_21rocsparse_index_base_b
                                        ; -- End function
	.set _ZN9rocsparseL20bsrxmvn_17_32_kernelILj23E21rocsparse_complex_numIfEiiS2_S2_S2_EEvT2_20rocsparse_direction_NS_24const_host_device_scalarIT0_EES3_PKS3_PKT1_SC_S9_PKT3_PKT4_S7_PT5_21rocsparse_index_base_b.num_vgpr, 18
	.set _ZN9rocsparseL20bsrxmvn_17_32_kernelILj23E21rocsparse_complex_numIfEiiS2_S2_S2_EEvT2_20rocsparse_direction_NS_24const_host_device_scalarIT0_EES3_PKS3_PKT1_SC_S9_PKT3_PKT4_S7_PT5_21rocsparse_index_base_b.num_agpr, 0
	.set _ZN9rocsparseL20bsrxmvn_17_32_kernelILj23E21rocsparse_complex_numIfEiiS2_S2_S2_EEvT2_20rocsparse_direction_NS_24const_host_device_scalarIT0_EES3_PKS3_PKT1_SC_S9_PKT3_PKT4_S7_PT5_21rocsparse_index_base_b.numbered_sgpr, 18
	.set _ZN9rocsparseL20bsrxmvn_17_32_kernelILj23E21rocsparse_complex_numIfEiiS2_S2_S2_EEvT2_20rocsparse_direction_NS_24const_host_device_scalarIT0_EES3_PKS3_PKT1_SC_S9_PKT3_PKT4_S7_PT5_21rocsparse_index_base_b.num_named_barrier, 0
	.set _ZN9rocsparseL20bsrxmvn_17_32_kernelILj23E21rocsparse_complex_numIfEiiS2_S2_S2_EEvT2_20rocsparse_direction_NS_24const_host_device_scalarIT0_EES3_PKS3_PKT1_SC_S9_PKT3_PKT4_S7_PT5_21rocsparse_index_base_b.private_seg_size, 0
	.set _ZN9rocsparseL20bsrxmvn_17_32_kernelILj23E21rocsparse_complex_numIfEiiS2_S2_S2_EEvT2_20rocsparse_direction_NS_24const_host_device_scalarIT0_EES3_PKS3_PKT1_SC_S9_PKT3_PKT4_S7_PT5_21rocsparse_index_base_b.uses_vcc, 1
	.set _ZN9rocsparseL20bsrxmvn_17_32_kernelILj23E21rocsparse_complex_numIfEiiS2_S2_S2_EEvT2_20rocsparse_direction_NS_24const_host_device_scalarIT0_EES3_PKS3_PKT1_SC_S9_PKT3_PKT4_S7_PT5_21rocsparse_index_base_b.uses_flat_scratch, 0
	.set _ZN9rocsparseL20bsrxmvn_17_32_kernelILj23E21rocsparse_complex_numIfEiiS2_S2_S2_EEvT2_20rocsparse_direction_NS_24const_host_device_scalarIT0_EES3_PKS3_PKT1_SC_S9_PKT3_PKT4_S7_PT5_21rocsparse_index_base_b.has_dyn_sized_stack, 0
	.set _ZN9rocsparseL20bsrxmvn_17_32_kernelILj23E21rocsparse_complex_numIfEiiS2_S2_S2_EEvT2_20rocsparse_direction_NS_24const_host_device_scalarIT0_EES3_PKS3_PKT1_SC_S9_PKT3_PKT4_S7_PT5_21rocsparse_index_base_b.has_recursion, 0
	.set _ZN9rocsparseL20bsrxmvn_17_32_kernelILj23E21rocsparse_complex_numIfEiiS2_S2_S2_EEvT2_20rocsparse_direction_NS_24const_host_device_scalarIT0_EES3_PKS3_PKT1_SC_S9_PKT3_PKT4_S7_PT5_21rocsparse_index_base_b.has_indirect_call, 0
	.section	.AMDGPU.csdata,"",@progbits
; Kernel info:
; codeLenInByte = 1408
; TotalNumSgprs: 22
; NumVgprs: 18
; ScratchSize: 0
; MemoryBound: 0
; FloatMode: 240
; IeeeMode: 1
; LDSByteSize: 4232 bytes/workgroup (compile time only)
; SGPRBlocks: 8
; VGPRBlocks: 6
; NumSGPRsForWavesPerEU: 65
; NumVGPRsForWavesPerEU: 25
; Occupancy: 9
; WaveLimiterHint : 1
; COMPUTE_PGM_RSRC2:SCRATCH_EN: 0
; COMPUTE_PGM_RSRC2:USER_SGPR: 6
; COMPUTE_PGM_RSRC2:TRAP_HANDLER: 0
; COMPUTE_PGM_RSRC2:TGID_X_EN: 1
; COMPUTE_PGM_RSRC2:TGID_Y_EN: 0
; COMPUTE_PGM_RSRC2:TGID_Z_EN: 0
; COMPUTE_PGM_RSRC2:TIDIG_COMP_CNT: 0
	.section	.text._ZN9rocsparseL20bsrxmvn_17_32_kernelILj24E21rocsparse_complex_numIfEiiS2_S2_S2_EEvT2_20rocsparse_direction_NS_24const_host_device_scalarIT0_EES3_PKS3_PKT1_SC_S9_PKT3_PKT4_S7_PT5_21rocsparse_index_base_b,"axG",@progbits,_ZN9rocsparseL20bsrxmvn_17_32_kernelILj24E21rocsparse_complex_numIfEiiS2_S2_S2_EEvT2_20rocsparse_direction_NS_24const_host_device_scalarIT0_EES3_PKS3_PKT1_SC_S9_PKT3_PKT4_S7_PT5_21rocsparse_index_base_b,comdat
	.globl	_ZN9rocsparseL20bsrxmvn_17_32_kernelILj24E21rocsparse_complex_numIfEiiS2_S2_S2_EEvT2_20rocsparse_direction_NS_24const_host_device_scalarIT0_EES3_PKS3_PKT1_SC_S9_PKT3_PKT4_S7_PT5_21rocsparse_index_base_b ; -- Begin function _ZN9rocsparseL20bsrxmvn_17_32_kernelILj24E21rocsparse_complex_numIfEiiS2_S2_S2_EEvT2_20rocsparse_direction_NS_24const_host_device_scalarIT0_EES3_PKS3_PKT1_SC_S9_PKT3_PKT4_S7_PT5_21rocsparse_index_base_b
	.p2align	8
	.type	_ZN9rocsparseL20bsrxmvn_17_32_kernelILj24E21rocsparse_complex_numIfEiiS2_S2_S2_EEvT2_20rocsparse_direction_NS_24const_host_device_scalarIT0_EES3_PKS3_PKT1_SC_S9_PKT3_PKT4_S7_PT5_21rocsparse_index_base_b,@function
_ZN9rocsparseL20bsrxmvn_17_32_kernelILj24E21rocsparse_complex_numIfEiiS2_S2_S2_EEvT2_20rocsparse_direction_NS_24const_host_device_scalarIT0_EES3_PKS3_PKT1_SC_S9_PKT3_PKT4_S7_PT5_21rocsparse_index_base_b: ; @_ZN9rocsparseL20bsrxmvn_17_32_kernelILj24E21rocsparse_complex_numIfEiiS2_S2_S2_EEvT2_20rocsparse_direction_NS_24const_host_device_scalarIT0_EES3_PKS3_PKT1_SC_S9_PKT3_PKT4_S7_PT5_21rocsparse_index_base_b
; %bb.0:
	s_load_dwordx2 s[0:1], s[4:5], 0x8
	s_load_dwordx2 s[14:15], s[4:5], 0x58
	s_add_u32 s7, s4, 8
	s_addc_u32 s8, s5, 0
	s_add_u32 s9, s4, 0x48
	s_load_dwordx2 s[2:3], s[4:5], 0x48
	s_addc_u32 s10, s5, 0
	s_waitcnt lgkmcnt(0)
	s_bitcmp1_b32 s15, 0
	s_cselect_b32 s1, s8, s1
	s_cselect_b32 s0, s7, s0
	v_mov_b32_e32 v1, s0
	v_mov_b32_e32 v2, s1
	flat_load_dwordx2 v[3:4], v[1:2]
	s_cselect_b32 s0, s10, s3
	s_cselect_b32 s1, s9, s2
	v_mov_b32_e32 v1, s1
	v_mov_b32_e32 v2, s0
	flat_load_dwordx2 v[1:2], v[1:2]
	s_waitcnt vmcnt(0) lgkmcnt(0)
	v_cmp_eq_f32_e32 vcc, 0, v3
	v_cmp_eq_f32_e64 s[0:1], 0, v4
	s_and_b64 s[8:9], vcc, s[0:1]
	s_mov_b64 s[0:1], -1
	s_and_saveexec_b64 s[2:3], s[8:9]
; %bb.1:
	v_cmp_neq_f32_e32 vcc, 1.0, v1
	v_cmp_neq_f32_e64 s[0:1], 0, v2
	s_or_b64 s[0:1], vcc, s[0:1]
	s_orn2_b64 s[0:1], s[0:1], exec
; %bb.2:
	s_or_b64 exec, exec, s[2:3]
	s_and_saveexec_b64 s[2:3], s[0:1]
	s_cbranch_execz .LBB39_39
; %bb.3:
	s_load_dwordx4 s[0:3], s[4:5], 0x18
	s_load_dwordx2 s[8:9], s[4:5], 0x28
	s_waitcnt lgkmcnt(0)
	s_cmp_eq_u64 s[0:1], 0
	s_cbranch_scc1 .LBB39_5
; %bb.4:
	s_ashr_i32 s7, s6, 31
	s_lshl_b64 s[6:7], s[6:7], 2
	s_add_u32 s0, s0, s6
	s_addc_u32 s1, s1, s7
	s_load_dword s0, s[0:1], 0x0
	s_waitcnt lgkmcnt(0)
	s_sub_i32 s6, s0, s14
.LBB39_5:
	s_load_dword s0, s[4:5], 0x4
	s_load_dwordx2 s[12:13], s[4:5], 0x50
	v_mul_u32_u24_e32 v7, 0xaab, v0
	v_mov_b32_e32 v5, 24
	v_mul_lo_u16_sdwa v5, v7, v5 dst_sel:DWORD dst_unused:UNUSED_PAD src0_sel:WORD_1 src1_sel:DWORD
	s_waitcnt lgkmcnt(0)
	s_cmp_eq_u32 s0, 1
	s_cselect_b64 vcc, -1, 0
	s_cmp_lg_u32 s0, 1
	s_cselect_b64 s[16:17], -1, 0
	s_ashr_i32 s7, s6, 31
	s_lshl_b64 s[0:1], s[6:7], 2
	s_add_u32 s2, s2, s0
	s_addc_u32 s3, s3, s1
	s_load_dword s7, s[2:3], 0x0
	s_add_u32 s2, s2, 4
	s_addc_u32 s3, s3, 0
	s_add_u32 s0, s8, s0
	s_addc_u32 s1, s9, s1
	s_cmp_eq_u64 s[8:9], 0
	s_cselect_b32 s1, s3, s1
	s_cselect_b32 s0, s2, s0
	s_load_dword s0, s[0:1], 0x0
	v_sub_u16_e32 v13, v0, v5
	v_mov_b32_e32 v6, 0
	v_lshlrev_b32_e32 v12, 3, v0
	v_mov_b32_e32 v5, 0
	s_waitcnt lgkmcnt(0)
	s_cmp_ge_i32 s7, s0
	s_cbranch_scc1 .LBB39_10
; %bb.6:
	s_load_dwordx4 s[8:11], s[4:5], 0x30
	s_load_dwordx2 s[2:3], s[4:5], 0x40
	s_sub_i32 s4, s0, s14
	s_mov_b32 s0, 0xffff
	s_movk_i32 s1, 0x240
	v_and_b32_sdwa v5, s0, v7 dst_sel:DWORD dst_unused:UNUSED_PAD src0_sel:DWORD src1_sel:WORD_1
	v_subrev_u32_e32 v6, 24, v5
	v_cmp_gt_u32_e64 s[0:1], s1, v0
	s_sub_i32 s5, s7, s14
	v_cndmask_b32_e64 v5, v6, v5, s[0:1]
	s_mul_i32 s1, s5, 0x1200
	s_mul_hi_i32 s0, s5, 0x1200
	s_waitcnt lgkmcnt(0)
	s_add_u32 s1, s10, s1
	s_addc_u32 s0, s11, s0
	v_cndmask_b32_e32 v7, v13, v5, vcc
	v_mov_b32_e32 v5, s0
	v_add_co_u32_e32 v8, vcc, s1, v12
	v_addc_co_u32_e32 v9, vcc, 0, v5, vcc
	s_movk_i32 s0, 0x23f
	v_mov_b32_e32 v6, 0
	v_cmp_lt_u32_e32 vcc, s0, v0
	v_cndmask_b32_e64 v14, 0, 1, vcc
	v_mov_b32_e32 v5, v6
	s_branch .LBB39_8
.LBB39_7:                               ;   in Loop: Header=BB39_8 Depth=1
	s_or_b64 exec, exec, s[0:1]
	s_add_i32 s5, s5, 1
	s_cmp_lt_i32 s5, s4
	s_cbranch_scc0 .LBB39_10
.LBB39_8:                               ; =>This Inner Loop Header: Depth=1
	v_add_u32_e32 v10, s5, v14
	v_cmp_gt_i32_e32 vcc, s4, v10
	s_and_saveexec_b64 s[0:1], vcc
	s_cbranch_execz .LBB39_7
; %bb.9:                                ;   in Loop: Header=BB39_8 Depth=1
	v_ashrrev_i32_e32 v11, 31, v10
	v_lshlrev_b64 v[10:11], 2, v[10:11]
	v_mov_b32_e32 v15, s9
	v_add_co_u32_e32 v10, vcc, s8, v10
	v_addc_co_u32_e32 v11, vcc, v15, v11, vcc
	global_load_dword v10, v[10:11], off
	v_mov_b32_e32 v17, s3
	global_load_dwordx2 v[15:16], v[8:9], off
	s_waitcnt vmcnt(1)
	v_subrev_u32_e32 v10, s14, v10
	v_mad_u64_u32 v[10:11], s[10:11], v10, 24, v[7:8]
	v_ashrrev_i32_e32 v11, 31, v10
	v_lshlrev_b64 v[10:11], 3, v[10:11]
	v_add_co_u32_e32 v10, vcc, s2, v10
	v_addc_co_u32_e32 v11, vcc, v17, v11, vcc
	global_load_dwordx2 v[10:11], v[10:11], off
	v_add_co_u32_e32 v8, vcc, 0x1200, v8
	v_addc_co_u32_e32 v9, vcc, 0, v9, vcc
	s_waitcnt vmcnt(0)
	v_fmac_f32_e32 v5, v15, v10
	v_fmac_f32_e32 v6, v16, v10
	v_fma_f32 v5, -v16, v11, v5
	v_fmac_f32_e32 v6, v15, v11
	s_branch .LBB39_7
.LBB39_10:
	s_and_b64 vcc, exec, s[16:17]
	ds_write_b64 v12, v[5:6]
	s_waitcnt lgkmcnt(0)
	s_barrier
	s_cbranch_vccz .LBB39_22
; %bb.11:
	v_cmp_gt_u16_e32 vcc, 8, v13
	s_and_saveexec_b64 s[0:1], vcc
	s_cbranch_execz .LBB39_13
; %bb.12:
	ds_read2_b64 v[7:10], v12 offset1:16
	s_waitcnt lgkmcnt(0)
	v_add_f32_e32 v7, v9, v7
	v_add_f32_e32 v8, v10, v8
	ds_write_b64 v12, v[7:8]
.LBB39_13:
	s_or_b64 exec, exec, s[0:1]
	s_waitcnt lgkmcnt(0)
	s_barrier
	s_and_saveexec_b64 s[0:1], vcc
	s_cbranch_execz .LBB39_15
; %bb.14:
	ds_read2_b64 v[7:10], v12 offset1:8
	s_waitcnt lgkmcnt(0)
	v_add_f32_e32 v7, v9, v7
	v_add_f32_e32 v8, v10, v8
	ds_write_b64 v12, v[7:8]
.LBB39_15:
	s_or_b64 exec, exec, s[0:1]
	v_cmp_gt_u16_e32 vcc, 4, v13
	s_waitcnt lgkmcnt(0)
	s_barrier
	s_and_saveexec_b64 s[0:1], vcc
	s_cbranch_execz .LBB39_17
; %bb.16:
	ds_read2_b64 v[7:10], v12 offset1:4
	s_waitcnt lgkmcnt(0)
	v_add_f32_e32 v7, v9, v7
	v_add_f32_e32 v8, v10, v8
	ds_write_b64 v12, v[7:8]
.LBB39_17:
	s_or_b64 exec, exec, s[0:1]
	v_cmp_gt_u16_e32 vcc, 2, v13
	s_waitcnt lgkmcnt(0)
	s_barrier
	s_and_saveexec_b64 s[0:1], vcc
	s_cbranch_execz .LBB39_19
; %bb.18:
	ds_read2_b64 v[7:10], v12 offset1:2
	s_waitcnt lgkmcnt(0)
	v_add_f32_e32 v7, v9, v7
	v_add_f32_e32 v8, v10, v8
	ds_write_b64 v12, v[7:8]
.LBB39_19:
	s_or_b64 exec, exec, s[0:1]
	v_cmp_gt_u32_e32 vcc, 24, v0
	v_mov_b32_e32 v8, v6
	v_mov_b32_e32 v7, v5
	s_waitcnt lgkmcnt(0)
	s_barrier
	s_and_saveexec_b64 s[0:1], vcc
	s_cbranch_execz .LBB39_21
; %bb.20:
	s_movk_i32 s2, 0xb8
	v_mad_u32_u24 v7, v0, s2, v12
	ds_read2_b64 v[7:10], v7 offset1:1
	s_waitcnt lgkmcnt(0)
	v_add_f32_e32 v7, v9, v7
	v_add_f32_e32 v8, v10, v8
.LBB39_21:
	s_or_b64 exec, exec, s[0:1]
	s_branch .LBB39_34
.LBB39_22:
                                        ; implicit-def: $vgpr8
                                        ; implicit-def: $vgpr7
	s_cbranch_execz .LBB39_34
; %bb.23:
	s_movk_i32 s0, 0xc0
	v_cmp_gt_u32_e32 vcc, s0, v0
	s_and_saveexec_b64 s[0:1], vcc
	s_cbranch_execz .LBB39_25
; %bb.24:
	ds_read2st64_b64 v[7:10], v12 offset1:6
	s_waitcnt lgkmcnt(0)
	v_add_f32_e32 v7, v9, v7
	v_add_f32_e32 v8, v10, v8
	ds_write_b64 v12, v[7:8]
.LBB39_25:
	s_or_b64 exec, exec, s[0:1]
	s_waitcnt lgkmcnt(0)
	s_barrier
	s_and_saveexec_b64 s[0:1], vcc
	s_cbranch_execz .LBB39_27
; %bb.26:
	ds_read2st64_b64 v[7:10], v12 offset1:3
	s_waitcnt lgkmcnt(0)
	v_add_f32_e32 v7, v9, v7
	v_add_f32_e32 v8, v10, v8
	ds_write_b64 v12, v[7:8]
.LBB39_27:
	s_or_b64 exec, exec, s[0:1]
	s_movk_i32 s0, 0x60
	v_cmp_gt_u32_e32 vcc, s0, v0
	s_waitcnt lgkmcnt(0)
	s_barrier
	s_and_saveexec_b64 s[0:1], vcc
	s_cbranch_execz .LBB39_29
; %bb.28:
	ds_read2_b64 v[7:10], v12 offset1:96
	s_waitcnt lgkmcnt(0)
	v_add_f32_e32 v7, v9, v7
	v_add_f32_e32 v8, v10, v8
	ds_write_b64 v12, v[7:8]
.LBB39_29:
	s_or_b64 exec, exec, s[0:1]
	v_cmp_gt_u32_e32 vcc, 48, v0
	s_waitcnt lgkmcnt(0)
	s_barrier
	s_and_saveexec_b64 s[0:1], vcc
	s_cbranch_execz .LBB39_31
; %bb.30:
	ds_read2_b64 v[7:10], v12 offset1:48
	s_waitcnt lgkmcnt(0)
	v_add_f32_e32 v7, v9, v7
	v_add_f32_e32 v8, v10, v8
	ds_write_b64 v12, v[7:8]
.LBB39_31:
	s_or_b64 exec, exec, s[0:1]
	v_cmp_gt_u32_e32 vcc, 24, v0
	s_waitcnt lgkmcnt(0)
	s_and_saveexec_b64 s[0:1], vcc
	s_cbranch_execz .LBB39_33
; %bb.32:
	ds_read2_b64 v[5:8], v12 offset1:24
	s_waitcnt lgkmcnt(0)
	v_add_f32_e32 v5, v7, v5
	v_add_f32_e32 v6, v8, v6
.LBB39_33:
	s_or_b64 exec, exec, s[0:1]
	v_mov_b32_e32 v8, v6
	v_mov_b32_e32 v7, v5
.LBB39_34:
	v_cmp_gt_u32_e32 vcc, 24, v0
	s_and_b64 exec, exec, vcc
	s_cbranch_execz .LBB39_39
; %bb.35:
	v_cmp_eq_f32_e32 vcc, 0, v1
	v_cmp_eq_f32_e64 s[0:1], 0, v2
	v_mul_f32_e64 v5, v8, -v4
	v_mul_f32_e32 v6, v3, v8
	s_and_b64 s[0:1], vcc, s[0:1]
	v_fmac_f32_e32 v5, v3, v7
	v_fmac_f32_e32 v6, v4, v7
	s_and_saveexec_b64 s[2:3], s[0:1]
	s_xor_b64 s[0:1], exec, s[2:3]
	s_cbranch_execz .LBB39_37
; %bb.36:
	v_mad_u64_u32 v[0:1], s[2:3], s6, 24, v[0:1]
	v_mov_b32_e32 v1, 0
	v_mov_b32_e32 v2, s13
	v_lshlrev_b64 v[0:1], 3, v[0:1]
	v_add_co_u32_e32 v0, vcc, s12, v0
	v_addc_co_u32_e32 v1, vcc, v2, v1, vcc
	global_store_dwordx2 v[0:1], v[5:6], off
                                        ; implicit-def: $vgpr0
                                        ; implicit-def: $vgpr1_vgpr2
                                        ; implicit-def: $vgpr5
.LBB39_37:
	s_andn2_saveexec_b64 s[0:1], s[0:1]
	s_cbranch_execz .LBB39_39
; %bb.38:
	v_mad_u64_u32 v[3:4], s[0:1], s6, 24, v[0:1]
	v_mov_b32_e32 v4, 0
	v_mov_b32_e32 v0, s13
	v_lshlrev_b64 v[3:4], 3, v[3:4]
	v_add_co_u32_e32 v3, vcc, s12, v3
	v_addc_co_u32_e32 v4, vcc, v0, v4, vcc
	global_load_dwordx2 v[7:8], v[3:4], off
	s_waitcnt vmcnt(0)
	v_fmac_f32_e32 v5, v1, v7
	v_fmac_f32_e32 v6, v2, v7
	v_fma_f32 v5, -v2, v8, v5
	v_fmac_f32_e32 v6, v1, v8
	global_store_dwordx2 v[3:4], v[5:6], off
.LBB39_39:
	s_endpgm
	.section	.rodata,"a",@progbits
	.p2align	6, 0x0
	.amdhsa_kernel _ZN9rocsparseL20bsrxmvn_17_32_kernelILj24E21rocsparse_complex_numIfEiiS2_S2_S2_EEvT2_20rocsparse_direction_NS_24const_host_device_scalarIT0_EES3_PKS3_PKT1_SC_S9_PKT3_PKT4_S7_PT5_21rocsparse_index_base_b
		.amdhsa_group_segment_fixed_size 4608
		.amdhsa_private_segment_fixed_size 0
		.amdhsa_kernarg_size 96
		.amdhsa_user_sgpr_count 6
		.amdhsa_user_sgpr_private_segment_buffer 1
		.amdhsa_user_sgpr_dispatch_ptr 0
		.amdhsa_user_sgpr_queue_ptr 0
		.amdhsa_user_sgpr_kernarg_segment_ptr 1
		.amdhsa_user_sgpr_dispatch_id 0
		.amdhsa_user_sgpr_flat_scratch_init 0
		.amdhsa_user_sgpr_private_segment_size 0
		.amdhsa_uses_dynamic_stack 0
		.amdhsa_system_sgpr_private_segment_wavefront_offset 0
		.amdhsa_system_sgpr_workgroup_id_x 1
		.amdhsa_system_sgpr_workgroup_id_y 0
		.amdhsa_system_sgpr_workgroup_id_z 0
		.amdhsa_system_sgpr_workgroup_info 0
		.amdhsa_system_vgpr_workitem_id 0
		.amdhsa_next_free_vgpr 25
		.amdhsa_next_free_sgpr 61
		.amdhsa_reserve_vcc 1
		.amdhsa_reserve_flat_scratch 0
		.amdhsa_float_round_mode_32 0
		.amdhsa_float_round_mode_16_64 0
		.amdhsa_float_denorm_mode_32 3
		.amdhsa_float_denorm_mode_16_64 3
		.amdhsa_dx10_clamp 1
		.amdhsa_ieee_mode 1
		.amdhsa_fp16_overflow 0
		.amdhsa_exception_fp_ieee_invalid_op 0
		.amdhsa_exception_fp_denorm_src 0
		.amdhsa_exception_fp_ieee_div_zero 0
		.amdhsa_exception_fp_ieee_overflow 0
		.amdhsa_exception_fp_ieee_underflow 0
		.amdhsa_exception_fp_ieee_inexact 0
		.amdhsa_exception_int_div_zero 0
	.end_amdhsa_kernel
	.section	.text._ZN9rocsparseL20bsrxmvn_17_32_kernelILj24E21rocsparse_complex_numIfEiiS2_S2_S2_EEvT2_20rocsparse_direction_NS_24const_host_device_scalarIT0_EES3_PKS3_PKT1_SC_S9_PKT3_PKT4_S7_PT5_21rocsparse_index_base_b,"axG",@progbits,_ZN9rocsparseL20bsrxmvn_17_32_kernelILj24E21rocsparse_complex_numIfEiiS2_S2_S2_EEvT2_20rocsparse_direction_NS_24const_host_device_scalarIT0_EES3_PKS3_PKT1_SC_S9_PKT3_PKT4_S7_PT5_21rocsparse_index_base_b,comdat
.Lfunc_end39:
	.size	_ZN9rocsparseL20bsrxmvn_17_32_kernelILj24E21rocsparse_complex_numIfEiiS2_S2_S2_EEvT2_20rocsparse_direction_NS_24const_host_device_scalarIT0_EES3_PKS3_PKT1_SC_S9_PKT3_PKT4_S7_PT5_21rocsparse_index_base_b, .Lfunc_end39-_ZN9rocsparseL20bsrxmvn_17_32_kernelILj24E21rocsparse_complex_numIfEiiS2_S2_S2_EEvT2_20rocsparse_direction_NS_24const_host_device_scalarIT0_EES3_PKS3_PKT1_SC_S9_PKT3_PKT4_S7_PT5_21rocsparse_index_base_b
                                        ; -- End function
	.set _ZN9rocsparseL20bsrxmvn_17_32_kernelILj24E21rocsparse_complex_numIfEiiS2_S2_S2_EEvT2_20rocsparse_direction_NS_24const_host_device_scalarIT0_EES3_PKS3_PKT1_SC_S9_PKT3_PKT4_S7_PT5_21rocsparse_index_base_b.num_vgpr, 18
	.set _ZN9rocsparseL20bsrxmvn_17_32_kernelILj24E21rocsparse_complex_numIfEiiS2_S2_S2_EEvT2_20rocsparse_direction_NS_24const_host_device_scalarIT0_EES3_PKS3_PKT1_SC_S9_PKT3_PKT4_S7_PT5_21rocsparse_index_base_b.num_agpr, 0
	.set _ZN9rocsparseL20bsrxmvn_17_32_kernelILj24E21rocsparse_complex_numIfEiiS2_S2_S2_EEvT2_20rocsparse_direction_NS_24const_host_device_scalarIT0_EES3_PKS3_PKT1_SC_S9_PKT3_PKT4_S7_PT5_21rocsparse_index_base_b.numbered_sgpr, 18
	.set _ZN9rocsparseL20bsrxmvn_17_32_kernelILj24E21rocsparse_complex_numIfEiiS2_S2_S2_EEvT2_20rocsparse_direction_NS_24const_host_device_scalarIT0_EES3_PKS3_PKT1_SC_S9_PKT3_PKT4_S7_PT5_21rocsparse_index_base_b.num_named_barrier, 0
	.set _ZN9rocsparseL20bsrxmvn_17_32_kernelILj24E21rocsparse_complex_numIfEiiS2_S2_S2_EEvT2_20rocsparse_direction_NS_24const_host_device_scalarIT0_EES3_PKS3_PKT1_SC_S9_PKT3_PKT4_S7_PT5_21rocsparse_index_base_b.private_seg_size, 0
	.set _ZN9rocsparseL20bsrxmvn_17_32_kernelILj24E21rocsparse_complex_numIfEiiS2_S2_S2_EEvT2_20rocsparse_direction_NS_24const_host_device_scalarIT0_EES3_PKS3_PKT1_SC_S9_PKT3_PKT4_S7_PT5_21rocsparse_index_base_b.uses_vcc, 1
	.set _ZN9rocsparseL20bsrxmvn_17_32_kernelILj24E21rocsparse_complex_numIfEiiS2_S2_S2_EEvT2_20rocsparse_direction_NS_24const_host_device_scalarIT0_EES3_PKS3_PKT1_SC_S9_PKT3_PKT4_S7_PT5_21rocsparse_index_base_b.uses_flat_scratch, 0
	.set _ZN9rocsparseL20bsrxmvn_17_32_kernelILj24E21rocsparse_complex_numIfEiiS2_S2_S2_EEvT2_20rocsparse_direction_NS_24const_host_device_scalarIT0_EES3_PKS3_PKT1_SC_S9_PKT3_PKT4_S7_PT5_21rocsparse_index_base_b.has_dyn_sized_stack, 0
	.set _ZN9rocsparseL20bsrxmvn_17_32_kernelILj24E21rocsparse_complex_numIfEiiS2_S2_S2_EEvT2_20rocsparse_direction_NS_24const_host_device_scalarIT0_EES3_PKS3_PKT1_SC_S9_PKT3_PKT4_S7_PT5_21rocsparse_index_base_b.has_recursion, 0
	.set _ZN9rocsparseL20bsrxmvn_17_32_kernelILj24E21rocsparse_complex_numIfEiiS2_S2_S2_EEvT2_20rocsparse_direction_NS_24const_host_device_scalarIT0_EES3_PKS3_PKT1_SC_S9_PKT3_PKT4_S7_PT5_21rocsparse_index_base_b.has_indirect_call, 0
	.section	.AMDGPU.csdata,"",@progbits
; Kernel info:
; codeLenInByte = 1388
; TotalNumSgprs: 22
; NumVgprs: 18
; ScratchSize: 0
; MemoryBound: 0
; FloatMode: 240
; IeeeMode: 1
; LDSByteSize: 4608 bytes/workgroup (compile time only)
; SGPRBlocks: 8
; VGPRBlocks: 6
; NumSGPRsForWavesPerEU: 65
; NumVGPRsForWavesPerEU: 25
; Occupancy: 9
; WaveLimiterHint : 1
; COMPUTE_PGM_RSRC2:SCRATCH_EN: 0
; COMPUTE_PGM_RSRC2:USER_SGPR: 6
; COMPUTE_PGM_RSRC2:TRAP_HANDLER: 0
; COMPUTE_PGM_RSRC2:TGID_X_EN: 1
; COMPUTE_PGM_RSRC2:TGID_Y_EN: 0
; COMPUTE_PGM_RSRC2:TGID_Z_EN: 0
; COMPUTE_PGM_RSRC2:TIDIG_COMP_CNT: 0
	.section	.text._ZN9rocsparseL20bsrxmvn_17_32_kernelILj25E21rocsparse_complex_numIfEiiS2_S2_S2_EEvT2_20rocsparse_direction_NS_24const_host_device_scalarIT0_EES3_PKS3_PKT1_SC_S9_PKT3_PKT4_S7_PT5_21rocsparse_index_base_b,"axG",@progbits,_ZN9rocsparseL20bsrxmvn_17_32_kernelILj25E21rocsparse_complex_numIfEiiS2_S2_S2_EEvT2_20rocsparse_direction_NS_24const_host_device_scalarIT0_EES3_PKS3_PKT1_SC_S9_PKT3_PKT4_S7_PT5_21rocsparse_index_base_b,comdat
	.globl	_ZN9rocsparseL20bsrxmvn_17_32_kernelILj25E21rocsparse_complex_numIfEiiS2_S2_S2_EEvT2_20rocsparse_direction_NS_24const_host_device_scalarIT0_EES3_PKS3_PKT1_SC_S9_PKT3_PKT4_S7_PT5_21rocsparse_index_base_b ; -- Begin function _ZN9rocsparseL20bsrxmvn_17_32_kernelILj25E21rocsparse_complex_numIfEiiS2_S2_S2_EEvT2_20rocsparse_direction_NS_24const_host_device_scalarIT0_EES3_PKS3_PKT1_SC_S9_PKT3_PKT4_S7_PT5_21rocsparse_index_base_b
	.p2align	8
	.type	_ZN9rocsparseL20bsrxmvn_17_32_kernelILj25E21rocsparse_complex_numIfEiiS2_S2_S2_EEvT2_20rocsparse_direction_NS_24const_host_device_scalarIT0_EES3_PKS3_PKT1_SC_S9_PKT3_PKT4_S7_PT5_21rocsparse_index_base_b,@function
_ZN9rocsparseL20bsrxmvn_17_32_kernelILj25E21rocsparse_complex_numIfEiiS2_S2_S2_EEvT2_20rocsparse_direction_NS_24const_host_device_scalarIT0_EES3_PKS3_PKT1_SC_S9_PKT3_PKT4_S7_PT5_21rocsparse_index_base_b: ; @_ZN9rocsparseL20bsrxmvn_17_32_kernelILj25E21rocsparse_complex_numIfEiiS2_S2_S2_EEvT2_20rocsparse_direction_NS_24const_host_device_scalarIT0_EES3_PKS3_PKT1_SC_S9_PKT3_PKT4_S7_PT5_21rocsparse_index_base_b
; %bb.0:
	s_load_dwordx2 s[0:1], s[4:5], 0x8
	s_load_dwordx2 s[14:15], s[4:5], 0x58
	s_add_u32 s7, s4, 8
	s_addc_u32 s8, s5, 0
	s_add_u32 s9, s4, 0x48
	s_load_dwordx2 s[2:3], s[4:5], 0x48
	s_addc_u32 s10, s5, 0
	s_waitcnt lgkmcnt(0)
	s_bitcmp1_b32 s15, 0
	s_cselect_b32 s1, s8, s1
	s_cselect_b32 s0, s7, s0
	v_mov_b32_e32 v1, s0
	v_mov_b32_e32 v2, s1
	flat_load_dwordx2 v[3:4], v[1:2]
	s_cselect_b32 s0, s10, s3
	s_cselect_b32 s1, s9, s2
	v_mov_b32_e32 v1, s1
	v_mov_b32_e32 v2, s0
	flat_load_dwordx2 v[1:2], v[1:2]
	s_waitcnt vmcnt(0) lgkmcnt(0)
	v_cmp_eq_f32_e32 vcc, 0, v3
	v_cmp_eq_f32_e64 s[0:1], 0, v4
	s_and_b64 s[8:9], vcc, s[0:1]
	s_mov_b64 s[0:1], -1
	s_and_saveexec_b64 s[2:3], s[8:9]
; %bb.1:
	v_cmp_neq_f32_e32 vcc, 1.0, v1
	v_cmp_neq_f32_e64 s[0:1], 0, v2
	s_or_b64 s[0:1], vcc, s[0:1]
	s_orn2_b64 s[0:1], s[0:1], exec
; %bb.2:
	s_or_b64 exec, exec, s[2:3]
	s_and_saveexec_b64 s[2:3], s[0:1]
	s_cbranch_execz .LBB40_39
; %bb.3:
	s_load_dwordx4 s[0:3], s[4:5], 0x18
	s_load_dwordx2 s[8:9], s[4:5], 0x28
	s_waitcnt lgkmcnt(0)
	s_cmp_eq_u64 s[0:1], 0
	s_cbranch_scc1 .LBB40_5
; %bb.4:
	s_ashr_i32 s7, s6, 31
	s_lshl_b64 s[6:7], s[6:7], 2
	s_add_u32 s0, s0, s6
	s_addc_u32 s1, s1, s7
	s_load_dword s0, s[0:1], 0x0
	s_waitcnt lgkmcnt(0)
	s_sub_i32 s6, s0, s14
.LBB40_5:
	s_load_dword s0, s[4:5], 0x4
	s_load_dwordx2 s[12:13], s[4:5], 0x50
	v_mul_u32_u24_e32 v7, 0xa3e, v0
	v_mov_b32_e32 v5, 25
	v_mul_lo_u16_sdwa v5, v7, v5 dst_sel:DWORD dst_unused:UNUSED_PAD src0_sel:WORD_1 src1_sel:DWORD
	s_waitcnt lgkmcnt(0)
	s_cmp_eq_u32 s0, 1
	s_cselect_b64 vcc, -1, 0
	s_cmp_lg_u32 s0, 1
	s_cselect_b64 s[16:17], -1, 0
	s_ashr_i32 s7, s6, 31
	s_lshl_b64 s[0:1], s[6:7], 2
	s_add_u32 s2, s2, s0
	s_addc_u32 s3, s3, s1
	s_load_dword s7, s[2:3], 0x0
	s_add_u32 s2, s2, 4
	s_addc_u32 s3, s3, 0
	s_add_u32 s0, s8, s0
	s_addc_u32 s1, s9, s1
	s_cmp_eq_u64 s[8:9], 0
	s_cselect_b32 s1, s3, s1
	s_cselect_b32 s0, s2, s0
	s_load_dword s0, s[0:1], 0x0
	v_sub_u16_e32 v13, v0, v5
	v_mov_b32_e32 v6, 0
	v_lshlrev_b32_e32 v12, 3, v0
	v_mov_b32_e32 v5, 0
	s_waitcnt lgkmcnt(0)
	s_cmp_ge_i32 s7, s0
	s_cbranch_scc1 .LBB40_10
; %bb.6:
	s_load_dwordx4 s[8:11], s[4:5], 0x30
	s_load_dwordx2 s[2:3], s[4:5], 0x40
	s_sub_i32 s4, s0, s14
	s_mov_b32 s0, 0xffff
	s_movk_i32 s1, 0x271
	v_and_b32_sdwa v5, s0, v7 dst_sel:DWORD dst_unused:UNUSED_PAD src0_sel:DWORD src1_sel:WORD_1
	v_subrev_u32_e32 v6, 25, v5
	v_cmp_gt_u32_e64 s[0:1], s1, v0
	s_sub_i32 s5, s7, s14
	v_cndmask_b32_e64 v5, v6, v5, s[0:1]
	s_mul_i32 s1, s5, 0x1388
	s_mul_hi_i32 s0, s5, 0x1388
	s_waitcnt lgkmcnt(0)
	s_add_u32 s1, s10, s1
	s_addc_u32 s0, s11, s0
	v_cndmask_b32_e32 v7, v13, v5, vcc
	v_mov_b32_e32 v5, s0
	v_add_co_u32_e32 v8, vcc, s1, v12
	v_addc_co_u32_e32 v9, vcc, 0, v5, vcc
	s_movk_i32 s0, 0x270
	v_mov_b32_e32 v6, 0
	v_cmp_lt_u32_e32 vcc, s0, v0
	v_cndmask_b32_e64 v14, 0, 1, vcc
	v_mov_b32_e32 v5, v6
	s_branch .LBB40_8
.LBB40_7:                               ;   in Loop: Header=BB40_8 Depth=1
	s_or_b64 exec, exec, s[0:1]
	s_add_i32 s5, s5, 1
	s_cmp_lt_i32 s5, s4
	s_cbranch_scc0 .LBB40_10
.LBB40_8:                               ; =>This Inner Loop Header: Depth=1
	v_add_u32_e32 v10, s5, v14
	v_cmp_gt_i32_e32 vcc, s4, v10
	s_and_saveexec_b64 s[0:1], vcc
	s_cbranch_execz .LBB40_7
; %bb.9:                                ;   in Loop: Header=BB40_8 Depth=1
	v_ashrrev_i32_e32 v11, 31, v10
	v_lshlrev_b64 v[10:11], 2, v[10:11]
	v_mov_b32_e32 v15, s9
	v_add_co_u32_e32 v10, vcc, s8, v10
	v_addc_co_u32_e32 v11, vcc, v15, v11, vcc
	global_load_dword v10, v[10:11], off
	v_mov_b32_e32 v17, s3
	global_load_dwordx2 v[15:16], v[8:9], off
	s_waitcnt vmcnt(1)
	v_subrev_u32_e32 v10, s14, v10
	v_mad_u64_u32 v[10:11], s[10:11], v10, 25, v[7:8]
	v_ashrrev_i32_e32 v11, 31, v10
	v_lshlrev_b64 v[10:11], 3, v[10:11]
	v_add_co_u32_e32 v10, vcc, s2, v10
	v_addc_co_u32_e32 v11, vcc, v17, v11, vcc
	global_load_dwordx2 v[10:11], v[10:11], off
	v_add_co_u32_e32 v8, vcc, 0x1388, v8
	v_addc_co_u32_e32 v9, vcc, 0, v9, vcc
	s_waitcnt vmcnt(0)
	v_fmac_f32_e32 v5, v15, v10
	v_fmac_f32_e32 v6, v16, v10
	v_fma_f32 v5, -v16, v11, v5
	v_fmac_f32_e32 v6, v15, v11
	s_branch .LBB40_7
.LBB40_10:
	s_and_b64 vcc, exec, s[16:17]
	ds_write_b64 v12, v[5:6]
	s_waitcnt lgkmcnt(0)
	s_barrier
	s_cbranch_vccz .LBB40_22
; %bb.11:
	v_cmp_gt_u16_e32 vcc, 9, v13
	s_and_saveexec_b64 s[0:1], vcc
	s_cbranch_execz .LBB40_13
; %bb.12:
	ds_read2_b64 v[7:10], v12 offset1:16
	s_waitcnt lgkmcnt(0)
	v_add_f32_e32 v7, v9, v7
	v_add_f32_e32 v8, v10, v8
	ds_write_b64 v12, v[7:8]
.LBB40_13:
	s_or_b64 exec, exec, s[0:1]
	v_cmp_gt_u16_e32 vcc, 8, v13
	s_waitcnt lgkmcnt(0)
	s_barrier
	s_and_saveexec_b64 s[0:1], vcc
	s_cbranch_execz .LBB40_15
; %bb.14:
	ds_read2_b64 v[7:10], v12 offset1:8
	s_waitcnt lgkmcnt(0)
	v_add_f32_e32 v7, v9, v7
	v_add_f32_e32 v8, v10, v8
	ds_write_b64 v12, v[7:8]
.LBB40_15:
	s_or_b64 exec, exec, s[0:1]
	v_cmp_gt_u16_e32 vcc, 4, v13
	s_waitcnt lgkmcnt(0)
	s_barrier
	;; [unrolled: 13-line block ×3, first 2 shown]
	s_and_saveexec_b64 s[0:1], vcc
	s_cbranch_execz .LBB40_19
; %bb.18:
	ds_read2_b64 v[7:10], v12 offset1:2
	s_waitcnt lgkmcnt(0)
	v_add_f32_e32 v7, v9, v7
	v_add_f32_e32 v8, v10, v8
	ds_write_b64 v12, v[7:8]
.LBB40_19:
	s_or_b64 exec, exec, s[0:1]
	v_cmp_gt_u32_e32 vcc, 25, v0
	v_mov_b32_e32 v8, v6
	v_mov_b32_e32 v7, v5
	s_waitcnt lgkmcnt(0)
	s_barrier
	s_and_saveexec_b64 s[0:1], vcc
	s_cbranch_execz .LBB40_21
; %bb.20:
	s_movk_i32 s2, 0xc0
	v_mad_u32_u24 v7, v0, s2, v12
	ds_read2_b64 v[7:10], v7 offset1:1
	s_waitcnt lgkmcnt(0)
	v_add_f32_e32 v7, v9, v7
	v_add_f32_e32 v8, v10, v8
.LBB40_21:
	s_or_b64 exec, exec, s[0:1]
	s_branch .LBB40_34
.LBB40_22:
                                        ; implicit-def: $vgpr8
                                        ; implicit-def: $vgpr7
	s_cbranch_execz .LBB40_34
; %bb.23:
	s_movk_i32 s0, 0xe1
	v_cmp_gt_u32_e32 vcc, s0, v0
	s_and_saveexec_b64 s[0:1], vcc
	s_cbranch_execz .LBB40_25
; %bb.24:
	ds_read_b64 v[7:8], v12 offset:3200
	ds_read_b64 v[9:10], v12
	s_waitcnt lgkmcnt(0)
	v_add_f32_e32 v7, v7, v9
	v_add_f32_e32 v8, v8, v10
	ds_write_b64 v12, v[7:8]
.LBB40_25:
	s_or_b64 exec, exec, s[0:1]
	s_movk_i32 s0, 0xc8
	v_cmp_gt_u32_e32 vcc, s0, v0
	s_waitcnt lgkmcnt(0)
	s_barrier
	s_and_saveexec_b64 s[0:1], vcc
	s_cbranch_execz .LBB40_27
; %bb.26:
	ds_read2_b64 v[7:10], v12 offset1:200
	s_waitcnt lgkmcnt(0)
	v_add_f32_e32 v7, v9, v7
	v_add_f32_e32 v8, v10, v8
	ds_write_b64 v12, v[7:8]
.LBB40_27:
	s_or_b64 exec, exec, s[0:1]
	s_movk_i32 s0, 0x64
	v_cmp_gt_u32_e32 vcc, s0, v0
	s_waitcnt lgkmcnt(0)
	s_barrier
	s_and_saveexec_b64 s[0:1], vcc
	s_cbranch_execz .LBB40_29
; %bb.28:
	ds_read2_b64 v[7:10], v12 offset1:100
	s_waitcnt lgkmcnt(0)
	v_add_f32_e32 v7, v9, v7
	v_add_f32_e32 v8, v10, v8
	ds_write_b64 v12, v[7:8]
.LBB40_29:
	s_or_b64 exec, exec, s[0:1]
	v_cmp_gt_u32_e32 vcc, 50, v0
	s_waitcnt lgkmcnt(0)
	s_barrier
	s_and_saveexec_b64 s[0:1], vcc
	s_cbranch_execz .LBB40_31
; %bb.30:
	ds_read2_b64 v[7:10], v12 offset1:50
	s_waitcnt lgkmcnt(0)
	v_add_f32_e32 v7, v9, v7
	v_add_f32_e32 v8, v10, v8
	ds_write_b64 v12, v[7:8]
.LBB40_31:
	s_or_b64 exec, exec, s[0:1]
	v_cmp_gt_u32_e32 vcc, 25, v0
	s_waitcnt lgkmcnt(0)
	s_and_saveexec_b64 s[0:1], vcc
	s_cbranch_execz .LBB40_33
; %bb.32:
	ds_read2_b64 v[5:8], v12 offset1:25
	s_waitcnt lgkmcnt(0)
	v_add_f32_e32 v5, v7, v5
	v_add_f32_e32 v6, v8, v6
.LBB40_33:
	s_or_b64 exec, exec, s[0:1]
	v_mov_b32_e32 v8, v6
	v_mov_b32_e32 v7, v5
.LBB40_34:
	v_cmp_gt_u32_e32 vcc, 25, v0
	s_and_b64 exec, exec, vcc
	s_cbranch_execz .LBB40_39
; %bb.35:
	v_cmp_eq_f32_e32 vcc, 0, v1
	v_cmp_eq_f32_e64 s[0:1], 0, v2
	v_mul_f32_e64 v5, v8, -v4
	v_mul_f32_e32 v6, v3, v8
	s_and_b64 s[0:1], vcc, s[0:1]
	v_fmac_f32_e32 v5, v3, v7
	v_fmac_f32_e32 v6, v4, v7
	s_and_saveexec_b64 s[2:3], s[0:1]
	s_xor_b64 s[0:1], exec, s[2:3]
	s_cbranch_execz .LBB40_37
; %bb.36:
	v_mad_u64_u32 v[0:1], s[2:3], s6, 25, v[0:1]
	v_mov_b32_e32 v1, 0
	v_mov_b32_e32 v2, s13
	v_lshlrev_b64 v[0:1], 3, v[0:1]
	v_add_co_u32_e32 v0, vcc, s12, v0
	v_addc_co_u32_e32 v1, vcc, v2, v1, vcc
	global_store_dwordx2 v[0:1], v[5:6], off
                                        ; implicit-def: $vgpr0
                                        ; implicit-def: $vgpr1_vgpr2
                                        ; implicit-def: $vgpr5
.LBB40_37:
	s_andn2_saveexec_b64 s[0:1], s[0:1]
	s_cbranch_execz .LBB40_39
; %bb.38:
	v_mad_u64_u32 v[3:4], s[0:1], s6, 25, v[0:1]
	v_mov_b32_e32 v4, 0
	v_mov_b32_e32 v0, s13
	v_lshlrev_b64 v[3:4], 3, v[3:4]
	v_add_co_u32_e32 v3, vcc, s12, v3
	v_addc_co_u32_e32 v4, vcc, v0, v4, vcc
	global_load_dwordx2 v[7:8], v[3:4], off
	s_waitcnt vmcnt(0)
	v_fmac_f32_e32 v5, v1, v7
	v_fmac_f32_e32 v6, v2, v7
	v_fma_f32 v5, -v2, v8, v5
	v_fmac_f32_e32 v6, v1, v8
	global_store_dwordx2 v[3:4], v[5:6], off
.LBB40_39:
	s_endpgm
	.section	.rodata,"a",@progbits
	.p2align	6, 0x0
	.amdhsa_kernel _ZN9rocsparseL20bsrxmvn_17_32_kernelILj25E21rocsparse_complex_numIfEiiS2_S2_S2_EEvT2_20rocsparse_direction_NS_24const_host_device_scalarIT0_EES3_PKS3_PKT1_SC_S9_PKT3_PKT4_S7_PT5_21rocsparse_index_base_b
		.amdhsa_group_segment_fixed_size 5000
		.amdhsa_private_segment_fixed_size 0
		.amdhsa_kernarg_size 96
		.amdhsa_user_sgpr_count 6
		.amdhsa_user_sgpr_private_segment_buffer 1
		.amdhsa_user_sgpr_dispatch_ptr 0
		.amdhsa_user_sgpr_queue_ptr 0
		.amdhsa_user_sgpr_kernarg_segment_ptr 1
		.amdhsa_user_sgpr_dispatch_id 0
		.amdhsa_user_sgpr_flat_scratch_init 0
		.amdhsa_user_sgpr_private_segment_size 0
		.amdhsa_uses_dynamic_stack 0
		.amdhsa_system_sgpr_private_segment_wavefront_offset 0
		.amdhsa_system_sgpr_workgroup_id_x 1
		.amdhsa_system_sgpr_workgroup_id_y 0
		.amdhsa_system_sgpr_workgroup_id_z 0
		.amdhsa_system_sgpr_workgroup_info 0
		.amdhsa_system_vgpr_workitem_id 0
		.amdhsa_next_free_vgpr 18
		.amdhsa_next_free_sgpr 18
		.amdhsa_reserve_vcc 1
		.amdhsa_reserve_flat_scratch 0
		.amdhsa_float_round_mode_32 0
		.amdhsa_float_round_mode_16_64 0
		.amdhsa_float_denorm_mode_32 3
		.amdhsa_float_denorm_mode_16_64 3
		.amdhsa_dx10_clamp 1
		.amdhsa_ieee_mode 1
		.amdhsa_fp16_overflow 0
		.amdhsa_exception_fp_ieee_invalid_op 0
		.amdhsa_exception_fp_denorm_src 0
		.amdhsa_exception_fp_ieee_div_zero 0
		.amdhsa_exception_fp_ieee_overflow 0
		.amdhsa_exception_fp_ieee_underflow 0
		.amdhsa_exception_fp_ieee_inexact 0
		.amdhsa_exception_int_div_zero 0
	.end_amdhsa_kernel
	.section	.text._ZN9rocsparseL20bsrxmvn_17_32_kernelILj25E21rocsparse_complex_numIfEiiS2_S2_S2_EEvT2_20rocsparse_direction_NS_24const_host_device_scalarIT0_EES3_PKS3_PKT1_SC_S9_PKT3_PKT4_S7_PT5_21rocsparse_index_base_b,"axG",@progbits,_ZN9rocsparseL20bsrxmvn_17_32_kernelILj25E21rocsparse_complex_numIfEiiS2_S2_S2_EEvT2_20rocsparse_direction_NS_24const_host_device_scalarIT0_EES3_PKS3_PKT1_SC_S9_PKT3_PKT4_S7_PT5_21rocsparse_index_base_b,comdat
.Lfunc_end40:
	.size	_ZN9rocsparseL20bsrxmvn_17_32_kernelILj25E21rocsparse_complex_numIfEiiS2_S2_S2_EEvT2_20rocsparse_direction_NS_24const_host_device_scalarIT0_EES3_PKS3_PKT1_SC_S9_PKT3_PKT4_S7_PT5_21rocsparse_index_base_b, .Lfunc_end40-_ZN9rocsparseL20bsrxmvn_17_32_kernelILj25E21rocsparse_complex_numIfEiiS2_S2_S2_EEvT2_20rocsparse_direction_NS_24const_host_device_scalarIT0_EES3_PKS3_PKT1_SC_S9_PKT3_PKT4_S7_PT5_21rocsparse_index_base_b
                                        ; -- End function
	.set _ZN9rocsparseL20bsrxmvn_17_32_kernelILj25E21rocsparse_complex_numIfEiiS2_S2_S2_EEvT2_20rocsparse_direction_NS_24const_host_device_scalarIT0_EES3_PKS3_PKT1_SC_S9_PKT3_PKT4_S7_PT5_21rocsparse_index_base_b.num_vgpr, 18
	.set _ZN9rocsparseL20bsrxmvn_17_32_kernelILj25E21rocsparse_complex_numIfEiiS2_S2_S2_EEvT2_20rocsparse_direction_NS_24const_host_device_scalarIT0_EES3_PKS3_PKT1_SC_S9_PKT3_PKT4_S7_PT5_21rocsparse_index_base_b.num_agpr, 0
	.set _ZN9rocsparseL20bsrxmvn_17_32_kernelILj25E21rocsparse_complex_numIfEiiS2_S2_S2_EEvT2_20rocsparse_direction_NS_24const_host_device_scalarIT0_EES3_PKS3_PKT1_SC_S9_PKT3_PKT4_S7_PT5_21rocsparse_index_base_b.numbered_sgpr, 18
	.set _ZN9rocsparseL20bsrxmvn_17_32_kernelILj25E21rocsparse_complex_numIfEiiS2_S2_S2_EEvT2_20rocsparse_direction_NS_24const_host_device_scalarIT0_EES3_PKS3_PKT1_SC_S9_PKT3_PKT4_S7_PT5_21rocsparse_index_base_b.num_named_barrier, 0
	.set _ZN9rocsparseL20bsrxmvn_17_32_kernelILj25E21rocsparse_complex_numIfEiiS2_S2_S2_EEvT2_20rocsparse_direction_NS_24const_host_device_scalarIT0_EES3_PKS3_PKT1_SC_S9_PKT3_PKT4_S7_PT5_21rocsparse_index_base_b.private_seg_size, 0
	.set _ZN9rocsparseL20bsrxmvn_17_32_kernelILj25E21rocsparse_complex_numIfEiiS2_S2_S2_EEvT2_20rocsparse_direction_NS_24const_host_device_scalarIT0_EES3_PKS3_PKT1_SC_S9_PKT3_PKT4_S7_PT5_21rocsparse_index_base_b.uses_vcc, 1
	.set _ZN9rocsparseL20bsrxmvn_17_32_kernelILj25E21rocsparse_complex_numIfEiiS2_S2_S2_EEvT2_20rocsparse_direction_NS_24const_host_device_scalarIT0_EES3_PKS3_PKT1_SC_S9_PKT3_PKT4_S7_PT5_21rocsparse_index_base_b.uses_flat_scratch, 0
	.set _ZN9rocsparseL20bsrxmvn_17_32_kernelILj25E21rocsparse_complex_numIfEiiS2_S2_S2_EEvT2_20rocsparse_direction_NS_24const_host_device_scalarIT0_EES3_PKS3_PKT1_SC_S9_PKT3_PKT4_S7_PT5_21rocsparse_index_base_b.has_dyn_sized_stack, 0
	.set _ZN9rocsparseL20bsrxmvn_17_32_kernelILj25E21rocsparse_complex_numIfEiiS2_S2_S2_EEvT2_20rocsparse_direction_NS_24const_host_device_scalarIT0_EES3_PKS3_PKT1_SC_S9_PKT3_PKT4_S7_PT5_21rocsparse_index_base_b.has_recursion, 0
	.set _ZN9rocsparseL20bsrxmvn_17_32_kernelILj25E21rocsparse_complex_numIfEiiS2_S2_S2_EEvT2_20rocsparse_direction_NS_24const_host_device_scalarIT0_EES3_PKS3_PKT1_SC_S9_PKT3_PKT4_S7_PT5_21rocsparse_index_base_b.has_indirect_call, 0
	.section	.AMDGPU.csdata,"",@progbits
; Kernel info:
; codeLenInByte = 1408
; TotalNumSgprs: 22
; NumVgprs: 18
; ScratchSize: 0
; MemoryBound: 0
; FloatMode: 240
; IeeeMode: 1
; LDSByteSize: 5000 bytes/workgroup (compile time only)
; SGPRBlocks: 2
; VGPRBlocks: 4
; NumSGPRsForWavesPerEU: 22
; NumVGPRsForWavesPerEU: 18
; Occupancy: 10
; WaveLimiterHint : 1
; COMPUTE_PGM_RSRC2:SCRATCH_EN: 0
; COMPUTE_PGM_RSRC2:USER_SGPR: 6
; COMPUTE_PGM_RSRC2:TRAP_HANDLER: 0
; COMPUTE_PGM_RSRC2:TGID_X_EN: 1
; COMPUTE_PGM_RSRC2:TGID_Y_EN: 0
; COMPUTE_PGM_RSRC2:TGID_Z_EN: 0
; COMPUTE_PGM_RSRC2:TIDIG_COMP_CNT: 0
	.section	.text._ZN9rocsparseL20bsrxmvn_17_32_kernelILj26E21rocsparse_complex_numIfEiiS2_S2_S2_EEvT2_20rocsparse_direction_NS_24const_host_device_scalarIT0_EES3_PKS3_PKT1_SC_S9_PKT3_PKT4_S7_PT5_21rocsparse_index_base_b,"axG",@progbits,_ZN9rocsparseL20bsrxmvn_17_32_kernelILj26E21rocsparse_complex_numIfEiiS2_S2_S2_EEvT2_20rocsparse_direction_NS_24const_host_device_scalarIT0_EES3_PKS3_PKT1_SC_S9_PKT3_PKT4_S7_PT5_21rocsparse_index_base_b,comdat
	.globl	_ZN9rocsparseL20bsrxmvn_17_32_kernelILj26E21rocsparse_complex_numIfEiiS2_S2_S2_EEvT2_20rocsparse_direction_NS_24const_host_device_scalarIT0_EES3_PKS3_PKT1_SC_S9_PKT3_PKT4_S7_PT5_21rocsparse_index_base_b ; -- Begin function _ZN9rocsparseL20bsrxmvn_17_32_kernelILj26E21rocsparse_complex_numIfEiiS2_S2_S2_EEvT2_20rocsparse_direction_NS_24const_host_device_scalarIT0_EES3_PKS3_PKT1_SC_S9_PKT3_PKT4_S7_PT5_21rocsparse_index_base_b
	.p2align	8
	.type	_ZN9rocsparseL20bsrxmvn_17_32_kernelILj26E21rocsparse_complex_numIfEiiS2_S2_S2_EEvT2_20rocsparse_direction_NS_24const_host_device_scalarIT0_EES3_PKS3_PKT1_SC_S9_PKT3_PKT4_S7_PT5_21rocsparse_index_base_b,@function
_ZN9rocsparseL20bsrxmvn_17_32_kernelILj26E21rocsparse_complex_numIfEiiS2_S2_S2_EEvT2_20rocsparse_direction_NS_24const_host_device_scalarIT0_EES3_PKS3_PKT1_SC_S9_PKT3_PKT4_S7_PT5_21rocsparse_index_base_b: ; @_ZN9rocsparseL20bsrxmvn_17_32_kernelILj26E21rocsparse_complex_numIfEiiS2_S2_S2_EEvT2_20rocsparse_direction_NS_24const_host_device_scalarIT0_EES3_PKS3_PKT1_SC_S9_PKT3_PKT4_S7_PT5_21rocsparse_index_base_b
; %bb.0:
	s_load_dwordx2 s[0:1], s[4:5], 0x8
	s_load_dwordx2 s[14:15], s[4:5], 0x58
	s_add_u32 s7, s4, 8
	s_addc_u32 s8, s5, 0
	s_add_u32 s9, s4, 0x48
	s_load_dwordx2 s[2:3], s[4:5], 0x48
	s_addc_u32 s10, s5, 0
	s_waitcnt lgkmcnt(0)
	s_bitcmp1_b32 s15, 0
	s_cselect_b32 s1, s8, s1
	s_cselect_b32 s0, s7, s0
	v_mov_b32_e32 v1, s0
	v_mov_b32_e32 v2, s1
	flat_load_dwordx2 v[3:4], v[1:2]
	s_cselect_b32 s0, s10, s3
	s_cselect_b32 s1, s9, s2
	v_mov_b32_e32 v1, s1
	v_mov_b32_e32 v2, s0
	flat_load_dwordx2 v[1:2], v[1:2]
	s_waitcnt vmcnt(0) lgkmcnt(0)
	v_cmp_eq_f32_e32 vcc, 0, v3
	v_cmp_eq_f32_e64 s[0:1], 0, v4
	s_and_b64 s[8:9], vcc, s[0:1]
	s_mov_b64 s[0:1], -1
	s_and_saveexec_b64 s[2:3], s[8:9]
; %bb.1:
	v_cmp_neq_f32_e32 vcc, 1.0, v1
	v_cmp_neq_f32_e64 s[0:1], 0, v2
	s_or_b64 s[0:1], vcc, s[0:1]
	s_orn2_b64 s[0:1], s[0:1], exec
; %bb.2:
	s_or_b64 exec, exec, s[2:3]
	s_and_saveexec_b64 s[2:3], s[0:1]
	s_cbranch_execz .LBB41_39
; %bb.3:
	s_load_dwordx4 s[0:3], s[4:5], 0x18
	s_load_dwordx2 s[8:9], s[4:5], 0x28
	s_waitcnt lgkmcnt(0)
	s_cmp_eq_u64 s[0:1], 0
	s_cbranch_scc1 .LBB41_5
; %bb.4:
	s_ashr_i32 s7, s6, 31
	s_lshl_b64 s[6:7], s[6:7], 2
	s_add_u32 s0, s0, s6
	s_addc_u32 s1, s1, s7
	s_load_dword s0, s[0:1], 0x0
	s_waitcnt lgkmcnt(0)
	s_sub_i32 s6, s0, s14
.LBB41_5:
	s_load_dword s0, s[4:5], 0x4
	s_load_dwordx2 s[12:13], s[4:5], 0x50
	v_mul_u32_u24_e32 v7, 0x9d9, v0
	v_mov_b32_e32 v5, 26
	v_mul_lo_u16_sdwa v5, v7, v5 dst_sel:DWORD dst_unused:UNUSED_PAD src0_sel:WORD_1 src1_sel:DWORD
	s_waitcnt lgkmcnt(0)
	s_cmp_eq_u32 s0, 1
	s_cselect_b64 vcc, -1, 0
	s_cmp_lg_u32 s0, 1
	s_cselect_b64 s[16:17], -1, 0
	s_ashr_i32 s7, s6, 31
	s_lshl_b64 s[0:1], s[6:7], 2
	s_add_u32 s2, s2, s0
	s_addc_u32 s3, s3, s1
	s_load_dword s7, s[2:3], 0x0
	s_add_u32 s2, s2, 4
	s_addc_u32 s3, s3, 0
	s_add_u32 s0, s8, s0
	s_addc_u32 s1, s9, s1
	s_cmp_eq_u64 s[8:9], 0
	s_cselect_b32 s1, s3, s1
	s_cselect_b32 s0, s2, s0
	s_load_dword s0, s[0:1], 0x0
	v_sub_u16_e32 v13, v0, v5
	v_mov_b32_e32 v6, 0
	v_lshlrev_b32_e32 v12, 3, v0
	v_mov_b32_e32 v5, 0
	s_waitcnt lgkmcnt(0)
	s_cmp_ge_i32 s7, s0
	s_cbranch_scc1 .LBB41_10
; %bb.6:
	s_load_dwordx4 s[8:11], s[4:5], 0x30
	s_load_dwordx2 s[2:3], s[4:5], 0x40
	s_sub_i32 s4, s0, s14
	s_mov_b32 s0, 0xffff
	s_movk_i32 s1, 0x2a4
	v_and_b32_sdwa v5, s0, v7 dst_sel:DWORD dst_unused:UNUSED_PAD src0_sel:DWORD src1_sel:WORD_1
	v_subrev_u32_e32 v6, 26, v5
	v_cmp_gt_u32_e64 s[0:1], s1, v0
	s_sub_i32 s5, s7, s14
	v_cndmask_b32_e64 v5, v6, v5, s[0:1]
	s_mul_i32 s1, s5, 0x1520
	s_mul_hi_i32 s0, s5, 0x1520
	s_waitcnt lgkmcnt(0)
	s_add_u32 s1, s10, s1
	s_addc_u32 s0, s11, s0
	v_cndmask_b32_e32 v7, v13, v5, vcc
	v_mov_b32_e32 v5, s0
	v_add_co_u32_e32 v8, vcc, s1, v12
	v_addc_co_u32_e32 v9, vcc, 0, v5, vcc
	s_movk_i32 s0, 0x2a3
	v_mov_b32_e32 v6, 0
	v_cmp_lt_u32_e32 vcc, s0, v0
	v_cndmask_b32_e64 v14, 0, 1, vcc
	v_mov_b32_e32 v5, v6
	s_branch .LBB41_8
.LBB41_7:                               ;   in Loop: Header=BB41_8 Depth=1
	s_or_b64 exec, exec, s[0:1]
	s_add_i32 s5, s5, 1
	s_cmp_lt_i32 s5, s4
	s_cbranch_scc0 .LBB41_10
.LBB41_8:                               ; =>This Inner Loop Header: Depth=1
	v_add_u32_e32 v10, s5, v14
	v_cmp_gt_i32_e32 vcc, s4, v10
	s_and_saveexec_b64 s[0:1], vcc
	s_cbranch_execz .LBB41_7
; %bb.9:                                ;   in Loop: Header=BB41_8 Depth=1
	v_ashrrev_i32_e32 v11, 31, v10
	v_lshlrev_b64 v[10:11], 2, v[10:11]
	v_mov_b32_e32 v15, s9
	v_add_co_u32_e32 v10, vcc, s8, v10
	v_addc_co_u32_e32 v11, vcc, v15, v11, vcc
	global_load_dword v10, v[10:11], off
	v_mov_b32_e32 v17, s3
	global_load_dwordx2 v[15:16], v[8:9], off
	s_waitcnt vmcnt(1)
	v_subrev_u32_e32 v10, s14, v10
	v_mad_u64_u32 v[10:11], s[10:11], v10, 26, v[7:8]
	v_ashrrev_i32_e32 v11, 31, v10
	v_lshlrev_b64 v[10:11], 3, v[10:11]
	v_add_co_u32_e32 v10, vcc, s2, v10
	v_addc_co_u32_e32 v11, vcc, v17, v11, vcc
	global_load_dwordx2 v[10:11], v[10:11], off
	v_add_co_u32_e32 v8, vcc, 0x1520, v8
	v_addc_co_u32_e32 v9, vcc, 0, v9, vcc
	s_waitcnt vmcnt(0)
	v_fmac_f32_e32 v5, v15, v10
	v_fmac_f32_e32 v6, v16, v10
	v_fma_f32 v5, -v16, v11, v5
	v_fmac_f32_e32 v6, v15, v11
	s_branch .LBB41_7
.LBB41_10:
	s_and_b64 vcc, exec, s[16:17]
	ds_write_b64 v12, v[5:6]
	s_waitcnt lgkmcnt(0)
	s_barrier
	s_cbranch_vccz .LBB41_22
; %bb.11:
	v_cmp_gt_u16_e32 vcc, 10, v13
	s_and_saveexec_b64 s[0:1], vcc
	s_cbranch_execz .LBB41_13
; %bb.12:
	ds_read2_b64 v[7:10], v12 offset1:16
	s_waitcnt lgkmcnt(0)
	v_add_f32_e32 v7, v9, v7
	v_add_f32_e32 v8, v10, v8
	ds_write_b64 v12, v[7:8]
.LBB41_13:
	s_or_b64 exec, exec, s[0:1]
	v_cmp_gt_u16_e32 vcc, 8, v13
	s_waitcnt lgkmcnt(0)
	s_barrier
	s_and_saveexec_b64 s[0:1], vcc
	s_cbranch_execz .LBB41_15
; %bb.14:
	ds_read2_b64 v[7:10], v12 offset1:8
	s_waitcnt lgkmcnt(0)
	v_add_f32_e32 v7, v9, v7
	v_add_f32_e32 v8, v10, v8
	ds_write_b64 v12, v[7:8]
.LBB41_15:
	s_or_b64 exec, exec, s[0:1]
	v_cmp_gt_u16_e32 vcc, 4, v13
	s_waitcnt lgkmcnt(0)
	s_barrier
	s_and_saveexec_b64 s[0:1], vcc
	s_cbranch_execz .LBB41_17
; %bb.16:
	ds_read2_b64 v[7:10], v12 offset1:4
	s_waitcnt lgkmcnt(0)
	v_add_f32_e32 v7, v9, v7
	v_add_f32_e32 v8, v10, v8
	ds_write_b64 v12, v[7:8]
.LBB41_17:
	s_or_b64 exec, exec, s[0:1]
	v_cmp_gt_u16_e32 vcc, 2, v13
	s_waitcnt lgkmcnt(0)
	s_barrier
	s_and_saveexec_b64 s[0:1], vcc
	s_cbranch_execz .LBB41_19
; %bb.18:
	ds_read2_b64 v[7:10], v12 offset1:2
	s_waitcnt lgkmcnt(0)
	v_add_f32_e32 v7, v9, v7
	v_add_f32_e32 v8, v10, v8
	ds_write_b64 v12, v[7:8]
.LBB41_19:
	s_or_b64 exec, exec, s[0:1]
	v_cmp_gt_u32_e32 vcc, 26, v0
	v_mov_b32_e32 v8, v6
	v_mov_b32_e32 v7, v5
	s_waitcnt lgkmcnt(0)
	s_barrier
	s_and_saveexec_b64 s[0:1], vcc
	s_cbranch_execz .LBB41_21
; %bb.20:
	s_movk_i32 s2, 0xc8
	v_mad_u32_u24 v7, v0, s2, v12
	ds_read2_b64 v[7:10], v7 offset1:1
	s_waitcnt lgkmcnt(0)
	v_add_f32_e32 v7, v9, v7
	v_add_f32_e32 v8, v10, v8
.LBB41_21:
	s_or_b64 exec, exec, s[0:1]
	s_branch .LBB41_34
.LBB41_22:
                                        ; implicit-def: $vgpr8
                                        ; implicit-def: $vgpr7
	s_cbranch_execz .LBB41_34
; %bb.23:
	s_movk_i32 s0, 0x104
	v_cmp_gt_u32_e32 vcc, s0, v0
	s_and_saveexec_b64 s[0:1], vcc
	s_cbranch_execz .LBB41_25
; %bb.24:
	ds_read_b64 v[7:8], v12 offset:3328
	ds_read_b64 v[9:10], v12
	s_waitcnt lgkmcnt(0)
	v_add_f32_e32 v7, v7, v9
	v_add_f32_e32 v8, v8, v10
	ds_write_b64 v12, v[7:8]
.LBB41_25:
	s_or_b64 exec, exec, s[0:1]
	s_movk_i32 s0, 0xd0
	v_cmp_gt_u32_e32 vcc, s0, v0
	s_waitcnt lgkmcnt(0)
	s_barrier
	s_and_saveexec_b64 s[0:1], vcc
	s_cbranch_execz .LBB41_27
; %bb.26:
	ds_read2_b64 v[7:10], v12 offset1:208
	s_waitcnt lgkmcnt(0)
	v_add_f32_e32 v7, v9, v7
	v_add_f32_e32 v8, v10, v8
	ds_write_b64 v12, v[7:8]
.LBB41_27:
	s_or_b64 exec, exec, s[0:1]
	s_movk_i32 s0, 0x68
	v_cmp_gt_u32_e32 vcc, s0, v0
	s_waitcnt lgkmcnt(0)
	s_barrier
	s_and_saveexec_b64 s[0:1], vcc
	s_cbranch_execz .LBB41_29
; %bb.28:
	ds_read2_b64 v[7:10], v12 offset1:104
	s_waitcnt lgkmcnt(0)
	v_add_f32_e32 v7, v9, v7
	v_add_f32_e32 v8, v10, v8
	ds_write_b64 v12, v[7:8]
.LBB41_29:
	s_or_b64 exec, exec, s[0:1]
	v_cmp_gt_u32_e32 vcc, 52, v0
	s_waitcnt lgkmcnt(0)
	s_barrier
	s_and_saveexec_b64 s[0:1], vcc
	s_cbranch_execz .LBB41_31
; %bb.30:
	ds_read2_b64 v[7:10], v12 offset1:52
	s_waitcnt lgkmcnt(0)
	v_add_f32_e32 v7, v9, v7
	v_add_f32_e32 v8, v10, v8
	ds_write_b64 v12, v[7:8]
.LBB41_31:
	s_or_b64 exec, exec, s[0:1]
	v_cmp_gt_u32_e32 vcc, 26, v0
	s_waitcnt lgkmcnt(0)
	s_and_saveexec_b64 s[0:1], vcc
	s_cbranch_execz .LBB41_33
; %bb.32:
	ds_read2_b64 v[5:8], v12 offset1:26
	s_waitcnt lgkmcnt(0)
	v_add_f32_e32 v5, v7, v5
	v_add_f32_e32 v6, v8, v6
.LBB41_33:
	s_or_b64 exec, exec, s[0:1]
	v_mov_b32_e32 v8, v6
	v_mov_b32_e32 v7, v5
.LBB41_34:
	v_cmp_gt_u32_e32 vcc, 26, v0
	s_and_b64 exec, exec, vcc
	s_cbranch_execz .LBB41_39
; %bb.35:
	v_cmp_eq_f32_e32 vcc, 0, v1
	v_cmp_eq_f32_e64 s[0:1], 0, v2
	v_mul_f32_e64 v5, v8, -v4
	v_mul_f32_e32 v6, v3, v8
	s_and_b64 s[0:1], vcc, s[0:1]
	v_fmac_f32_e32 v5, v3, v7
	v_fmac_f32_e32 v6, v4, v7
	s_and_saveexec_b64 s[2:3], s[0:1]
	s_xor_b64 s[0:1], exec, s[2:3]
	s_cbranch_execz .LBB41_37
; %bb.36:
	v_mad_u64_u32 v[0:1], s[2:3], s6, 26, v[0:1]
	v_mov_b32_e32 v1, 0
	v_mov_b32_e32 v2, s13
	v_lshlrev_b64 v[0:1], 3, v[0:1]
	v_add_co_u32_e32 v0, vcc, s12, v0
	v_addc_co_u32_e32 v1, vcc, v2, v1, vcc
	global_store_dwordx2 v[0:1], v[5:6], off
                                        ; implicit-def: $vgpr0
                                        ; implicit-def: $vgpr1_vgpr2
                                        ; implicit-def: $vgpr5
.LBB41_37:
	s_andn2_saveexec_b64 s[0:1], s[0:1]
	s_cbranch_execz .LBB41_39
; %bb.38:
	v_mad_u64_u32 v[3:4], s[0:1], s6, 26, v[0:1]
	v_mov_b32_e32 v4, 0
	v_mov_b32_e32 v0, s13
	v_lshlrev_b64 v[3:4], 3, v[3:4]
	v_add_co_u32_e32 v3, vcc, s12, v3
	v_addc_co_u32_e32 v4, vcc, v0, v4, vcc
	global_load_dwordx2 v[7:8], v[3:4], off
	s_waitcnt vmcnt(0)
	v_fmac_f32_e32 v5, v1, v7
	v_fmac_f32_e32 v6, v2, v7
	v_fma_f32 v5, -v2, v8, v5
	v_fmac_f32_e32 v6, v1, v8
	global_store_dwordx2 v[3:4], v[5:6], off
.LBB41_39:
	s_endpgm
	.section	.rodata,"a",@progbits
	.p2align	6, 0x0
	.amdhsa_kernel _ZN9rocsparseL20bsrxmvn_17_32_kernelILj26E21rocsparse_complex_numIfEiiS2_S2_S2_EEvT2_20rocsparse_direction_NS_24const_host_device_scalarIT0_EES3_PKS3_PKT1_SC_S9_PKT3_PKT4_S7_PT5_21rocsparse_index_base_b
		.amdhsa_group_segment_fixed_size 5408
		.amdhsa_private_segment_fixed_size 0
		.amdhsa_kernarg_size 96
		.amdhsa_user_sgpr_count 6
		.amdhsa_user_sgpr_private_segment_buffer 1
		.amdhsa_user_sgpr_dispatch_ptr 0
		.amdhsa_user_sgpr_queue_ptr 0
		.amdhsa_user_sgpr_kernarg_segment_ptr 1
		.amdhsa_user_sgpr_dispatch_id 0
		.amdhsa_user_sgpr_flat_scratch_init 0
		.amdhsa_user_sgpr_private_segment_size 0
		.amdhsa_uses_dynamic_stack 0
		.amdhsa_system_sgpr_private_segment_wavefront_offset 0
		.amdhsa_system_sgpr_workgroup_id_x 1
		.amdhsa_system_sgpr_workgroup_id_y 0
		.amdhsa_system_sgpr_workgroup_id_z 0
		.amdhsa_system_sgpr_workgroup_info 0
		.amdhsa_system_vgpr_workitem_id 0
		.amdhsa_next_free_vgpr 25
		.amdhsa_next_free_sgpr 61
		.amdhsa_reserve_vcc 1
		.amdhsa_reserve_flat_scratch 0
		.amdhsa_float_round_mode_32 0
		.amdhsa_float_round_mode_16_64 0
		.amdhsa_float_denorm_mode_32 3
		.amdhsa_float_denorm_mode_16_64 3
		.amdhsa_dx10_clamp 1
		.amdhsa_ieee_mode 1
		.amdhsa_fp16_overflow 0
		.amdhsa_exception_fp_ieee_invalid_op 0
		.amdhsa_exception_fp_denorm_src 0
		.amdhsa_exception_fp_ieee_div_zero 0
		.amdhsa_exception_fp_ieee_overflow 0
		.amdhsa_exception_fp_ieee_underflow 0
		.amdhsa_exception_fp_ieee_inexact 0
		.amdhsa_exception_int_div_zero 0
	.end_amdhsa_kernel
	.section	.text._ZN9rocsparseL20bsrxmvn_17_32_kernelILj26E21rocsparse_complex_numIfEiiS2_S2_S2_EEvT2_20rocsparse_direction_NS_24const_host_device_scalarIT0_EES3_PKS3_PKT1_SC_S9_PKT3_PKT4_S7_PT5_21rocsparse_index_base_b,"axG",@progbits,_ZN9rocsparseL20bsrxmvn_17_32_kernelILj26E21rocsparse_complex_numIfEiiS2_S2_S2_EEvT2_20rocsparse_direction_NS_24const_host_device_scalarIT0_EES3_PKS3_PKT1_SC_S9_PKT3_PKT4_S7_PT5_21rocsparse_index_base_b,comdat
.Lfunc_end41:
	.size	_ZN9rocsparseL20bsrxmvn_17_32_kernelILj26E21rocsparse_complex_numIfEiiS2_S2_S2_EEvT2_20rocsparse_direction_NS_24const_host_device_scalarIT0_EES3_PKS3_PKT1_SC_S9_PKT3_PKT4_S7_PT5_21rocsparse_index_base_b, .Lfunc_end41-_ZN9rocsparseL20bsrxmvn_17_32_kernelILj26E21rocsparse_complex_numIfEiiS2_S2_S2_EEvT2_20rocsparse_direction_NS_24const_host_device_scalarIT0_EES3_PKS3_PKT1_SC_S9_PKT3_PKT4_S7_PT5_21rocsparse_index_base_b
                                        ; -- End function
	.set _ZN9rocsparseL20bsrxmvn_17_32_kernelILj26E21rocsparse_complex_numIfEiiS2_S2_S2_EEvT2_20rocsparse_direction_NS_24const_host_device_scalarIT0_EES3_PKS3_PKT1_SC_S9_PKT3_PKT4_S7_PT5_21rocsparse_index_base_b.num_vgpr, 18
	.set _ZN9rocsparseL20bsrxmvn_17_32_kernelILj26E21rocsparse_complex_numIfEiiS2_S2_S2_EEvT2_20rocsparse_direction_NS_24const_host_device_scalarIT0_EES3_PKS3_PKT1_SC_S9_PKT3_PKT4_S7_PT5_21rocsparse_index_base_b.num_agpr, 0
	.set _ZN9rocsparseL20bsrxmvn_17_32_kernelILj26E21rocsparse_complex_numIfEiiS2_S2_S2_EEvT2_20rocsparse_direction_NS_24const_host_device_scalarIT0_EES3_PKS3_PKT1_SC_S9_PKT3_PKT4_S7_PT5_21rocsparse_index_base_b.numbered_sgpr, 18
	.set _ZN9rocsparseL20bsrxmvn_17_32_kernelILj26E21rocsparse_complex_numIfEiiS2_S2_S2_EEvT2_20rocsparse_direction_NS_24const_host_device_scalarIT0_EES3_PKS3_PKT1_SC_S9_PKT3_PKT4_S7_PT5_21rocsparse_index_base_b.num_named_barrier, 0
	.set _ZN9rocsparseL20bsrxmvn_17_32_kernelILj26E21rocsparse_complex_numIfEiiS2_S2_S2_EEvT2_20rocsparse_direction_NS_24const_host_device_scalarIT0_EES3_PKS3_PKT1_SC_S9_PKT3_PKT4_S7_PT5_21rocsparse_index_base_b.private_seg_size, 0
	.set _ZN9rocsparseL20bsrxmvn_17_32_kernelILj26E21rocsparse_complex_numIfEiiS2_S2_S2_EEvT2_20rocsparse_direction_NS_24const_host_device_scalarIT0_EES3_PKS3_PKT1_SC_S9_PKT3_PKT4_S7_PT5_21rocsparse_index_base_b.uses_vcc, 1
	.set _ZN9rocsparseL20bsrxmvn_17_32_kernelILj26E21rocsparse_complex_numIfEiiS2_S2_S2_EEvT2_20rocsparse_direction_NS_24const_host_device_scalarIT0_EES3_PKS3_PKT1_SC_S9_PKT3_PKT4_S7_PT5_21rocsparse_index_base_b.uses_flat_scratch, 0
	.set _ZN9rocsparseL20bsrxmvn_17_32_kernelILj26E21rocsparse_complex_numIfEiiS2_S2_S2_EEvT2_20rocsparse_direction_NS_24const_host_device_scalarIT0_EES3_PKS3_PKT1_SC_S9_PKT3_PKT4_S7_PT5_21rocsparse_index_base_b.has_dyn_sized_stack, 0
	.set _ZN9rocsparseL20bsrxmvn_17_32_kernelILj26E21rocsparse_complex_numIfEiiS2_S2_S2_EEvT2_20rocsparse_direction_NS_24const_host_device_scalarIT0_EES3_PKS3_PKT1_SC_S9_PKT3_PKT4_S7_PT5_21rocsparse_index_base_b.has_recursion, 0
	.set _ZN9rocsparseL20bsrxmvn_17_32_kernelILj26E21rocsparse_complex_numIfEiiS2_S2_S2_EEvT2_20rocsparse_direction_NS_24const_host_device_scalarIT0_EES3_PKS3_PKT1_SC_S9_PKT3_PKT4_S7_PT5_21rocsparse_index_base_b.has_indirect_call, 0
	.section	.AMDGPU.csdata,"",@progbits
; Kernel info:
; codeLenInByte = 1408
; TotalNumSgprs: 22
; NumVgprs: 18
; ScratchSize: 0
; MemoryBound: 0
; FloatMode: 240
; IeeeMode: 1
; LDSByteSize: 5408 bytes/workgroup (compile time only)
; SGPRBlocks: 8
; VGPRBlocks: 6
; NumSGPRsForWavesPerEU: 65
; NumVGPRsForWavesPerEU: 25
; Occupancy: 9
; WaveLimiterHint : 1
; COMPUTE_PGM_RSRC2:SCRATCH_EN: 0
; COMPUTE_PGM_RSRC2:USER_SGPR: 6
; COMPUTE_PGM_RSRC2:TRAP_HANDLER: 0
; COMPUTE_PGM_RSRC2:TGID_X_EN: 1
; COMPUTE_PGM_RSRC2:TGID_Y_EN: 0
; COMPUTE_PGM_RSRC2:TGID_Z_EN: 0
; COMPUTE_PGM_RSRC2:TIDIG_COMP_CNT: 0
	.section	.text._ZN9rocsparseL20bsrxmvn_17_32_kernelILj27E21rocsparse_complex_numIfEiiS2_S2_S2_EEvT2_20rocsparse_direction_NS_24const_host_device_scalarIT0_EES3_PKS3_PKT1_SC_S9_PKT3_PKT4_S7_PT5_21rocsparse_index_base_b,"axG",@progbits,_ZN9rocsparseL20bsrxmvn_17_32_kernelILj27E21rocsparse_complex_numIfEiiS2_S2_S2_EEvT2_20rocsparse_direction_NS_24const_host_device_scalarIT0_EES3_PKS3_PKT1_SC_S9_PKT3_PKT4_S7_PT5_21rocsparse_index_base_b,comdat
	.globl	_ZN9rocsparseL20bsrxmvn_17_32_kernelILj27E21rocsparse_complex_numIfEiiS2_S2_S2_EEvT2_20rocsparse_direction_NS_24const_host_device_scalarIT0_EES3_PKS3_PKT1_SC_S9_PKT3_PKT4_S7_PT5_21rocsparse_index_base_b ; -- Begin function _ZN9rocsparseL20bsrxmvn_17_32_kernelILj27E21rocsparse_complex_numIfEiiS2_S2_S2_EEvT2_20rocsparse_direction_NS_24const_host_device_scalarIT0_EES3_PKS3_PKT1_SC_S9_PKT3_PKT4_S7_PT5_21rocsparse_index_base_b
	.p2align	8
	.type	_ZN9rocsparseL20bsrxmvn_17_32_kernelILj27E21rocsparse_complex_numIfEiiS2_S2_S2_EEvT2_20rocsparse_direction_NS_24const_host_device_scalarIT0_EES3_PKS3_PKT1_SC_S9_PKT3_PKT4_S7_PT5_21rocsparse_index_base_b,@function
_ZN9rocsparseL20bsrxmvn_17_32_kernelILj27E21rocsparse_complex_numIfEiiS2_S2_S2_EEvT2_20rocsparse_direction_NS_24const_host_device_scalarIT0_EES3_PKS3_PKT1_SC_S9_PKT3_PKT4_S7_PT5_21rocsparse_index_base_b: ; @_ZN9rocsparseL20bsrxmvn_17_32_kernelILj27E21rocsparse_complex_numIfEiiS2_S2_S2_EEvT2_20rocsparse_direction_NS_24const_host_device_scalarIT0_EES3_PKS3_PKT1_SC_S9_PKT3_PKT4_S7_PT5_21rocsparse_index_base_b
; %bb.0:
	s_load_dwordx2 s[0:1], s[4:5], 0x8
	s_load_dwordx2 s[14:15], s[4:5], 0x58
	s_add_u32 s7, s4, 8
	s_addc_u32 s8, s5, 0
	s_add_u32 s9, s4, 0x48
	s_load_dwordx2 s[2:3], s[4:5], 0x48
	s_addc_u32 s10, s5, 0
	s_waitcnt lgkmcnt(0)
	s_bitcmp1_b32 s15, 0
	s_cselect_b32 s1, s8, s1
	s_cselect_b32 s0, s7, s0
	v_mov_b32_e32 v1, s0
	v_mov_b32_e32 v2, s1
	flat_load_dwordx2 v[3:4], v[1:2]
	s_cselect_b32 s0, s10, s3
	s_cselect_b32 s1, s9, s2
	v_mov_b32_e32 v1, s1
	v_mov_b32_e32 v2, s0
	flat_load_dwordx2 v[1:2], v[1:2]
	s_waitcnt vmcnt(0) lgkmcnt(0)
	v_cmp_eq_f32_e32 vcc, 0, v3
	v_cmp_eq_f32_e64 s[0:1], 0, v4
	s_and_b64 s[8:9], vcc, s[0:1]
	s_mov_b64 s[0:1], -1
	s_and_saveexec_b64 s[2:3], s[8:9]
; %bb.1:
	v_cmp_neq_f32_e32 vcc, 1.0, v1
	v_cmp_neq_f32_e64 s[0:1], 0, v2
	s_or_b64 s[0:1], vcc, s[0:1]
	s_orn2_b64 s[0:1], s[0:1], exec
; %bb.2:
	s_or_b64 exec, exec, s[2:3]
	s_and_saveexec_b64 s[2:3], s[0:1]
	s_cbranch_execz .LBB42_39
; %bb.3:
	s_load_dwordx4 s[0:3], s[4:5], 0x18
	s_load_dwordx2 s[8:9], s[4:5], 0x28
	s_waitcnt lgkmcnt(0)
	s_cmp_eq_u64 s[0:1], 0
	s_cbranch_scc1 .LBB42_5
; %bb.4:
	s_ashr_i32 s7, s6, 31
	s_lshl_b64 s[6:7], s[6:7], 2
	s_add_u32 s0, s0, s6
	s_addc_u32 s1, s1, s7
	s_load_dword s0, s[0:1], 0x0
	s_waitcnt lgkmcnt(0)
	s_sub_i32 s6, s0, s14
.LBB42_5:
	s_load_dword s0, s[4:5], 0x4
	s_load_dwordx2 s[12:13], s[4:5], 0x50
	v_mul_u32_u24_e32 v7, 0x97c, v0
	v_mov_b32_e32 v5, 27
	v_mul_lo_u16_sdwa v5, v7, v5 dst_sel:DWORD dst_unused:UNUSED_PAD src0_sel:WORD_1 src1_sel:DWORD
	s_waitcnt lgkmcnt(0)
	s_cmp_eq_u32 s0, 1
	s_cselect_b64 vcc, -1, 0
	s_cmp_lg_u32 s0, 1
	s_cselect_b64 s[16:17], -1, 0
	s_ashr_i32 s7, s6, 31
	s_lshl_b64 s[0:1], s[6:7], 2
	s_add_u32 s2, s2, s0
	s_addc_u32 s3, s3, s1
	s_load_dword s7, s[2:3], 0x0
	s_add_u32 s2, s2, 4
	s_addc_u32 s3, s3, 0
	s_add_u32 s0, s8, s0
	s_addc_u32 s1, s9, s1
	s_cmp_eq_u64 s[8:9], 0
	s_cselect_b32 s1, s3, s1
	s_cselect_b32 s0, s2, s0
	s_load_dword s0, s[0:1], 0x0
	v_sub_u16_e32 v13, v0, v5
	v_mov_b32_e32 v6, 0
	v_lshlrev_b32_e32 v12, 3, v0
	v_mov_b32_e32 v5, 0
	s_waitcnt lgkmcnt(0)
	s_cmp_ge_i32 s7, s0
	s_cbranch_scc1 .LBB42_10
; %bb.6:
	s_load_dwordx4 s[8:11], s[4:5], 0x30
	s_load_dwordx2 s[2:3], s[4:5], 0x40
	s_sub_i32 s4, s0, s14
	s_mov_b32 s0, 0xffff
	s_movk_i32 s1, 0x2d9
	v_and_b32_sdwa v5, s0, v7 dst_sel:DWORD dst_unused:UNUSED_PAD src0_sel:DWORD src1_sel:WORD_1
	v_subrev_u32_e32 v6, 27, v5
	v_cmp_gt_u32_e64 s[0:1], s1, v0
	s_sub_i32 s5, s7, s14
	v_cndmask_b32_e64 v5, v6, v5, s[0:1]
	s_mul_i32 s1, s5, 0x16c8
	s_mul_hi_i32 s0, s5, 0x16c8
	s_waitcnt lgkmcnt(0)
	s_add_u32 s1, s10, s1
	s_addc_u32 s0, s11, s0
	v_cndmask_b32_e32 v7, v13, v5, vcc
	v_mov_b32_e32 v5, s0
	v_add_co_u32_e32 v8, vcc, s1, v12
	v_addc_co_u32_e32 v9, vcc, 0, v5, vcc
	s_movk_i32 s0, 0x2d8
	v_mov_b32_e32 v6, 0
	v_cmp_lt_u32_e32 vcc, s0, v0
	v_cndmask_b32_e64 v14, 0, 1, vcc
	v_mov_b32_e32 v5, v6
	s_branch .LBB42_8
.LBB42_7:                               ;   in Loop: Header=BB42_8 Depth=1
	s_or_b64 exec, exec, s[0:1]
	s_add_i32 s5, s5, 1
	s_cmp_lt_i32 s5, s4
	s_cbranch_scc0 .LBB42_10
.LBB42_8:                               ; =>This Inner Loop Header: Depth=1
	v_add_u32_e32 v10, s5, v14
	v_cmp_gt_i32_e32 vcc, s4, v10
	s_and_saveexec_b64 s[0:1], vcc
	s_cbranch_execz .LBB42_7
; %bb.9:                                ;   in Loop: Header=BB42_8 Depth=1
	v_ashrrev_i32_e32 v11, 31, v10
	v_lshlrev_b64 v[10:11], 2, v[10:11]
	v_mov_b32_e32 v15, s9
	v_add_co_u32_e32 v10, vcc, s8, v10
	v_addc_co_u32_e32 v11, vcc, v15, v11, vcc
	global_load_dword v10, v[10:11], off
	v_mov_b32_e32 v17, s3
	global_load_dwordx2 v[15:16], v[8:9], off
	s_waitcnt vmcnt(1)
	v_subrev_u32_e32 v10, s14, v10
	v_mad_u64_u32 v[10:11], s[10:11], v10, 27, v[7:8]
	v_ashrrev_i32_e32 v11, 31, v10
	v_lshlrev_b64 v[10:11], 3, v[10:11]
	v_add_co_u32_e32 v10, vcc, s2, v10
	v_addc_co_u32_e32 v11, vcc, v17, v11, vcc
	global_load_dwordx2 v[10:11], v[10:11], off
	v_add_co_u32_e32 v8, vcc, 0x16c8, v8
	v_addc_co_u32_e32 v9, vcc, 0, v9, vcc
	s_waitcnt vmcnt(0)
	v_fmac_f32_e32 v5, v15, v10
	v_fmac_f32_e32 v6, v16, v10
	v_fma_f32 v5, -v16, v11, v5
	v_fmac_f32_e32 v6, v15, v11
	s_branch .LBB42_7
.LBB42_10:
	s_and_b64 vcc, exec, s[16:17]
	ds_write_b64 v12, v[5:6]
	s_waitcnt lgkmcnt(0)
	s_barrier
	s_cbranch_vccz .LBB42_22
; %bb.11:
	v_cmp_gt_u16_e32 vcc, 11, v13
	s_and_saveexec_b64 s[0:1], vcc
	s_cbranch_execz .LBB42_13
; %bb.12:
	ds_read2_b64 v[7:10], v12 offset1:16
	s_waitcnt lgkmcnt(0)
	v_add_f32_e32 v7, v9, v7
	v_add_f32_e32 v8, v10, v8
	ds_write_b64 v12, v[7:8]
.LBB42_13:
	s_or_b64 exec, exec, s[0:1]
	v_cmp_gt_u16_e32 vcc, 8, v13
	s_waitcnt lgkmcnt(0)
	s_barrier
	s_and_saveexec_b64 s[0:1], vcc
	s_cbranch_execz .LBB42_15
; %bb.14:
	ds_read2_b64 v[7:10], v12 offset1:8
	s_waitcnt lgkmcnt(0)
	v_add_f32_e32 v7, v9, v7
	v_add_f32_e32 v8, v10, v8
	ds_write_b64 v12, v[7:8]
.LBB42_15:
	s_or_b64 exec, exec, s[0:1]
	v_cmp_gt_u16_e32 vcc, 4, v13
	s_waitcnt lgkmcnt(0)
	s_barrier
	;; [unrolled: 13-line block ×3, first 2 shown]
	s_and_saveexec_b64 s[0:1], vcc
	s_cbranch_execz .LBB42_19
; %bb.18:
	ds_read2_b64 v[7:10], v12 offset1:2
	s_waitcnt lgkmcnt(0)
	v_add_f32_e32 v7, v9, v7
	v_add_f32_e32 v8, v10, v8
	ds_write_b64 v12, v[7:8]
.LBB42_19:
	s_or_b64 exec, exec, s[0:1]
	v_cmp_gt_u32_e32 vcc, 27, v0
	v_mov_b32_e32 v8, v6
	v_mov_b32_e32 v7, v5
	s_waitcnt lgkmcnt(0)
	s_barrier
	s_and_saveexec_b64 s[0:1], vcc
	s_cbranch_execz .LBB42_21
; %bb.20:
	s_movk_i32 s2, 0xd0
	v_mad_u32_u24 v7, v0, s2, v12
	ds_read2_b64 v[7:10], v7 offset1:1
	s_waitcnt lgkmcnt(0)
	v_add_f32_e32 v7, v9, v7
	v_add_f32_e32 v8, v10, v8
.LBB42_21:
	s_or_b64 exec, exec, s[0:1]
	s_branch .LBB42_34
.LBB42_22:
                                        ; implicit-def: $vgpr8
                                        ; implicit-def: $vgpr7
	s_cbranch_execz .LBB42_34
; %bb.23:
	s_movk_i32 s0, 0x129
	v_cmp_gt_u32_e32 vcc, s0, v0
	s_and_saveexec_b64 s[0:1], vcc
	s_cbranch_execz .LBB42_25
; %bb.24:
	ds_read_b64 v[7:8], v12 offset:3456
	ds_read_b64 v[9:10], v12
	s_waitcnt lgkmcnt(0)
	v_add_f32_e32 v7, v7, v9
	v_add_f32_e32 v8, v8, v10
	ds_write_b64 v12, v[7:8]
.LBB42_25:
	s_or_b64 exec, exec, s[0:1]
	s_movk_i32 s0, 0xd8
	v_cmp_gt_u32_e32 vcc, s0, v0
	s_waitcnt lgkmcnt(0)
	s_barrier
	s_and_saveexec_b64 s[0:1], vcc
	s_cbranch_execz .LBB42_27
; %bb.26:
	ds_read2_b64 v[7:10], v12 offset1:216
	s_waitcnt lgkmcnt(0)
	v_add_f32_e32 v7, v9, v7
	v_add_f32_e32 v8, v10, v8
	ds_write_b64 v12, v[7:8]
.LBB42_27:
	s_or_b64 exec, exec, s[0:1]
	s_movk_i32 s0, 0x6c
	v_cmp_gt_u32_e32 vcc, s0, v0
	s_waitcnt lgkmcnt(0)
	s_barrier
	s_and_saveexec_b64 s[0:1], vcc
	s_cbranch_execz .LBB42_29
; %bb.28:
	ds_read2_b64 v[7:10], v12 offset1:108
	s_waitcnt lgkmcnt(0)
	v_add_f32_e32 v7, v9, v7
	v_add_f32_e32 v8, v10, v8
	ds_write_b64 v12, v[7:8]
.LBB42_29:
	s_or_b64 exec, exec, s[0:1]
	v_cmp_gt_u32_e32 vcc, 54, v0
	s_waitcnt lgkmcnt(0)
	s_barrier
	s_and_saveexec_b64 s[0:1], vcc
	s_cbranch_execz .LBB42_31
; %bb.30:
	ds_read2_b64 v[7:10], v12 offset1:54
	s_waitcnt lgkmcnt(0)
	v_add_f32_e32 v7, v9, v7
	v_add_f32_e32 v8, v10, v8
	ds_write_b64 v12, v[7:8]
.LBB42_31:
	s_or_b64 exec, exec, s[0:1]
	v_cmp_gt_u32_e32 vcc, 27, v0
	s_waitcnt lgkmcnt(0)
	s_and_saveexec_b64 s[0:1], vcc
	s_cbranch_execz .LBB42_33
; %bb.32:
	ds_read2_b64 v[5:8], v12 offset1:27
	s_waitcnt lgkmcnt(0)
	v_add_f32_e32 v5, v7, v5
	v_add_f32_e32 v6, v8, v6
.LBB42_33:
	s_or_b64 exec, exec, s[0:1]
	v_mov_b32_e32 v8, v6
	v_mov_b32_e32 v7, v5
.LBB42_34:
	v_cmp_gt_u32_e32 vcc, 27, v0
	s_and_b64 exec, exec, vcc
	s_cbranch_execz .LBB42_39
; %bb.35:
	v_cmp_eq_f32_e32 vcc, 0, v1
	v_cmp_eq_f32_e64 s[0:1], 0, v2
	v_mul_f32_e64 v5, v8, -v4
	v_mul_f32_e32 v6, v3, v8
	s_and_b64 s[0:1], vcc, s[0:1]
	v_fmac_f32_e32 v5, v3, v7
	v_fmac_f32_e32 v6, v4, v7
	s_and_saveexec_b64 s[2:3], s[0:1]
	s_xor_b64 s[0:1], exec, s[2:3]
	s_cbranch_execz .LBB42_37
; %bb.36:
	v_mad_u64_u32 v[0:1], s[2:3], s6, 27, v[0:1]
	v_mov_b32_e32 v1, 0
	v_mov_b32_e32 v2, s13
	v_lshlrev_b64 v[0:1], 3, v[0:1]
	v_add_co_u32_e32 v0, vcc, s12, v0
	v_addc_co_u32_e32 v1, vcc, v2, v1, vcc
	global_store_dwordx2 v[0:1], v[5:6], off
                                        ; implicit-def: $vgpr0
                                        ; implicit-def: $vgpr1_vgpr2
                                        ; implicit-def: $vgpr5
.LBB42_37:
	s_andn2_saveexec_b64 s[0:1], s[0:1]
	s_cbranch_execz .LBB42_39
; %bb.38:
	v_mad_u64_u32 v[3:4], s[0:1], s6, 27, v[0:1]
	v_mov_b32_e32 v4, 0
	v_mov_b32_e32 v0, s13
	v_lshlrev_b64 v[3:4], 3, v[3:4]
	v_add_co_u32_e32 v3, vcc, s12, v3
	v_addc_co_u32_e32 v4, vcc, v0, v4, vcc
	global_load_dwordx2 v[7:8], v[3:4], off
	s_waitcnt vmcnt(0)
	v_fmac_f32_e32 v5, v1, v7
	v_fmac_f32_e32 v6, v2, v7
	v_fma_f32 v5, -v2, v8, v5
	v_fmac_f32_e32 v6, v1, v8
	global_store_dwordx2 v[3:4], v[5:6], off
.LBB42_39:
	s_endpgm
	.section	.rodata,"a",@progbits
	.p2align	6, 0x0
	.amdhsa_kernel _ZN9rocsparseL20bsrxmvn_17_32_kernelILj27E21rocsparse_complex_numIfEiiS2_S2_S2_EEvT2_20rocsparse_direction_NS_24const_host_device_scalarIT0_EES3_PKS3_PKT1_SC_S9_PKT3_PKT4_S7_PT5_21rocsparse_index_base_b
		.amdhsa_group_segment_fixed_size 5832
		.amdhsa_private_segment_fixed_size 0
		.amdhsa_kernarg_size 96
		.amdhsa_user_sgpr_count 6
		.amdhsa_user_sgpr_private_segment_buffer 1
		.amdhsa_user_sgpr_dispatch_ptr 0
		.amdhsa_user_sgpr_queue_ptr 0
		.amdhsa_user_sgpr_kernarg_segment_ptr 1
		.amdhsa_user_sgpr_dispatch_id 0
		.amdhsa_user_sgpr_flat_scratch_init 0
		.amdhsa_user_sgpr_private_segment_size 0
		.amdhsa_uses_dynamic_stack 0
		.amdhsa_system_sgpr_private_segment_wavefront_offset 0
		.amdhsa_system_sgpr_workgroup_id_x 1
		.amdhsa_system_sgpr_workgroup_id_y 0
		.amdhsa_system_sgpr_workgroup_id_z 0
		.amdhsa_system_sgpr_workgroup_info 0
		.amdhsa_system_vgpr_workitem_id 0
		.amdhsa_next_free_vgpr 25
		.amdhsa_next_free_sgpr 61
		.amdhsa_reserve_vcc 1
		.amdhsa_reserve_flat_scratch 0
		.amdhsa_float_round_mode_32 0
		.amdhsa_float_round_mode_16_64 0
		.amdhsa_float_denorm_mode_32 3
		.amdhsa_float_denorm_mode_16_64 3
		.amdhsa_dx10_clamp 1
		.amdhsa_ieee_mode 1
		.amdhsa_fp16_overflow 0
		.amdhsa_exception_fp_ieee_invalid_op 0
		.amdhsa_exception_fp_denorm_src 0
		.amdhsa_exception_fp_ieee_div_zero 0
		.amdhsa_exception_fp_ieee_overflow 0
		.amdhsa_exception_fp_ieee_underflow 0
		.amdhsa_exception_fp_ieee_inexact 0
		.amdhsa_exception_int_div_zero 0
	.end_amdhsa_kernel
	.section	.text._ZN9rocsparseL20bsrxmvn_17_32_kernelILj27E21rocsparse_complex_numIfEiiS2_S2_S2_EEvT2_20rocsparse_direction_NS_24const_host_device_scalarIT0_EES3_PKS3_PKT1_SC_S9_PKT3_PKT4_S7_PT5_21rocsparse_index_base_b,"axG",@progbits,_ZN9rocsparseL20bsrxmvn_17_32_kernelILj27E21rocsparse_complex_numIfEiiS2_S2_S2_EEvT2_20rocsparse_direction_NS_24const_host_device_scalarIT0_EES3_PKS3_PKT1_SC_S9_PKT3_PKT4_S7_PT5_21rocsparse_index_base_b,comdat
.Lfunc_end42:
	.size	_ZN9rocsparseL20bsrxmvn_17_32_kernelILj27E21rocsparse_complex_numIfEiiS2_S2_S2_EEvT2_20rocsparse_direction_NS_24const_host_device_scalarIT0_EES3_PKS3_PKT1_SC_S9_PKT3_PKT4_S7_PT5_21rocsparse_index_base_b, .Lfunc_end42-_ZN9rocsparseL20bsrxmvn_17_32_kernelILj27E21rocsparse_complex_numIfEiiS2_S2_S2_EEvT2_20rocsparse_direction_NS_24const_host_device_scalarIT0_EES3_PKS3_PKT1_SC_S9_PKT3_PKT4_S7_PT5_21rocsparse_index_base_b
                                        ; -- End function
	.set _ZN9rocsparseL20bsrxmvn_17_32_kernelILj27E21rocsparse_complex_numIfEiiS2_S2_S2_EEvT2_20rocsparse_direction_NS_24const_host_device_scalarIT0_EES3_PKS3_PKT1_SC_S9_PKT3_PKT4_S7_PT5_21rocsparse_index_base_b.num_vgpr, 18
	.set _ZN9rocsparseL20bsrxmvn_17_32_kernelILj27E21rocsparse_complex_numIfEiiS2_S2_S2_EEvT2_20rocsparse_direction_NS_24const_host_device_scalarIT0_EES3_PKS3_PKT1_SC_S9_PKT3_PKT4_S7_PT5_21rocsparse_index_base_b.num_agpr, 0
	.set _ZN9rocsparseL20bsrxmvn_17_32_kernelILj27E21rocsparse_complex_numIfEiiS2_S2_S2_EEvT2_20rocsparse_direction_NS_24const_host_device_scalarIT0_EES3_PKS3_PKT1_SC_S9_PKT3_PKT4_S7_PT5_21rocsparse_index_base_b.numbered_sgpr, 18
	.set _ZN9rocsparseL20bsrxmvn_17_32_kernelILj27E21rocsparse_complex_numIfEiiS2_S2_S2_EEvT2_20rocsparse_direction_NS_24const_host_device_scalarIT0_EES3_PKS3_PKT1_SC_S9_PKT3_PKT4_S7_PT5_21rocsparse_index_base_b.num_named_barrier, 0
	.set _ZN9rocsparseL20bsrxmvn_17_32_kernelILj27E21rocsparse_complex_numIfEiiS2_S2_S2_EEvT2_20rocsparse_direction_NS_24const_host_device_scalarIT0_EES3_PKS3_PKT1_SC_S9_PKT3_PKT4_S7_PT5_21rocsparse_index_base_b.private_seg_size, 0
	.set _ZN9rocsparseL20bsrxmvn_17_32_kernelILj27E21rocsparse_complex_numIfEiiS2_S2_S2_EEvT2_20rocsparse_direction_NS_24const_host_device_scalarIT0_EES3_PKS3_PKT1_SC_S9_PKT3_PKT4_S7_PT5_21rocsparse_index_base_b.uses_vcc, 1
	.set _ZN9rocsparseL20bsrxmvn_17_32_kernelILj27E21rocsparse_complex_numIfEiiS2_S2_S2_EEvT2_20rocsparse_direction_NS_24const_host_device_scalarIT0_EES3_PKS3_PKT1_SC_S9_PKT3_PKT4_S7_PT5_21rocsparse_index_base_b.uses_flat_scratch, 0
	.set _ZN9rocsparseL20bsrxmvn_17_32_kernelILj27E21rocsparse_complex_numIfEiiS2_S2_S2_EEvT2_20rocsparse_direction_NS_24const_host_device_scalarIT0_EES3_PKS3_PKT1_SC_S9_PKT3_PKT4_S7_PT5_21rocsparse_index_base_b.has_dyn_sized_stack, 0
	.set _ZN9rocsparseL20bsrxmvn_17_32_kernelILj27E21rocsparse_complex_numIfEiiS2_S2_S2_EEvT2_20rocsparse_direction_NS_24const_host_device_scalarIT0_EES3_PKS3_PKT1_SC_S9_PKT3_PKT4_S7_PT5_21rocsparse_index_base_b.has_recursion, 0
	.set _ZN9rocsparseL20bsrxmvn_17_32_kernelILj27E21rocsparse_complex_numIfEiiS2_S2_S2_EEvT2_20rocsparse_direction_NS_24const_host_device_scalarIT0_EES3_PKS3_PKT1_SC_S9_PKT3_PKT4_S7_PT5_21rocsparse_index_base_b.has_indirect_call, 0
	.section	.AMDGPU.csdata,"",@progbits
; Kernel info:
; codeLenInByte = 1408
; TotalNumSgprs: 22
; NumVgprs: 18
; ScratchSize: 0
; MemoryBound: 0
; FloatMode: 240
; IeeeMode: 1
; LDSByteSize: 5832 bytes/workgroup (compile time only)
; SGPRBlocks: 8
; VGPRBlocks: 6
; NumSGPRsForWavesPerEU: 65
; NumVGPRsForWavesPerEU: 25
; Occupancy: 9
; WaveLimiterHint : 1
; COMPUTE_PGM_RSRC2:SCRATCH_EN: 0
; COMPUTE_PGM_RSRC2:USER_SGPR: 6
; COMPUTE_PGM_RSRC2:TRAP_HANDLER: 0
; COMPUTE_PGM_RSRC2:TGID_X_EN: 1
; COMPUTE_PGM_RSRC2:TGID_Y_EN: 0
; COMPUTE_PGM_RSRC2:TGID_Z_EN: 0
; COMPUTE_PGM_RSRC2:TIDIG_COMP_CNT: 0
	.section	.text._ZN9rocsparseL20bsrxmvn_17_32_kernelILj28E21rocsparse_complex_numIfEiiS2_S2_S2_EEvT2_20rocsparse_direction_NS_24const_host_device_scalarIT0_EES3_PKS3_PKT1_SC_S9_PKT3_PKT4_S7_PT5_21rocsparse_index_base_b,"axG",@progbits,_ZN9rocsparseL20bsrxmvn_17_32_kernelILj28E21rocsparse_complex_numIfEiiS2_S2_S2_EEvT2_20rocsparse_direction_NS_24const_host_device_scalarIT0_EES3_PKS3_PKT1_SC_S9_PKT3_PKT4_S7_PT5_21rocsparse_index_base_b,comdat
	.globl	_ZN9rocsparseL20bsrxmvn_17_32_kernelILj28E21rocsparse_complex_numIfEiiS2_S2_S2_EEvT2_20rocsparse_direction_NS_24const_host_device_scalarIT0_EES3_PKS3_PKT1_SC_S9_PKT3_PKT4_S7_PT5_21rocsparse_index_base_b ; -- Begin function _ZN9rocsparseL20bsrxmvn_17_32_kernelILj28E21rocsparse_complex_numIfEiiS2_S2_S2_EEvT2_20rocsparse_direction_NS_24const_host_device_scalarIT0_EES3_PKS3_PKT1_SC_S9_PKT3_PKT4_S7_PT5_21rocsparse_index_base_b
	.p2align	8
	.type	_ZN9rocsparseL20bsrxmvn_17_32_kernelILj28E21rocsparse_complex_numIfEiiS2_S2_S2_EEvT2_20rocsparse_direction_NS_24const_host_device_scalarIT0_EES3_PKS3_PKT1_SC_S9_PKT3_PKT4_S7_PT5_21rocsparse_index_base_b,@function
_ZN9rocsparseL20bsrxmvn_17_32_kernelILj28E21rocsparse_complex_numIfEiiS2_S2_S2_EEvT2_20rocsparse_direction_NS_24const_host_device_scalarIT0_EES3_PKS3_PKT1_SC_S9_PKT3_PKT4_S7_PT5_21rocsparse_index_base_b: ; @_ZN9rocsparseL20bsrxmvn_17_32_kernelILj28E21rocsparse_complex_numIfEiiS2_S2_S2_EEvT2_20rocsparse_direction_NS_24const_host_device_scalarIT0_EES3_PKS3_PKT1_SC_S9_PKT3_PKT4_S7_PT5_21rocsparse_index_base_b
; %bb.0:
	s_load_dwordx2 s[0:1], s[4:5], 0x8
	s_load_dwordx2 s[14:15], s[4:5], 0x58
	s_add_u32 s7, s4, 8
	s_addc_u32 s8, s5, 0
	s_add_u32 s9, s4, 0x48
	s_load_dwordx2 s[2:3], s[4:5], 0x48
	s_addc_u32 s10, s5, 0
	s_waitcnt lgkmcnt(0)
	s_bitcmp1_b32 s15, 0
	s_cselect_b32 s1, s8, s1
	s_cselect_b32 s0, s7, s0
	v_mov_b32_e32 v1, s0
	v_mov_b32_e32 v2, s1
	flat_load_dwordx2 v[3:4], v[1:2]
	s_cselect_b32 s0, s10, s3
	s_cselect_b32 s1, s9, s2
	v_mov_b32_e32 v1, s1
	v_mov_b32_e32 v2, s0
	flat_load_dwordx2 v[1:2], v[1:2]
	s_waitcnt vmcnt(0) lgkmcnt(0)
	v_cmp_eq_f32_e32 vcc, 0, v3
	v_cmp_eq_f32_e64 s[0:1], 0, v4
	s_and_b64 s[8:9], vcc, s[0:1]
	s_mov_b64 s[0:1], -1
	s_and_saveexec_b64 s[2:3], s[8:9]
; %bb.1:
	v_cmp_neq_f32_e32 vcc, 1.0, v1
	v_cmp_neq_f32_e64 s[0:1], 0, v2
	s_or_b64 s[0:1], vcc, s[0:1]
	s_orn2_b64 s[0:1], s[0:1], exec
; %bb.2:
	s_or_b64 exec, exec, s[2:3]
	s_and_saveexec_b64 s[2:3], s[0:1]
	s_cbranch_execz .LBB43_39
; %bb.3:
	s_load_dwordx4 s[0:3], s[4:5], 0x18
	s_load_dwordx2 s[8:9], s[4:5], 0x28
	s_waitcnt lgkmcnt(0)
	s_cmp_eq_u64 s[0:1], 0
	s_cbranch_scc1 .LBB43_5
; %bb.4:
	s_ashr_i32 s7, s6, 31
	s_lshl_b64 s[6:7], s[6:7], 2
	s_add_u32 s0, s0, s6
	s_addc_u32 s1, s1, s7
	s_load_dword s0, s[0:1], 0x0
	s_waitcnt lgkmcnt(0)
	s_sub_i32 s6, s0, s14
.LBB43_5:
	s_load_dword s0, s[4:5], 0x4
	s_load_dwordx2 s[12:13], s[4:5], 0x50
	v_mul_u32_u24_e32 v7, 0x925, v0
	v_mov_b32_e32 v5, 28
	v_mul_lo_u16_sdwa v5, v7, v5 dst_sel:DWORD dst_unused:UNUSED_PAD src0_sel:WORD_1 src1_sel:DWORD
	s_waitcnt lgkmcnt(0)
	s_cmp_eq_u32 s0, 1
	s_cselect_b64 vcc, -1, 0
	s_cmp_lg_u32 s0, 1
	s_cselect_b64 s[16:17], -1, 0
	s_ashr_i32 s7, s6, 31
	s_lshl_b64 s[0:1], s[6:7], 2
	s_add_u32 s2, s2, s0
	s_addc_u32 s3, s3, s1
	s_load_dword s7, s[2:3], 0x0
	s_add_u32 s2, s2, 4
	s_addc_u32 s3, s3, 0
	s_add_u32 s0, s8, s0
	s_addc_u32 s1, s9, s1
	s_cmp_eq_u64 s[8:9], 0
	s_cselect_b32 s1, s3, s1
	s_cselect_b32 s0, s2, s0
	s_load_dword s0, s[0:1], 0x0
	v_sub_u16_e32 v13, v0, v5
	v_mov_b32_e32 v6, 0
	v_lshlrev_b32_e32 v12, 3, v0
	v_mov_b32_e32 v5, 0
	s_waitcnt lgkmcnt(0)
	s_cmp_ge_i32 s7, s0
	s_cbranch_scc1 .LBB43_10
; %bb.6:
	s_load_dwordx4 s[8:11], s[4:5], 0x30
	s_load_dwordx2 s[2:3], s[4:5], 0x40
	s_sub_i32 s4, s0, s14
	s_mov_b32 s0, 0xffff
	s_movk_i32 s1, 0x310
	v_and_b32_sdwa v5, s0, v7 dst_sel:DWORD dst_unused:UNUSED_PAD src0_sel:DWORD src1_sel:WORD_1
	v_subrev_u32_e32 v6, 28, v5
	v_cmp_gt_u32_e64 s[0:1], s1, v0
	s_sub_i32 s5, s7, s14
	v_cndmask_b32_e64 v5, v6, v5, s[0:1]
	s_mul_i32 s1, s5, 0x1880
	s_mul_hi_i32 s0, s5, 0x1880
	s_waitcnt lgkmcnt(0)
	s_add_u32 s1, s10, s1
	s_addc_u32 s0, s11, s0
	v_cndmask_b32_e32 v7, v13, v5, vcc
	v_mov_b32_e32 v5, s0
	v_add_co_u32_e32 v8, vcc, s1, v12
	v_addc_co_u32_e32 v9, vcc, 0, v5, vcc
	s_movk_i32 s0, 0x30f
	v_mov_b32_e32 v6, 0
	v_cmp_lt_u32_e32 vcc, s0, v0
	v_cndmask_b32_e64 v14, 0, 1, vcc
	v_mov_b32_e32 v5, v6
	s_branch .LBB43_8
.LBB43_7:                               ;   in Loop: Header=BB43_8 Depth=1
	s_or_b64 exec, exec, s[0:1]
	s_add_i32 s5, s5, 1
	s_cmp_lt_i32 s5, s4
	s_cbranch_scc0 .LBB43_10
.LBB43_8:                               ; =>This Inner Loop Header: Depth=1
	v_add_u32_e32 v10, s5, v14
	v_cmp_gt_i32_e32 vcc, s4, v10
	s_and_saveexec_b64 s[0:1], vcc
	s_cbranch_execz .LBB43_7
; %bb.9:                                ;   in Loop: Header=BB43_8 Depth=1
	v_ashrrev_i32_e32 v11, 31, v10
	v_lshlrev_b64 v[10:11], 2, v[10:11]
	v_mov_b32_e32 v15, s9
	v_add_co_u32_e32 v10, vcc, s8, v10
	v_addc_co_u32_e32 v11, vcc, v15, v11, vcc
	global_load_dword v10, v[10:11], off
	v_mov_b32_e32 v17, s3
	global_load_dwordx2 v[15:16], v[8:9], off
	s_waitcnt vmcnt(1)
	v_subrev_u32_e32 v10, s14, v10
	v_mad_u64_u32 v[10:11], s[10:11], v10, 28, v[7:8]
	v_ashrrev_i32_e32 v11, 31, v10
	v_lshlrev_b64 v[10:11], 3, v[10:11]
	v_add_co_u32_e32 v10, vcc, s2, v10
	v_addc_co_u32_e32 v11, vcc, v17, v11, vcc
	global_load_dwordx2 v[10:11], v[10:11], off
	v_add_co_u32_e32 v8, vcc, 0x1880, v8
	v_addc_co_u32_e32 v9, vcc, 0, v9, vcc
	s_waitcnt vmcnt(0)
	v_fmac_f32_e32 v5, v15, v10
	v_fmac_f32_e32 v6, v16, v10
	v_fma_f32 v5, -v16, v11, v5
	v_fmac_f32_e32 v6, v15, v11
	s_branch .LBB43_7
.LBB43_10:
	s_and_b64 vcc, exec, s[16:17]
	ds_write_b64 v12, v[5:6]
	s_waitcnt lgkmcnt(0)
	s_barrier
	s_cbranch_vccz .LBB43_22
; %bb.11:
	v_cmp_gt_u16_e32 vcc, 12, v13
	s_and_saveexec_b64 s[0:1], vcc
	s_cbranch_execz .LBB43_13
; %bb.12:
	ds_read2_b64 v[7:10], v12 offset1:16
	s_waitcnt lgkmcnt(0)
	v_add_f32_e32 v7, v9, v7
	v_add_f32_e32 v8, v10, v8
	ds_write_b64 v12, v[7:8]
.LBB43_13:
	s_or_b64 exec, exec, s[0:1]
	v_cmp_gt_u16_e32 vcc, 8, v13
	s_waitcnt lgkmcnt(0)
	s_barrier
	s_and_saveexec_b64 s[0:1], vcc
	s_cbranch_execz .LBB43_15
; %bb.14:
	ds_read2_b64 v[7:10], v12 offset1:8
	s_waitcnt lgkmcnt(0)
	v_add_f32_e32 v7, v9, v7
	v_add_f32_e32 v8, v10, v8
	ds_write_b64 v12, v[7:8]
.LBB43_15:
	s_or_b64 exec, exec, s[0:1]
	v_cmp_gt_u16_e32 vcc, 4, v13
	s_waitcnt lgkmcnt(0)
	s_barrier
	;; [unrolled: 13-line block ×3, first 2 shown]
	s_and_saveexec_b64 s[0:1], vcc
	s_cbranch_execz .LBB43_19
; %bb.18:
	ds_read2_b64 v[7:10], v12 offset1:2
	s_waitcnt lgkmcnt(0)
	v_add_f32_e32 v7, v9, v7
	v_add_f32_e32 v8, v10, v8
	ds_write_b64 v12, v[7:8]
.LBB43_19:
	s_or_b64 exec, exec, s[0:1]
	v_cmp_gt_u32_e32 vcc, 28, v0
	v_mov_b32_e32 v8, v6
	v_mov_b32_e32 v7, v5
	s_waitcnt lgkmcnt(0)
	s_barrier
	s_and_saveexec_b64 s[0:1], vcc
	s_cbranch_execz .LBB43_21
; %bb.20:
	s_movk_i32 s2, 0xd8
	v_mad_u32_u24 v7, v0, s2, v12
	ds_read2_b64 v[7:10], v7 offset1:1
	s_waitcnt lgkmcnt(0)
	v_add_f32_e32 v7, v9, v7
	v_add_f32_e32 v8, v10, v8
.LBB43_21:
	s_or_b64 exec, exec, s[0:1]
	s_branch .LBB43_34
.LBB43_22:
                                        ; implicit-def: $vgpr8
                                        ; implicit-def: $vgpr7
	s_cbranch_execz .LBB43_34
; %bb.23:
	s_movk_i32 s0, 0x150
	v_cmp_gt_u32_e32 vcc, s0, v0
	s_and_saveexec_b64 s[0:1], vcc
	s_cbranch_execz .LBB43_25
; %bb.24:
	ds_read2st64_b64 v[7:10], v12 offset1:7
	s_waitcnt lgkmcnt(0)
	v_add_f32_e32 v7, v9, v7
	v_add_f32_e32 v8, v10, v8
	ds_write_b64 v12, v[7:8]
.LBB43_25:
	s_or_b64 exec, exec, s[0:1]
	s_movk_i32 s0, 0xe0
	v_cmp_gt_u32_e32 vcc, s0, v0
	s_waitcnt lgkmcnt(0)
	s_barrier
	s_and_saveexec_b64 s[0:1], vcc
	s_cbranch_execz .LBB43_27
; %bb.26:
	ds_read2_b64 v[7:10], v12 offset1:224
	s_waitcnt lgkmcnt(0)
	v_add_f32_e32 v7, v9, v7
	v_add_f32_e32 v8, v10, v8
	ds_write_b64 v12, v[7:8]
.LBB43_27:
	s_or_b64 exec, exec, s[0:1]
	s_movk_i32 s0, 0x70
	v_cmp_gt_u32_e32 vcc, s0, v0
	s_waitcnt lgkmcnt(0)
	s_barrier
	s_and_saveexec_b64 s[0:1], vcc
	s_cbranch_execz .LBB43_29
; %bb.28:
	ds_read2_b64 v[7:10], v12 offset1:112
	s_waitcnt lgkmcnt(0)
	v_add_f32_e32 v7, v9, v7
	v_add_f32_e32 v8, v10, v8
	ds_write_b64 v12, v[7:8]
.LBB43_29:
	s_or_b64 exec, exec, s[0:1]
	v_cmp_gt_u32_e32 vcc, 56, v0
	s_waitcnt lgkmcnt(0)
	s_barrier
	s_and_saveexec_b64 s[0:1], vcc
	s_cbranch_execz .LBB43_31
; %bb.30:
	ds_read2_b64 v[7:10], v12 offset1:56
	s_waitcnt lgkmcnt(0)
	v_add_f32_e32 v7, v9, v7
	v_add_f32_e32 v8, v10, v8
	ds_write_b64 v12, v[7:8]
.LBB43_31:
	s_or_b64 exec, exec, s[0:1]
	v_cmp_gt_u32_e32 vcc, 28, v0
	s_waitcnt lgkmcnt(0)
	s_and_saveexec_b64 s[0:1], vcc
	s_cbranch_execz .LBB43_33
; %bb.32:
	ds_read2_b64 v[5:8], v12 offset1:28
	s_waitcnt lgkmcnt(0)
	v_add_f32_e32 v5, v7, v5
	v_add_f32_e32 v6, v8, v6
.LBB43_33:
	s_or_b64 exec, exec, s[0:1]
	v_mov_b32_e32 v8, v6
	v_mov_b32_e32 v7, v5
.LBB43_34:
	v_cmp_gt_u32_e32 vcc, 28, v0
	s_and_b64 exec, exec, vcc
	s_cbranch_execz .LBB43_39
; %bb.35:
	v_cmp_eq_f32_e32 vcc, 0, v1
	v_cmp_eq_f32_e64 s[0:1], 0, v2
	v_mul_f32_e64 v5, v8, -v4
	v_mul_f32_e32 v6, v3, v8
	s_and_b64 s[0:1], vcc, s[0:1]
	v_fmac_f32_e32 v5, v3, v7
	v_fmac_f32_e32 v6, v4, v7
	s_and_saveexec_b64 s[2:3], s[0:1]
	s_xor_b64 s[0:1], exec, s[2:3]
	s_cbranch_execz .LBB43_37
; %bb.36:
	v_mad_u64_u32 v[0:1], s[2:3], s6, 28, v[0:1]
	v_mov_b32_e32 v1, 0
	v_mov_b32_e32 v2, s13
	v_lshlrev_b64 v[0:1], 3, v[0:1]
	v_add_co_u32_e32 v0, vcc, s12, v0
	v_addc_co_u32_e32 v1, vcc, v2, v1, vcc
	global_store_dwordx2 v[0:1], v[5:6], off
                                        ; implicit-def: $vgpr0
                                        ; implicit-def: $vgpr1_vgpr2
                                        ; implicit-def: $vgpr5
.LBB43_37:
	s_andn2_saveexec_b64 s[0:1], s[0:1]
	s_cbranch_execz .LBB43_39
; %bb.38:
	v_mad_u64_u32 v[3:4], s[0:1], s6, 28, v[0:1]
	v_mov_b32_e32 v4, 0
	v_mov_b32_e32 v0, s13
	v_lshlrev_b64 v[3:4], 3, v[3:4]
	v_add_co_u32_e32 v3, vcc, s12, v3
	v_addc_co_u32_e32 v4, vcc, v0, v4, vcc
	global_load_dwordx2 v[7:8], v[3:4], off
	s_waitcnt vmcnt(0)
	v_fmac_f32_e32 v5, v1, v7
	v_fmac_f32_e32 v6, v2, v7
	v_fma_f32 v5, -v2, v8, v5
	v_fmac_f32_e32 v6, v1, v8
	global_store_dwordx2 v[3:4], v[5:6], off
.LBB43_39:
	s_endpgm
	.section	.rodata,"a",@progbits
	.p2align	6, 0x0
	.amdhsa_kernel _ZN9rocsparseL20bsrxmvn_17_32_kernelILj28E21rocsparse_complex_numIfEiiS2_S2_S2_EEvT2_20rocsparse_direction_NS_24const_host_device_scalarIT0_EES3_PKS3_PKT1_SC_S9_PKT3_PKT4_S7_PT5_21rocsparse_index_base_b
		.amdhsa_group_segment_fixed_size 6272
		.amdhsa_private_segment_fixed_size 0
		.amdhsa_kernarg_size 96
		.amdhsa_user_sgpr_count 6
		.amdhsa_user_sgpr_private_segment_buffer 1
		.amdhsa_user_sgpr_dispatch_ptr 0
		.amdhsa_user_sgpr_queue_ptr 0
		.amdhsa_user_sgpr_kernarg_segment_ptr 1
		.amdhsa_user_sgpr_dispatch_id 0
		.amdhsa_user_sgpr_flat_scratch_init 0
		.amdhsa_user_sgpr_private_segment_size 0
		.amdhsa_uses_dynamic_stack 0
		.amdhsa_system_sgpr_private_segment_wavefront_offset 0
		.amdhsa_system_sgpr_workgroup_id_x 1
		.amdhsa_system_sgpr_workgroup_id_y 0
		.amdhsa_system_sgpr_workgroup_id_z 0
		.amdhsa_system_sgpr_workgroup_info 0
		.amdhsa_system_vgpr_workitem_id 0
		.amdhsa_next_free_vgpr 18
		.amdhsa_next_free_sgpr 18
		.amdhsa_reserve_vcc 1
		.amdhsa_reserve_flat_scratch 0
		.amdhsa_float_round_mode_32 0
		.amdhsa_float_round_mode_16_64 0
		.amdhsa_float_denorm_mode_32 3
		.amdhsa_float_denorm_mode_16_64 3
		.amdhsa_dx10_clamp 1
		.amdhsa_ieee_mode 1
		.amdhsa_fp16_overflow 0
		.amdhsa_exception_fp_ieee_invalid_op 0
		.amdhsa_exception_fp_denorm_src 0
		.amdhsa_exception_fp_ieee_div_zero 0
		.amdhsa_exception_fp_ieee_overflow 0
		.amdhsa_exception_fp_ieee_underflow 0
		.amdhsa_exception_fp_ieee_inexact 0
		.amdhsa_exception_int_div_zero 0
	.end_amdhsa_kernel
	.section	.text._ZN9rocsparseL20bsrxmvn_17_32_kernelILj28E21rocsparse_complex_numIfEiiS2_S2_S2_EEvT2_20rocsparse_direction_NS_24const_host_device_scalarIT0_EES3_PKS3_PKT1_SC_S9_PKT3_PKT4_S7_PT5_21rocsparse_index_base_b,"axG",@progbits,_ZN9rocsparseL20bsrxmvn_17_32_kernelILj28E21rocsparse_complex_numIfEiiS2_S2_S2_EEvT2_20rocsparse_direction_NS_24const_host_device_scalarIT0_EES3_PKS3_PKT1_SC_S9_PKT3_PKT4_S7_PT5_21rocsparse_index_base_b,comdat
.Lfunc_end43:
	.size	_ZN9rocsparseL20bsrxmvn_17_32_kernelILj28E21rocsparse_complex_numIfEiiS2_S2_S2_EEvT2_20rocsparse_direction_NS_24const_host_device_scalarIT0_EES3_PKS3_PKT1_SC_S9_PKT3_PKT4_S7_PT5_21rocsparse_index_base_b, .Lfunc_end43-_ZN9rocsparseL20bsrxmvn_17_32_kernelILj28E21rocsparse_complex_numIfEiiS2_S2_S2_EEvT2_20rocsparse_direction_NS_24const_host_device_scalarIT0_EES3_PKS3_PKT1_SC_S9_PKT3_PKT4_S7_PT5_21rocsparse_index_base_b
                                        ; -- End function
	.set _ZN9rocsparseL20bsrxmvn_17_32_kernelILj28E21rocsparse_complex_numIfEiiS2_S2_S2_EEvT2_20rocsparse_direction_NS_24const_host_device_scalarIT0_EES3_PKS3_PKT1_SC_S9_PKT3_PKT4_S7_PT5_21rocsparse_index_base_b.num_vgpr, 18
	.set _ZN9rocsparseL20bsrxmvn_17_32_kernelILj28E21rocsparse_complex_numIfEiiS2_S2_S2_EEvT2_20rocsparse_direction_NS_24const_host_device_scalarIT0_EES3_PKS3_PKT1_SC_S9_PKT3_PKT4_S7_PT5_21rocsparse_index_base_b.num_agpr, 0
	.set _ZN9rocsparseL20bsrxmvn_17_32_kernelILj28E21rocsparse_complex_numIfEiiS2_S2_S2_EEvT2_20rocsparse_direction_NS_24const_host_device_scalarIT0_EES3_PKS3_PKT1_SC_S9_PKT3_PKT4_S7_PT5_21rocsparse_index_base_b.numbered_sgpr, 18
	.set _ZN9rocsparseL20bsrxmvn_17_32_kernelILj28E21rocsparse_complex_numIfEiiS2_S2_S2_EEvT2_20rocsparse_direction_NS_24const_host_device_scalarIT0_EES3_PKS3_PKT1_SC_S9_PKT3_PKT4_S7_PT5_21rocsparse_index_base_b.num_named_barrier, 0
	.set _ZN9rocsparseL20bsrxmvn_17_32_kernelILj28E21rocsparse_complex_numIfEiiS2_S2_S2_EEvT2_20rocsparse_direction_NS_24const_host_device_scalarIT0_EES3_PKS3_PKT1_SC_S9_PKT3_PKT4_S7_PT5_21rocsparse_index_base_b.private_seg_size, 0
	.set _ZN9rocsparseL20bsrxmvn_17_32_kernelILj28E21rocsparse_complex_numIfEiiS2_S2_S2_EEvT2_20rocsparse_direction_NS_24const_host_device_scalarIT0_EES3_PKS3_PKT1_SC_S9_PKT3_PKT4_S7_PT5_21rocsparse_index_base_b.uses_vcc, 1
	.set _ZN9rocsparseL20bsrxmvn_17_32_kernelILj28E21rocsparse_complex_numIfEiiS2_S2_S2_EEvT2_20rocsparse_direction_NS_24const_host_device_scalarIT0_EES3_PKS3_PKT1_SC_S9_PKT3_PKT4_S7_PT5_21rocsparse_index_base_b.uses_flat_scratch, 0
	.set _ZN9rocsparseL20bsrxmvn_17_32_kernelILj28E21rocsparse_complex_numIfEiiS2_S2_S2_EEvT2_20rocsparse_direction_NS_24const_host_device_scalarIT0_EES3_PKS3_PKT1_SC_S9_PKT3_PKT4_S7_PT5_21rocsparse_index_base_b.has_dyn_sized_stack, 0
	.set _ZN9rocsparseL20bsrxmvn_17_32_kernelILj28E21rocsparse_complex_numIfEiiS2_S2_S2_EEvT2_20rocsparse_direction_NS_24const_host_device_scalarIT0_EES3_PKS3_PKT1_SC_S9_PKT3_PKT4_S7_PT5_21rocsparse_index_base_b.has_recursion, 0
	.set _ZN9rocsparseL20bsrxmvn_17_32_kernelILj28E21rocsparse_complex_numIfEiiS2_S2_S2_EEvT2_20rocsparse_direction_NS_24const_host_device_scalarIT0_EES3_PKS3_PKT1_SC_S9_PKT3_PKT4_S7_PT5_21rocsparse_index_base_b.has_indirect_call, 0
	.section	.AMDGPU.csdata,"",@progbits
; Kernel info:
; codeLenInByte = 1400
; TotalNumSgprs: 22
; NumVgprs: 18
; ScratchSize: 0
; MemoryBound: 0
; FloatMode: 240
; IeeeMode: 1
; LDSByteSize: 6272 bytes/workgroup (compile time only)
; SGPRBlocks: 2
; VGPRBlocks: 4
; NumSGPRsForWavesPerEU: 22
; NumVGPRsForWavesPerEU: 18
; Occupancy: 10
; WaveLimiterHint : 1
; COMPUTE_PGM_RSRC2:SCRATCH_EN: 0
; COMPUTE_PGM_RSRC2:USER_SGPR: 6
; COMPUTE_PGM_RSRC2:TRAP_HANDLER: 0
; COMPUTE_PGM_RSRC2:TGID_X_EN: 1
; COMPUTE_PGM_RSRC2:TGID_Y_EN: 0
; COMPUTE_PGM_RSRC2:TGID_Z_EN: 0
; COMPUTE_PGM_RSRC2:TIDIG_COMP_CNT: 0
	.section	.text._ZN9rocsparseL20bsrxmvn_17_32_kernelILj29E21rocsparse_complex_numIfEiiS2_S2_S2_EEvT2_20rocsparse_direction_NS_24const_host_device_scalarIT0_EES3_PKS3_PKT1_SC_S9_PKT3_PKT4_S7_PT5_21rocsparse_index_base_b,"axG",@progbits,_ZN9rocsparseL20bsrxmvn_17_32_kernelILj29E21rocsparse_complex_numIfEiiS2_S2_S2_EEvT2_20rocsparse_direction_NS_24const_host_device_scalarIT0_EES3_PKS3_PKT1_SC_S9_PKT3_PKT4_S7_PT5_21rocsparse_index_base_b,comdat
	.globl	_ZN9rocsparseL20bsrxmvn_17_32_kernelILj29E21rocsparse_complex_numIfEiiS2_S2_S2_EEvT2_20rocsparse_direction_NS_24const_host_device_scalarIT0_EES3_PKS3_PKT1_SC_S9_PKT3_PKT4_S7_PT5_21rocsparse_index_base_b ; -- Begin function _ZN9rocsparseL20bsrxmvn_17_32_kernelILj29E21rocsparse_complex_numIfEiiS2_S2_S2_EEvT2_20rocsparse_direction_NS_24const_host_device_scalarIT0_EES3_PKS3_PKT1_SC_S9_PKT3_PKT4_S7_PT5_21rocsparse_index_base_b
	.p2align	8
	.type	_ZN9rocsparseL20bsrxmvn_17_32_kernelILj29E21rocsparse_complex_numIfEiiS2_S2_S2_EEvT2_20rocsparse_direction_NS_24const_host_device_scalarIT0_EES3_PKS3_PKT1_SC_S9_PKT3_PKT4_S7_PT5_21rocsparse_index_base_b,@function
_ZN9rocsparseL20bsrxmvn_17_32_kernelILj29E21rocsparse_complex_numIfEiiS2_S2_S2_EEvT2_20rocsparse_direction_NS_24const_host_device_scalarIT0_EES3_PKS3_PKT1_SC_S9_PKT3_PKT4_S7_PT5_21rocsparse_index_base_b: ; @_ZN9rocsparseL20bsrxmvn_17_32_kernelILj29E21rocsparse_complex_numIfEiiS2_S2_S2_EEvT2_20rocsparse_direction_NS_24const_host_device_scalarIT0_EES3_PKS3_PKT1_SC_S9_PKT3_PKT4_S7_PT5_21rocsparse_index_base_b
; %bb.0:
	s_load_dwordx2 s[0:1], s[4:5], 0x8
	s_load_dwordx2 s[14:15], s[4:5], 0x58
	s_add_u32 s7, s4, 8
	s_addc_u32 s8, s5, 0
	s_add_u32 s9, s4, 0x48
	s_load_dwordx2 s[2:3], s[4:5], 0x48
	s_addc_u32 s10, s5, 0
	s_waitcnt lgkmcnt(0)
	s_bitcmp1_b32 s15, 0
	s_cselect_b32 s1, s8, s1
	s_cselect_b32 s0, s7, s0
	v_mov_b32_e32 v1, s0
	v_mov_b32_e32 v2, s1
	flat_load_dwordx2 v[3:4], v[1:2]
	s_cselect_b32 s0, s10, s3
	s_cselect_b32 s1, s9, s2
	v_mov_b32_e32 v1, s1
	v_mov_b32_e32 v2, s0
	flat_load_dwordx2 v[1:2], v[1:2]
	s_waitcnt vmcnt(0) lgkmcnt(0)
	v_cmp_eq_f32_e32 vcc, 0, v3
	v_cmp_eq_f32_e64 s[0:1], 0, v4
	s_and_b64 s[8:9], vcc, s[0:1]
	s_mov_b64 s[0:1], -1
	s_and_saveexec_b64 s[2:3], s[8:9]
; %bb.1:
	v_cmp_neq_f32_e32 vcc, 1.0, v1
	v_cmp_neq_f32_e64 s[0:1], 0, v2
	s_or_b64 s[0:1], vcc, s[0:1]
	s_orn2_b64 s[0:1], s[0:1], exec
; %bb.2:
	s_or_b64 exec, exec, s[2:3]
	s_and_saveexec_b64 s[2:3], s[0:1]
	s_cbranch_execz .LBB44_39
; %bb.3:
	s_load_dwordx4 s[0:3], s[4:5], 0x18
	s_load_dwordx2 s[8:9], s[4:5], 0x28
	s_waitcnt lgkmcnt(0)
	s_cmp_eq_u64 s[0:1], 0
	s_cbranch_scc1 .LBB44_5
; %bb.4:
	s_ashr_i32 s7, s6, 31
	s_lshl_b64 s[6:7], s[6:7], 2
	s_add_u32 s0, s0, s6
	s_addc_u32 s1, s1, s7
	s_load_dword s0, s[0:1], 0x0
	s_waitcnt lgkmcnt(0)
	s_sub_i32 s6, s0, s14
.LBB44_5:
	s_load_dword s0, s[4:5], 0x4
	s_load_dwordx2 s[12:13], s[4:5], 0x50
	v_mul_u32_u24_e32 v7, 0x8d4, v0
	v_mov_b32_e32 v5, 29
	v_mul_lo_u16_sdwa v5, v7, v5 dst_sel:DWORD dst_unused:UNUSED_PAD src0_sel:WORD_1 src1_sel:DWORD
	s_waitcnt lgkmcnt(0)
	s_cmp_eq_u32 s0, 1
	s_cselect_b64 vcc, -1, 0
	s_cmp_lg_u32 s0, 1
	s_cselect_b64 s[16:17], -1, 0
	s_ashr_i32 s7, s6, 31
	s_lshl_b64 s[0:1], s[6:7], 2
	s_add_u32 s2, s2, s0
	s_addc_u32 s3, s3, s1
	s_load_dword s7, s[2:3], 0x0
	s_add_u32 s2, s2, 4
	s_addc_u32 s3, s3, 0
	s_add_u32 s0, s8, s0
	s_addc_u32 s1, s9, s1
	s_cmp_eq_u64 s[8:9], 0
	s_cselect_b32 s1, s3, s1
	s_cselect_b32 s0, s2, s0
	s_load_dword s0, s[0:1], 0x0
	v_sub_u16_e32 v13, v0, v5
	v_mov_b32_e32 v6, 0
	v_lshlrev_b32_e32 v12, 3, v0
	v_mov_b32_e32 v5, 0
	s_waitcnt lgkmcnt(0)
	s_cmp_ge_i32 s7, s0
	s_cbranch_scc1 .LBB44_10
; %bb.6:
	s_load_dwordx4 s[8:11], s[4:5], 0x30
	s_load_dwordx2 s[2:3], s[4:5], 0x40
	s_sub_i32 s4, s0, s14
	s_mov_b32 s0, 0xffff
	s_movk_i32 s1, 0x349
	v_and_b32_sdwa v5, s0, v7 dst_sel:DWORD dst_unused:UNUSED_PAD src0_sel:DWORD src1_sel:WORD_1
	v_subrev_u32_e32 v6, 29, v5
	v_cmp_gt_u32_e64 s[0:1], s1, v0
	s_sub_i32 s5, s7, s14
	v_cndmask_b32_e64 v5, v6, v5, s[0:1]
	s_mul_i32 s1, s5, 0x1a48
	s_mul_hi_i32 s0, s5, 0x1a48
	s_waitcnt lgkmcnt(0)
	s_add_u32 s1, s10, s1
	s_addc_u32 s0, s11, s0
	v_cndmask_b32_e32 v7, v13, v5, vcc
	v_mov_b32_e32 v5, s0
	v_add_co_u32_e32 v8, vcc, s1, v12
	v_addc_co_u32_e32 v9, vcc, 0, v5, vcc
	s_movk_i32 s0, 0x348
	v_mov_b32_e32 v6, 0
	v_cmp_lt_u32_e32 vcc, s0, v0
	v_cndmask_b32_e64 v14, 0, 1, vcc
	v_mov_b32_e32 v5, v6
	s_branch .LBB44_8
.LBB44_7:                               ;   in Loop: Header=BB44_8 Depth=1
	s_or_b64 exec, exec, s[0:1]
	s_add_i32 s5, s5, 1
	s_cmp_lt_i32 s5, s4
	s_cbranch_scc0 .LBB44_10
.LBB44_8:                               ; =>This Inner Loop Header: Depth=1
	v_add_u32_e32 v10, s5, v14
	v_cmp_gt_i32_e32 vcc, s4, v10
	s_and_saveexec_b64 s[0:1], vcc
	s_cbranch_execz .LBB44_7
; %bb.9:                                ;   in Loop: Header=BB44_8 Depth=1
	v_ashrrev_i32_e32 v11, 31, v10
	v_lshlrev_b64 v[10:11], 2, v[10:11]
	v_mov_b32_e32 v15, s9
	v_add_co_u32_e32 v10, vcc, s8, v10
	v_addc_co_u32_e32 v11, vcc, v15, v11, vcc
	global_load_dword v10, v[10:11], off
	v_mov_b32_e32 v17, s3
	global_load_dwordx2 v[15:16], v[8:9], off
	s_waitcnt vmcnt(1)
	v_subrev_u32_e32 v10, s14, v10
	v_mad_u64_u32 v[10:11], s[10:11], v10, 29, v[7:8]
	v_ashrrev_i32_e32 v11, 31, v10
	v_lshlrev_b64 v[10:11], 3, v[10:11]
	v_add_co_u32_e32 v10, vcc, s2, v10
	v_addc_co_u32_e32 v11, vcc, v17, v11, vcc
	global_load_dwordx2 v[10:11], v[10:11], off
	v_add_co_u32_e32 v8, vcc, 0x1a48, v8
	v_addc_co_u32_e32 v9, vcc, 0, v9, vcc
	s_waitcnt vmcnt(0)
	v_fmac_f32_e32 v5, v15, v10
	v_fmac_f32_e32 v6, v16, v10
	v_fma_f32 v5, -v16, v11, v5
	v_fmac_f32_e32 v6, v15, v11
	s_branch .LBB44_7
.LBB44_10:
	s_and_b64 vcc, exec, s[16:17]
	ds_write_b64 v12, v[5:6]
	s_waitcnt lgkmcnt(0)
	s_barrier
	s_cbranch_vccz .LBB44_22
; %bb.11:
	v_cmp_gt_u16_e32 vcc, 13, v13
	s_and_saveexec_b64 s[0:1], vcc
	s_cbranch_execz .LBB44_13
; %bb.12:
	ds_read2_b64 v[7:10], v12 offset1:16
	s_waitcnt lgkmcnt(0)
	v_add_f32_e32 v7, v9, v7
	v_add_f32_e32 v8, v10, v8
	ds_write_b64 v12, v[7:8]
.LBB44_13:
	s_or_b64 exec, exec, s[0:1]
	v_cmp_gt_u16_e32 vcc, 8, v13
	s_waitcnt lgkmcnt(0)
	s_barrier
	s_and_saveexec_b64 s[0:1], vcc
	s_cbranch_execz .LBB44_15
; %bb.14:
	ds_read2_b64 v[7:10], v12 offset1:8
	s_waitcnt lgkmcnt(0)
	v_add_f32_e32 v7, v9, v7
	v_add_f32_e32 v8, v10, v8
	ds_write_b64 v12, v[7:8]
.LBB44_15:
	s_or_b64 exec, exec, s[0:1]
	v_cmp_gt_u16_e32 vcc, 4, v13
	s_waitcnt lgkmcnt(0)
	s_barrier
	;; [unrolled: 13-line block ×3, first 2 shown]
	s_and_saveexec_b64 s[0:1], vcc
	s_cbranch_execz .LBB44_19
; %bb.18:
	ds_read2_b64 v[7:10], v12 offset1:2
	s_waitcnt lgkmcnt(0)
	v_add_f32_e32 v7, v9, v7
	v_add_f32_e32 v8, v10, v8
	ds_write_b64 v12, v[7:8]
.LBB44_19:
	s_or_b64 exec, exec, s[0:1]
	v_cmp_gt_u32_e32 vcc, 29, v0
	v_mov_b32_e32 v8, v6
	v_mov_b32_e32 v7, v5
	s_waitcnt lgkmcnt(0)
	s_barrier
	s_and_saveexec_b64 s[0:1], vcc
	s_cbranch_execz .LBB44_21
; %bb.20:
	s_movk_i32 s2, 0xe0
	v_mad_u32_u24 v7, v0, s2, v12
	ds_read2_b64 v[7:10], v7 offset1:1
	s_waitcnt lgkmcnt(0)
	v_add_f32_e32 v7, v9, v7
	v_add_f32_e32 v8, v10, v8
.LBB44_21:
	s_or_b64 exec, exec, s[0:1]
	s_branch .LBB44_34
.LBB44_22:
                                        ; implicit-def: $vgpr8
                                        ; implicit-def: $vgpr7
	s_cbranch_execz .LBB44_34
; %bb.23:
	s_movk_i32 s0, 0x179
	v_cmp_gt_u32_e32 vcc, s0, v0
	s_and_saveexec_b64 s[0:1], vcc
	s_cbranch_execz .LBB44_25
; %bb.24:
	ds_read_b64 v[7:8], v12 offset:3712
	ds_read_b64 v[9:10], v12
	s_waitcnt lgkmcnt(0)
	v_add_f32_e32 v7, v7, v9
	v_add_f32_e32 v8, v8, v10
	ds_write_b64 v12, v[7:8]
.LBB44_25:
	s_or_b64 exec, exec, s[0:1]
	s_movk_i32 s0, 0xe8
	v_cmp_gt_u32_e32 vcc, s0, v0
	s_waitcnt lgkmcnt(0)
	s_barrier
	s_and_saveexec_b64 s[0:1], vcc
	s_cbranch_execz .LBB44_27
; %bb.26:
	ds_read2_b64 v[7:10], v12 offset1:232
	s_waitcnt lgkmcnt(0)
	v_add_f32_e32 v7, v9, v7
	v_add_f32_e32 v8, v10, v8
	ds_write_b64 v12, v[7:8]
.LBB44_27:
	s_or_b64 exec, exec, s[0:1]
	s_movk_i32 s0, 0x74
	v_cmp_gt_u32_e32 vcc, s0, v0
	s_waitcnt lgkmcnt(0)
	s_barrier
	s_and_saveexec_b64 s[0:1], vcc
	s_cbranch_execz .LBB44_29
; %bb.28:
	ds_read2_b64 v[7:10], v12 offset1:116
	s_waitcnt lgkmcnt(0)
	v_add_f32_e32 v7, v9, v7
	v_add_f32_e32 v8, v10, v8
	ds_write_b64 v12, v[7:8]
.LBB44_29:
	s_or_b64 exec, exec, s[0:1]
	v_cmp_gt_u32_e32 vcc, 58, v0
	s_waitcnt lgkmcnt(0)
	s_barrier
	s_and_saveexec_b64 s[0:1], vcc
	s_cbranch_execz .LBB44_31
; %bb.30:
	ds_read2_b64 v[7:10], v12 offset1:58
	s_waitcnt lgkmcnt(0)
	v_add_f32_e32 v7, v9, v7
	v_add_f32_e32 v8, v10, v8
	ds_write_b64 v12, v[7:8]
.LBB44_31:
	s_or_b64 exec, exec, s[0:1]
	v_cmp_gt_u32_e32 vcc, 29, v0
	s_waitcnt lgkmcnt(0)
	s_and_saveexec_b64 s[0:1], vcc
	s_cbranch_execz .LBB44_33
; %bb.32:
	ds_read2_b64 v[5:8], v12 offset1:29
	s_waitcnt lgkmcnt(0)
	v_add_f32_e32 v5, v7, v5
	v_add_f32_e32 v6, v8, v6
.LBB44_33:
	s_or_b64 exec, exec, s[0:1]
	v_mov_b32_e32 v8, v6
	v_mov_b32_e32 v7, v5
.LBB44_34:
	v_cmp_gt_u32_e32 vcc, 29, v0
	s_and_b64 exec, exec, vcc
	s_cbranch_execz .LBB44_39
; %bb.35:
	v_cmp_eq_f32_e32 vcc, 0, v1
	v_cmp_eq_f32_e64 s[0:1], 0, v2
	v_mul_f32_e64 v5, v8, -v4
	v_mul_f32_e32 v6, v3, v8
	s_and_b64 s[0:1], vcc, s[0:1]
	v_fmac_f32_e32 v5, v3, v7
	v_fmac_f32_e32 v6, v4, v7
	s_and_saveexec_b64 s[2:3], s[0:1]
	s_xor_b64 s[0:1], exec, s[2:3]
	s_cbranch_execz .LBB44_37
; %bb.36:
	v_mad_u64_u32 v[0:1], s[2:3], s6, 29, v[0:1]
	v_mov_b32_e32 v1, 0
	v_mov_b32_e32 v2, s13
	v_lshlrev_b64 v[0:1], 3, v[0:1]
	v_add_co_u32_e32 v0, vcc, s12, v0
	v_addc_co_u32_e32 v1, vcc, v2, v1, vcc
	global_store_dwordx2 v[0:1], v[5:6], off
                                        ; implicit-def: $vgpr0
                                        ; implicit-def: $vgpr1_vgpr2
                                        ; implicit-def: $vgpr5
.LBB44_37:
	s_andn2_saveexec_b64 s[0:1], s[0:1]
	s_cbranch_execz .LBB44_39
; %bb.38:
	v_mad_u64_u32 v[3:4], s[0:1], s6, 29, v[0:1]
	v_mov_b32_e32 v4, 0
	v_mov_b32_e32 v0, s13
	v_lshlrev_b64 v[3:4], 3, v[3:4]
	v_add_co_u32_e32 v3, vcc, s12, v3
	v_addc_co_u32_e32 v4, vcc, v0, v4, vcc
	global_load_dwordx2 v[7:8], v[3:4], off
	s_waitcnt vmcnt(0)
	v_fmac_f32_e32 v5, v1, v7
	v_fmac_f32_e32 v6, v2, v7
	v_fma_f32 v5, -v2, v8, v5
	v_fmac_f32_e32 v6, v1, v8
	global_store_dwordx2 v[3:4], v[5:6], off
.LBB44_39:
	s_endpgm
	.section	.rodata,"a",@progbits
	.p2align	6, 0x0
	.amdhsa_kernel _ZN9rocsparseL20bsrxmvn_17_32_kernelILj29E21rocsparse_complex_numIfEiiS2_S2_S2_EEvT2_20rocsparse_direction_NS_24const_host_device_scalarIT0_EES3_PKS3_PKT1_SC_S9_PKT3_PKT4_S7_PT5_21rocsparse_index_base_b
		.amdhsa_group_segment_fixed_size 6728
		.amdhsa_private_segment_fixed_size 0
		.amdhsa_kernarg_size 96
		.amdhsa_user_sgpr_count 6
		.amdhsa_user_sgpr_private_segment_buffer 1
		.amdhsa_user_sgpr_dispatch_ptr 0
		.amdhsa_user_sgpr_queue_ptr 0
		.amdhsa_user_sgpr_kernarg_segment_ptr 1
		.amdhsa_user_sgpr_dispatch_id 0
		.amdhsa_user_sgpr_flat_scratch_init 0
		.amdhsa_user_sgpr_private_segment_size 0
		.amdhsa_uses_dynamic_stack 0
		.amdhsa_system_sgpr_private_segment_wavefront_offset 0
		.amdhsa_system_sgpr_workgroup_id_x 1
		.amdhsa_system_sgpr_workgroup_id_y 0
		.amdhsa_system_sgpr_workgroup_id_z 0
		.amdhsa_system_sgpr_workgroup_info 0
		.amdhsa_system_vgpr_workitem_id 0
		.amdhsa_next_free_vgpr 33
		.amdhsa_next_free_sgpr 77
		.amdhsa_reserve_vcc 1
		.amdhsa_reserve_flat_scratch 0
		.amdhsa_float_round_mode_32 0
		.amdhsa_float_round_mode_16_64 0
		.amdhsa_float_denorm_mode_32 3
		.amdhsa_float_denorm_mode_16_64 3
		.amdhsa_dx10_clamp 1
		.amdhsa_ieee_mode 1
		.amdhsa_fp16_overflow 0
		.amdhsa_exception_fp_ieee_invalid_op 0
		.amdhsa_exception_fp_denorm_src 0
		.amdhsa_exception_fp_ieee_div_zero 0
		.amdhsa_exception_fp_ieee_overflow 0
		.amdhsa_exception_fp_ieee_underflow 0
		.amdhsa_exception_fp_ieee_inexact 0
		.amdhsa_exception_int_div_zero 0
	.end_amdhsa_kernel
	.section	.text._ZN9rocsparseL20bsrxmvn_17_32_kernelILj29E21rocsparse_complex_numIfEiiS2_S2_S2_EEvT2_20rocsparse_direction_NS_24const_host_device_scalarIT0_EES3_PKS3_PKT1_SC_S9_PKT3_PKT4_S7_PT5_21rocsparse_index_base_b,"axG",@progbits,_ZN9rocsparseL20bsrxmvn_17_32_kernelILj29E21rocsparse_complex_numIfEiiS2_S2_S2_EEvT2_20rocsparse_direction_NS_24const_host_device_scalarIT0_EES3_PKS3_PKT1_SC_S9_PKT3_PKT4_S7_PT5_21rocsparse_index_base_b,comdat
.Lfunc_end44:
	.size	_ZN9rocsparseL20bsrxmvn_17_32_kernelILj29E21rocsparse_complex_numIfEiiS2_S2_S2_EEvT2_20rocsparse_direction_NS_24const_host_device_scalarIT0_EES3_PKS3_PKT1_SC_S9_PKT3_PKT4_S7_PT5_21rocsparse_index_base_b, .Lfunc_end44-_ZN9rocsparseL20bsrxmvn_17_32_kernelILj29E21rocsparse_complex_numIfEiiS2_S2_S2_EEvT2_20rocsparse_direction_NS_24const_host_device_scalarIT0_EES3_PKS3_PKT1_SC_S9_PKT3_PKT4_S7_PT5_21rocsparse_index_base_b
                                        ; -- End function
	.set _ZN9rocsparseL20bsrxmvn_17_32_kernelILj29E21rocsparse_complex_numIfEiiS2_S2_S2_EEvT2_20rocsparse_direction_NS_24const_host_device_scalarIT0_EES3_PKS3_PKT1_SC_S9_PKT3_PKT4_S7_PT5_21rocsparse_index_base_b.num_vgpr, 18
	.set _ZN9rocsparseL20bsrxmvn_17_32_kernelILj29E21rocsparse_complex_numIfEiiS2_S2_S2_EEvT2_20rocsparse_direction_NS_24const_host_device_scalarIT0_EES3_PKS3_PKT1_SC_S9_PKT3_PKT4_S7_PT5_21rocsparse_index_base_b.num_agpr, 0
	.set _ZN9rocsparseL20bsrxmvn_17_32_kernelILj29E21rocsparse_complex_numIfEiiS2_S2_S2_EEvT2_20rocsparse_direction_NS_24const_host_device_scalarIT0_EES3_PKS3_PKT1_SC_S9_PKT3_PKT4_S7_PT5_21rocsparse_index_base_b.numbered_sgpr, 18
	.set _ZN9rocsparseL20bsrxmvn_17_32_kernelILj29E21rocsparse_complex_numIfEiiS2_S2_S2_EEvT2_20rocsparse_direction_NS_24const_host_device_scalarIT0_EES3_PKS3_PKT1_SC_S9_PKT3_PKT4_S7_PT5_21rocsparse_index_base_b.num_named_barrier, 0
	.set _ZN9rocsparseL20bsrxmvn_17_32_kernelILj29E21rocsparse_complex_numIfEiiS2_S2_S2_EEvT2_20rocsparse_direction_NS_24const_host_device_scalarIT0_EES3_PKS3_PKT1_SC_S9_PKT3_PKT4_S7_PT5_21rocsparse_index_base_b.private_seg_size, 0
	.set _ZN9rocsparseL20bsrxmvn_17_32_kernelILj29E21rocsparse_complex_numIfEiiS2_S2_S2_EEvT2_20rocsparse_direction_NS_24const_host_device_scalarIT0_EES3_PKS3_PKT1_SC_S9_PKT3_PKT4_S7_PT5_21rocsparse_index_base_b.uses_vcc, 1
	.set _ZN9rocsparseL20bsrxmvn_17_32_kernelILj29E21rocsparse_complex_numIfEiiS2_S2_S2_EEvT2_20rocsparse_direction_NS_24const_host_device_scalarIT0_EES3_PKS3_PKT1_SC_S9_PKT3_PKT4_S7_PT5_21rocsparse_index_base_b.uses_flat_scratch, 0
	.set _ZN9rocsparseL20bsrxmvn_17_32_kernelILj29E21rocsparse_complex_numIfEiiS2_S2_S2_EEvT2_20rocsparse_direction_NS_24const_host_device_scalarIT0_EES3_PKS3_PKT1_SC_S9_PKT3_PKT4_S7_PT5_21rocsparse_index_base_b.has_dyn_sized_stack, 0
	.set _ZN9rocsparseL20bsrxmvn_17_32_kernelILj29E21rocsparse_complex_numIfEiiS2_S2_S2_EEvT2_20rocsparse_direction_NS_24const_host_device_scalarIT0_EES3_PKS3_PKT1_SC_S9_PKT3_PKT4_S7_PT5_21rocsparse_index_base_b.has_recursion, 0
	.set _ZN9rocsparseL20bsrxmvn_17_32_kernelILj29E21rocsparse_complex_numIfEiiS2_S2_S2_EEvT2_20rocsparse_direction_NS_24const_host_device_scalarIT0_EES3_PKS3_PKT1_SC_S9_PKT3_PKT4_S7_PT5_21rocsparse_index_base_b.has_indirect_call, 0
	.section	.AMDGPU.csdata,"",@progbits
; Kernel info:
; codeLenInByte = 1408
; TotalNumSgprs: 22
; NumVgprs: 18
; ScratchSize: 0
; MemoryBound: 0
; FloatMode: 240
; IeeeMode: 1
; LDSByteSize: 6728 bytes/workgroup (compile time only)
; SGPRBlocks: 10
; VGPRBlocks: 8
; NumSGPRsForWavesPerEU: 81
; NumVGPRsForWavesPerEU: 33
; Occupancy: 7
; WaveLimiterHint : 1
; COMPUTE_PGM_RSRC2:SCRATCH_EN: 0
; COMPUTE_PGM_RSRC2:USER_SGPR: 6
; COMPUTE_PGM_RSRC2:TRAP_HANDLER: 0
; COMPUTE_PGM_RSRC2:TGID_X_EN: 1
; COMPUTE_PGM_RSRC2:TGID_Y_EN: 0
; COMPUTE_PGM_RSRC2:TGID_Z_EN: 0
; COMPUTE_PGM_RSRC2:TIDIG_COMP_CNT: 0
	.section	.text._ZN9rocsparseL20bsrxmvn_17_32_kernelILj30E21rocsparse_complex_numIfEiiS2_S2_S2_EEvT2_20rocsparse_direction_NS_24const_host_device_scalarIT0_EES3_PKS3_PKT1_SC_S9_PKT3_PKT4_S7_PT5_21rocsparse_index_base_b,"axG",@progbits,_ZN9rocsparseL20bsrxmvn_17_32_kernelILj30E21rocsparse_complex_numIfEiiS2_S2_S2_EEvT2_20rocsparse_direction_NS_24const_host_device_scalarIT0_EES3_PKS3_PKT1_SC_S9_PKT3_PKT4_S7_PT5_21rocsparse_index_base_b,comdat
	.globl	_ZN9rocsparseL20bsrxmvn_17_32_kernelILj30E21rocsparse_complex_numIfEiiS2_S2_S2_EEvT2_20rocsparse_direction_NS_24const_host_device_scalarIT0_EES3_PKS3_PKT1_SC_S9_PKT3_PKT4_S7_PT5_21rocsparse_index_base_b ; -- Begin function _ZN9rocsparseL20bsrxmvn_17_32_kernelILj30E21rocsparse_complex_numIfEiiS2_S2_S2_EEvT2_20rocsparse_direction_NS_24const_host_device_scalarIT0_EES3_PKS3_PKT1_SC_S9_PKT3_PKT4_S7_PT5_21rocsparse_index_base_b
	.p2align	8
	.type	_ZN9rocsparseL20bsrxmvn_17_32_kernelILj30E21rocsparse_complex_numIfEiiS2_S2_S2_EEvT2_20rocsparse_direction_NS_24const_host_device_scalarIT0_EES3_PKS3_PKT1_SC_S9_PKT3_PKT4_S7_PT5_21rocsparse_index_base_b,@function
_ZN9rocsparseL20bsrxmvn_17_32_kernelILj30E21rocsparse_complex_numIfEiiS2_S2_S2_EEvT2_20rocsparse_direction_NS_24const_host_device_scalarIT0_EES3_PKS3_PKT1_SC_S9_PKT3_PKT4_S7_PT5_21rocsparse_index_base_b: ; @_ZN9rocsparseL20bsrxmvn_17_32_kernelILj30E21rocsparse_complex_numIfEiiS2_S2_S2_EEvT2_20rocsparse_direction_NS_24const_host_device_scalarIT0_EES3_PKS3_PKT1_SC_S9_PKT3_PKT4_S7_PT5_21rocsparse_index_base_b
; %bb.0:
	s_load_dwordx2 s[0:1], s[4:5], 0x8
	s_load_dwordx2 s[14:15], s[4:5], 0x58
	s_add_u32 s7, s4, 8
	s_addc_u32 s8, s5, 0
	s_add_u32 s9, s4, 0x48
	s_load_dwordx2 s[2:3], s[4:5], 0x48
	s_addc_u32 s10, s5, 0
	s_waitcnt lgkmcnt(0)
	s_bitcmp1_b32 s15, 0
	s_cselect_b32 s1, s8, s1
	s_cselect_b32 s0, s7, s0
	v_mov_b32_e32 v1, s0
	v_mov_b32_e32 v2, s1
	flat_load_dwordx2 v[3:4], v[1:2]
	s_cselect_b32 s0, s10, s3
	s_cselect_b32 s1, s9, s2
	v_mov_b32_e32 v1, s1
	v_mov_b32_e32 v2, s0
	flat_load_dwordx2 v[1:2], v[1:2]
	s_waitcnt vmcnt(0) lgkmcnt(0)
	v_cmp_eq_f32_e32 vcc, 0, v3
	v_cmp_eq_f32_e64 s[0:1], 0, v4
	s_and_b64 s[8:9], vcc, s[0:1]
	s_mov_b64 s[0:1], -1
	s_and_saveexec_b64 s[2:3], s[8:9]
; %bb.1:
	v_cmp_neq_f32_e32 vcc, 1.0, v1
	v_cmp_neq_f32_e64 s[0:1], 0, v2
	s_or_b64 s[0:1], vcc, s[0:1]
	s_orn2_b64 s[0:1], s[0:1], exec
; %bb.2:
	s_or_b64 exec, exec, s[2:3]
	s_and_saveexec_b64 s[2:3], s[0:1]
	s_cbranch_execz .LBB45_39
; %bb.3:
	s_load_dwordx4 s[0:3], s[4:5], 0x18
	s_load_dwordx2 s[8:9], s[4:5], 0x28
	s_waitcnt lgkmcnt(0)
	s_cmp_eq_u64 s[0:1], 0
	s_cbranch_scc1 .LBB45_5
; %bb.4:
	s_ashr_i32 s7, s6, 31
	s_lshl_b64 s[6:7], s[6:7], 2
	s_add_u32 s0, s0, s6
	s_addc_u32 s1, s1, s7
	s_load_dword s0, s[0:1], 0x0
	s_waitcnt lgkmcnt(0)
	s_sub_i32 s6, s0, s14
.LBB45_5:
	s_load_dword s0, s[4:5], 0x4
	s_load_dwordx2 s[12:13], s[4:5], 0x50
	v_mul_u32_u24_e32 v7, 0x889, v0
	v_mov_b32_e32 v5, 30
	v_mul_lo_u16_sdwa v5, v7, v5 dst_sel:DWORD dst_unused:UNUSED_PAD src0_sel:WORD_1 src1_sel:DWORD
	s_waitcnt lgkmcnt(0)
	s_cmp_eq_u32 s0, 1
	s_cselect_b64 vcc, -1, 0
	s_cmp_lg_u32 s0, 1
	s_cselect_b64 s[16:17], -1, 0
	s_ashr_i32 s7, s6, 31
	s_lshl_b64 s[0:1], s[6:7], 2
	s_add_u32 s2, s2, s0
	s_addc_u32 s3, s3, s1
	s_load_dword s7, s[2:3], 0x0
	s_add_u32 s2, s2, 4
	s_addc_u32 s3, s3, 0
	s_add_u32 s0, s8, s0
	s_addc_u32 s1, s9, s1
	s_cmp_eq_u64 s[8:9], 0
	s_cselect_b32 s1, s3, s1
	s_cselect_b32 s0, s2, s0
	s_load_dword s0, s[0:1], 0x0
	v_sub_u16_e32 v13, v0, v5
	v_mov_b32_e32 v6, 0
	v_lshlrev_b32_e32 v12, 3, v0
	v_mov_b32_e32 v5, 0
	s_waitcnt lgkmcnt(0)
	s_cmp_ge_i32 s7, s0
	s_cbranch_scc1 .LBB45_10
; %bb.6:
	s_load_dwordx4 s[8:11], s[4:5], 0x30
	s_load_dwordx2 s[2:3], s[4:5], 0x40
	s_sub_i32 s4, s0, s14
	s_mov_b32 s0, 0xffff
	s_movk_i32 s1, 0x384
	v_and_b32_sdwa v5, s0, v7 dst_sel:DWORD dst_unused:UNUSED_PAD src0_sel:DWORD src1_sel:WORD_1
	v_subrev_u32_e32 v6, 30, v5
	v_cmp_gt_u32_e64 s[0:1], s1, v0
	s_sub_i32 s5, s7, s14
	v_cndmask_b32_e64 v5, v6, v5, s[0:1]
	s_mul_i32 s1, s5, 0x1c20
	s_mul_hi_i32 s0, s5, 0x1c20
	s_waitcnt lgkmcnt(0)
	s_add_u32 s1, s10, s1
	s_addc_u32 s0, s11, s0
	v_cndmask_b32_e32 v7, v13, v5, vcc
	v_mov_b32_e32 v5, s0
	v_add_co_u32_e32 v8, vcc, s1, v12
	v_addc_co_u32_e32 v9, vcc, 0, v5, vcc
	s_movk_i32 s0, 0x383
	v_mov_b32_e32 v6, 0
	v_cmp_lt_u32_e32 vcc, s0, v0
	v_cndmask_b32_e64 v14, 0, 1, vcc
	v_mov_b32_e32 v5, v6
	s_branch .LBB45_8
.LBB45_7:                               ;   in Loop: Header=BB45_8 Depth=1
	s_or_b64 exec, exec, s[0:1]
	s_add_i32 s5, s5, 1
	s_cmp_lt_i32 s5, s4
	s_cbranch_scc0 .LBB45_10
.LBB45_8:                               ; =>This Inner Loop Header: Depth=1
	v_add_u32_e32 v10, s5, v14
	v_cmp_gt_i32_e32 vcc, s4, v10
	s_and_saveexec_b64 s[0:1], vcc
	s_cbranch_execz .LBB45_7
; %bb.9:                                ;   in Loop: Header=BB45_8 Depth=1
	v_ashrrev_i32_e32 v11, 31, v10
	v_lshlrev_b64 v[10:11], 2, v[10:11]
	v_mov_b32_e32 v15, s9
	v_add_co_u32_e32 v10, vcc, s8, v10
	v_addc_co_u32_e32 v11, vcc, v15, v11, vcc
	global_load_dword v10, v[10:11], off
	v_mov_b32_e32 v17, s3
	global_load_dwordx2 v[15:16], v[8:9], off
	s_waitcnt vmcnt(1)
	v_subrev_u32_e32 v10, s14, v10
	v_mad_u64_u32 v[10:11], s[10:11], v10, 30, v[7:8]
	v_ashrrev_i32_e32 v11, 31, v10
	v_lshlrev_b64 v[10:11], 3, v[10:11]
	v_add_co_u32_e32 v10, vcc, s2, v10
	v_addc_co_u32_e32 v11, vcc, v17, v11, vcc
	global_load_dwordx2 v[10:11], v[10:11], off
	v_add_co_u32_e32 v8, vcc, 0x1c20, v8
	v_addc_co_u32_e32 v9, vcc, 0, v9, vcc
	s_waitcnt vmcnt(0)
	v_fmac_f32_e32 v5, v15, v10
	v_fmac_f32_e32 v6, v16, v10
	v_fma_f32 v5, -v16, v11, v5
	v_fmac_f32_e32 v6, v15, v11
	s_branch .LBB45_7
.LBB45_10:
	s_and_b64 vcc, exec, s[16:17]
	ds_write_b64 v12, v[5:6]
	s_waitcnt lgkmcnt(0)
	s_barrier
	s_cbranch_vccz .LBB45_22
; %bb.11:
	v_cmp_gt_u16_e32 vcc, 14, v13
	s_and_saveexec_b64 s[0:1], vcc
	s_cbranch_execz .LBB45_13
; %bb.12:
	ds_read2_b64 v[7:10], v12 offset1:16
	s_waitcnt lgkmcnt(0)
	v_add_f32_e32 v7, v9, v7
	v_add_f32_e32 v8, v10, v8
	ds_write_b64 v12, v[7:8]
.LBB45_13:
	s_or_b64 exec, exec, s[0:1]
	v_cmp_gt_u16_e32 vcc, 8, v13
	s_waitcnt lgkmcnt(0)
	s_barrier
	s_and_saveexec_b64 s[0:1], vcc
	s_cbranch_execz .LBB45_15
; %bb.14:
	ds_read2_b64 v[7:10], v12 offset1:8
	s_waitcnt lgkmcnt(0)
	v_add_f32_e32 v7, v9, v7
	v_add_f32_e32 v8, v10, v8
	ds_write_b64 v12, v[7:8]
.LBB45_15:
	s_or_b64 exec, exec, s[0:1]
	v_cmp_gt_u16_e32 vcc, 4, v13
	s_waitcnt lgkmcnt(0)
	s_barrier
	;; [unrolled: 13-line block ×3, first 2 shown]
	s_and_saveexec_b64 s[0:1], vcc
	s_cbranch_execz .LBB45_19
; %bb.18:
	ds_read2_b64 v[7:10], v12 offset1:2
	s_waitcnt lgkmcnt(0)
	v_add_f32_e32 v7, v9, v7
	v_add_f32_e32 v8, v10, v8
	ds_write_b64 v12, v[7:8]
.LBB45_19:
	s_or_b64 exec, exec, s[0:1]
	v_cmp_gt_u32_e32 vcc, 30, v0
	v_mov_b32_e32 v8, v6
	v_mov_b32_e32 v7, v5
	s_waitcnt lgkmcnt(0)
	s_barrier
	s_and_saveexec_b64 s[0:1], vcc
	s_cbranch_execz .LBB45_21
; %bb.20:
	s_movk_i32 s2, 0xe8
	v_mad_u32_u24 v7, v0, s2, v12
	ds_read2_b64 v[7:10], v7 offset1:1
	s_waitcnt lgkmcnt(0)
	v_add_f32_e32 v7, v9, v7
	v_add_f32_e32 v8, v10, v8
.LBB45_21:
	s_or_b64 exec, exec, s[0:1]
	s_branch .LBB45_34
.LBB45_22:
                                        ; implicit-def: $vgpr8
                                        ; implicit-def: $vgpr7
	s_cbranch_execz .LBB45_34
; %bb.23:
	s_movk_i32 s0, 0x1a4
	v_cmp_gt_u32_e32 vcc, s0, v0
	s_and_saveexec_b64 s[0:1], vcc
	s_cbranch_execz .LBB45_25
; %bb.24:
	ds_read_b64 v[7:8], v12 offset:3840
	ds_read_b64 v[9:10], v12
	s_waitcnt lgkmcnt(0)
	v_add_f32_e32 v7, v7, v9
	v_add_f32_e32 v8, v8, v10
	ds_write_b64 v12, v[7:8]
.LBB45_25:
	s_or_b64 exec, exec, s[0:1]
	s_movk_i32 s0, 0xf0
	v_cmp_gt_u32_e32 vcc, s0, v0
	s_waitcnt lgkmcnt(0)
	s_barrier
	s_and_saveexec_b64 s[0:1], vcc
	s_cbranch_execz .LBB45_27
; %bb.26:
	ds_read2_b64 v[7:10], v12 offset1:240
	s_waitcnt lgkmcnt(0)
	v_add_f32_e32 v7, v9, v7
	v_add_f32_e32 v8, v10, v8
	ds_write_b64 v12, v[7:8]
.LBB45_27:
	s_or_b64 exec, exec, s[0:1]
	s_movk_i32 s0, 0x78
	v_cmp_gt_u32_e32 vcc, s0, v0
	s_waitcnt lgkmcnt(0)
	s_barrier
	s_and_saveexec_b64 s[0:1], vcc
	s_cbranch_execz .LBB45_29
; %bb.28:
	ds_read2_b64 v[7:10], v12 offset1:120
	s_waitcnt lgkmcnt(0)
	v_add_f32_e32 v7, v9, v7
	v_add_f32_e32 v8, v10, v8
	ds_write_b64 v12, v[7:8]
.LBB45_29:
	s_or_b64 exec, exec, s[0:1]
	v_cmp_gt_u32_e32 vcc, 60, v0
	s_waitcnt lgkmcnt(0)
	s_barrier
	s_and_saveexec_b64 s[0:1], vcc
	s_cbranch_execz .LBB45_31
; %bb.30:
	ds_read2_b64 v[7:10], v12 offset1:60
	s_waitcnt lgkmcnt(0)
	v_add_f32_e32 v7, v9, v7
	v_add_f32_e32 v8, v10, v8
	ds_write_b64 v12, v[7:8]
.LBB45_31:
	s_or_b64 exec, exec, s[0:1]
	v_cmp_gt_u32_e32 vcc, 30, v0
	s_waitcnt lgkmcnt(0)
	s_and_saveexec_b64 s[0:1], vcc
	s_cbranch_execz .LBB45_33
; %bb.32:
	ds_read2_b64 v[5:8], v12 offset1:30
	s_waitcnt lgkmcnt(0)
	v_add_f32_e32 v5, v7, v5
	v_add_f32_e32 v6, v8, v6
.LBB45_33:
	s_or_b64 exec, exec, s[0:1]
	v_mov_b32_e32 v8, v6
	v_mov_b32_e32 v7, v5
.LBB45_34:
	v_cmp_gt_u32_e32 vcc, 30, v0
	s_and_b64 exec, exec, vcc
	s_cbranch_execz .LBB45_39
; %bb.35:
	v_cmp_eq_f32_e32 vcc, 0, v1
	v_cmp_eq_f32_e64 s[0:1], 0, v2
	v_mul_f32_e64 v5, v8, -v4
	v_mul_f32_e32 v6, v3, v8
	s_and_b64 s[0:1], vcc, s[0:1]
	v_fmac_f32_e32 v5, v3, v7
	v_fmac_f32_e32 v6, v4, v7
	s_and_saveexec_b64 s[2:3], s[0:1]
	s_xor_b64 s[0:1], exec, s[2:3]
	s_cbranch_execz .LBB45_37
; %bb.36:
	v_mad_u64_u32 v[0:1], s[2:3], s6, 30, v[0:1]
	v_mov_b32_e32 v1, 0
	v_mov_b32_e32 v2, s13
	v_lshlrev_b64 v[0:1], 3, v[0:1]
	v_add_co_u32_e32 v0, vcc, s12, v0
	v_addc_co_u32_e32 v1, vcc, v2, v1, vcc
	global_store_dwordx2 v[0:1], v[5:6], off
                                        ; implicit-def: $vgpr0
                                        ; implicit-def: $vgpr1_vgpr2
                                        ; implicit-def: $vgpr5
.LBB45_37:
	s_andn2_saveexec_b64 s[0:1], s[0:1]
	s_cbranch_execz .LBB45_39
; %bb.38:
	v_mad_u64_u32 v[3:4], s[0:1], s6, 30, v[0:1]
	v_mov_b32_e32 v4, 0
	v_mov_b32_e32 v0, s13
	v_lshlrev_b64 v[3:4], 3, v[3:4]
	v_add_co_u32_e32 v3, vcc, s12, v3
	v_addc_co_u32_e32 v4, vcc, v0, v4, vcc
	global_load_dwordx2 v[7:8], v[3:4], off
	s_waitcnt vmcnt(0)
	v_fmac_f32_e32 v5, v1, v7
	v_fmac_f32_e32 v6, v2, v7
	v_fma_f32 v5, -v2, v8, v5
	v_fmac_f32_e32 v6, v1, v8
	global_store_dwordx2 v[3:4], v[5:6], off
.LBB45_39:
	s_endpgm
	.section	.rodata,"a",@progbits
	.p2align	6, 0x0
	.amdhsa_kernel _ZN9rocsparseL20bsrxmvn_17_32_kernelILj30E21rocsparse_complex_numIfEiiS2_S2_S2_EEvT2_20rocsparse_direction_NS_24const_host_device_scalarIT0_EES3_PKS3_PKT1_SC_S9_PKT3_PKT4_S7_PT5_21rocsparse_index_base_b
		.amdhsa_group_segment_fixed_size 7200
		.amdhsa_private_segment_fixed_size 0
		.amdhsa_kernarg_size 96
		.amdhsa_user_sgpr_count 6
		.amdhsa_user_sgpr_private_segment_buffer 1
		.amdhsa_user_sgpr_dispatch_ptr 0
		.amdhsa_user_sgpr_queue_ptr 0
		.amdhsa_user_sgpr_kernarg_segment_ptr 1
		.amdhsa_user_sgpr_dispatch_id 0
		.amdhsa_user_sgpr_flat_scratch_init 0
		.amdhsa_user_sgpr_private_segment_size 0
		.amdhsa_uses_dynamic_stack 0
		.amdhsa_system_sgpr_private_segment_wavefront_offset 0
		.amdhsa_system_sgpr_workgroup_id_x 1
		.amdhsa_system_sgpr_workgroup_id_y 0
		.amdhsa_system_sgpr_workgroup_id_z 0
		.amdhsa_system_sgpr_workgroup_info 0
		.amdhsa_system_vgpr_workitem_id 0
		.amdhsa_next_free_vgpr 29
		.amdhsa_next_free_sgpr 61
		.amdhsa_reserve_vcc 1
		.amdhsa_reserve_flat_scratch 0
		.amdhsa_float_round_mode_32 0
		.amdhsa_float_round_mode_16_64 0
		.amdhsa_float_denorm_mode_32 3
		.amdhsa_float_denorm_mode_16_64 3
		.amdhsa_dx10_clamp 1
		.amdhsa_ieee_mode 1
		.amdhsa_fp16_overflow 0
		.amdhsa_exception_fp_ieee_invalid_op 0
		.amdhsa_exception_fp_denorm_src 0
		.amdhsa_exception_fp_ieee_div_zero 0
		.amdhsa_exception_fp_ieee_overflow 0
		.amdhsa_exception_fp_ieee_underflow 0
		.amdhsa_exception_fp_ieee_inexact 0
		.amdhsa_exception_int_div_zero 0
	.end_amdhsa_kernel
	.section	.text._ZN9rocsparseL20bsrxmvn_17_32_kernelILj30E21rocsparse_complex_numIfEiiS2_S2_S2_EEvT2_20rocsparse_direction_NS_24const_host_device_scalarIT0_EES3_PKS3_PKT1_SC_S9_PKT3_PKT4_S7_PT5_21rocsparse_index_base_b,"axG",@progbits,_ZN9rocsparseL20bsrxmvn_17_32_kernelILj30E21rocsparse_complex_numIfEiiS2_S2_S2_EEvT2_20rocsparse_direction_NS_24const_host_device_scalarIT0_EES3_PKS3_PKT1_SC_S9_PKT3_PKT4_S7_PT5_21rocsparse_index_base_b,comdat
.Lfunc_end45:
	.size	_ZN9rocsparseL20bsrxmvn_17_32_kernelILj30E21rocsparse_complex_numIfEiiS2_S2_S2_EEvT2_20rocsparse_direction_NS_24const_host_device_scalarIT0_EES3_PKS3_PKT1_SC_S9_PKT3_PKT4_S7_PT5_21rocsparse_index_base_b, .Lfunc_end45-_ZN9rocsparseL20bsrxmvn_17_32_kernelILj30E21rocsparse_complex_numIfEiiS2_S2_S2_EEvT2_20rocsparse_direction_NS_24const_host_device_scalarIT0_EES3_PKS3_PKT1_SC_S9_PKT3_PKT4_S7_PT5_21rocsparse_index_base_b
                                        ; -- End function
	.set _ZN9rocsparseL20bsrxmvn_17_32_kernelILj30E21rocsparse_complex_numIfEiiS2_S2_S2_EEvT2_20rocsparse_direction_NS_24const_host_device_scalarIT0_EES3_PKS3_PKT1_SC_S9_PKT3_PKT4_S7_PT5_21rocsparse_index_base_b.num_vgpr, 18
	.set _ZN9rocsparseL20bsrxmvn_17_32_kernelILj30E21rocsparse_complex_numIfEiiS2_S2_S2_EEvT2_20rocsparse_direction_NS_24const_host_device_scalarIT0_EES3_PKS3_PKT1_SC_S9_PKT3_PKT4_S7_PT5_21rocsparse_index_base_b.num_agpr, 0
	.set _ZN9rocsparseL20bsrxmvn_17_32_kernelILj30E21rocsparse_complex_numIfEiiS2_S2_S2_EEvT2_20rocsparse_direction_NS_24const_host_device_scalarIT0_EES3_PKS3_PKT1_SC_S9_PKT3_PKT4_S7_PT5_21rocsparse_index_base_b.numbered_sgpr, 18
	.set _ZN9rocsparseL20bsrxmvn_17_32_kernelILj30E21rocsparse_complex_numIfEiiS2_S2_S2_EEvT2_20rocsparse_direction_NS_24const_host_device_scalarIT0_EES3_PKS3_PKT1_SC_S9_PKT3_PKT4_S7_PT5_21rocsparse_index_base_b.num_named_barrier, 0
	.set _ZN9rocsparseL20bsrxmvn_17_32_kernelILj30E21rocsparse_complex_numIfEiiS2_S2_S2_EEvT2_20rocsparse_direction_NS_24const_host_device_scalarIT0_EES3_PKS3_PKT1_SC_S9_PKT3_PKT4_S7_PT5_21rocsparse_index_base_b.private_seg_size, 0
	.set _ZN9rocsparseL20bsrxmvn_17_32_kernelILj30E21rocsparse_complex_numIfEiiS2_S2_S2_EEvT2_20rocsparse_direction_NS_24const_host_device_scalarIT0_EES3_PKS3_PKT1_SC_S9_PKT3_PKT4_S7_PT5_21rocsparse_index_base_b.uses_vcc, 1
	.set _ZN9rocsparseL20bsrxmvn_17_32_kernelILj30E21rocsparse_complex_numIfEiiS2_S2_S2_EEvT2_20rocsparse_direction_NS_24const_host_device_scalarIT0_EES3_PKS3_PKT1_SC_S9_PKT3_PKT4_S7_PT5_21rocsparse_index_base_b.uses_flat_scratch, 0
	.set _ZN9rocsparseL20bsrxmvn_17_32_kernelILj30E21rocsparse_complex_numIfEiiS2_S2_S2_EEvT2_20rocsparse_direction_NS_24const_host_device_scalarIT0_EES3_PKS3_PKT1_SC_S9_PKT3_PKT4_S7_PT5_21rocsparse_index_base_b.has_dyn_sized_stack, 0
	.set _ZN9rocsparseL20bsrxmvn_17_32_kernelILj30E21rocsparse_complex_numIfEiiS2_S2_S2_EEvT2_20rocsparse_direction_NS_24const_host_device_scalarIT0_EES3_PKS3_PKT1_SC_S9_PKT3_PKT4_S7_PT5_21rocsparse_index_base_b.has_recursion, 0
	.set _ZN9rocsparseL20bsrxmvn_17_32_kernelILj30E21rocsparse_complex_numIfEiiS2_S2_S2_EEvT2_20rocsparse_direction_NS_24const_host_device_scalarIT0_EES3_PKS3_PKT1_SC_S9_PKT3_PKT4_S7_PT5_21rocsparse_index_base_b.has_indirect_call, 0
	.section	.AMDGPU.csdata,"",@progbits
; Kernel info:
; codeLenInByte = 1408
; TotalNumSgprs: 22
; NumVgprs: 18
; ScratchSize: 0
; MemoryBound: 0
; FloatMode: 240
; IeeeMode: 1
; LDSByteSize: 7200 bytes/workgroup (compile time only)
; SGPRBlocks: 8
; VGPRBlocks: 7
; NumSGPRsForWavesPerEU: 65
; NumVGPRsForWavesPerEU: 29
; Occupancy: 8
; WaveLimiterHint : 1
; COMPUTE_PGM_RSRC2:SCRATCH_EN: 0
; COMPUTE_PGM_RSRC2:USER_SGPR: 6
; COMPUTE_PGM_RSRC2:TRAP_HANDLER: 0
; COMPUTE_PGM_RSRC2:TGID_X_EN: 1
; COMPUTE_PGM_RSRC2:TGID_Y_EN: 0
; COMPUTE_PGM_RSRC2:TGID_Z_EN: 0
; COMPUTE_PGM_RSRC2:TIDIG_COMP_CNT: 0
	.section	.text._ZN9rocsparseL20bsrxmvn_17_32_kernelILj31E21rocsparse_complex_numIfEiiS2_S2_S2_EEvT2_20rocsparse_direction_NS_24const_host_device_scalarIT0_EES3_PKS3_PKT1_SC_S9_PKT3_PKT4_S7_PT5_21rocsparse_index_base_b,"axG",@progbits,_ZN9rocsparseL20bsrxmvn_17_32_kernelILj31E21rocsparse_complex_numIfEiiS2_S2_S2_EEvT2_20rocsparse_direction_NS_24const_host_device_scalarIT0_EES3_PKS3_PKT1_SC_S9_PKT3_PKT4_S7_PT5_21rocsparse_index_base_b,comdat
	.globl	_ZN9rocsparseL20bsrxmvn_17_32_kernelILj31E21rocsparse_complex_numIfEiiS2_S2_S2_EEvT2_20rocsparse_direction_NS_24const_host_device_scalarIT0_EES3_PKS3_PKT1_SC_S9_PKT3_PKT4_S7_PT5_21rocsparse_index_base_b ; -- Begin function _ZN9rocsparseL20bsrxmvn_17_32_kernelILj31E21rocsparse_complex_numIfEiiS2_S2_S2_EEvT2_20rocsparse_direction_NS_24const_host_device_scalarIT0_EES3_PKS3_PKT1_SC_S9_PKT3_PKT4_S7_PT5_21rocsparse_index_base_b
	.p2align	8
	.type	_ZN9rocsparseL20bsrxmvn_17_32_kernelILj31E21rocsparse_complex_numIfEiiS2_S2_S2_EEvT2_20rocsparse_direction_NS_24const_host_device_scalarIT0_EES3_PKS3_PKT1_SC_S9_PKT3_PKT4_S7_PT5_21rocsparse_index_base_b,@function
_ZN9rocsparseL20bsrxmvn_17_32_kernelILj31E21rocsparse_complex_numIfEiiS2_S2_S2_EEvT2_20rocsparse_direction_NS_24const_host_device_scalarIT0_EES3_PKS3_PKT1_SC_S9_PKT3_PKT4_S7_PT5_21rocsparse_index_base_b: ; @_ZN9rocsparseL20bsrxmvn_17_32_kernelILj31E21rocsparse_complex_numIfEiiS2_S2_S2_EEvT2_20rocsparse_direction_NS_24const_host_device_scalarIT0_EES3_PKS3_PKT1_SC_S9_PKT3_PKT4_S7_PT5_21rocsparse_index_base_b
; %bb.0:
	s_load_dwordx2 s[0:1], s[4:5], 0x8
	s_load_dwordx2 s[14:15], s[4:5], 0x58
	s_add_u32 s7, s4, 8
	s_addc_u32 s8, s5, 0
	s_add_u32 s9, s4, 0x48
	s_load_dwordx2 s[2:3], s[4:5], 0x48
	s_addc_u32 s10, s5, 0
	s_waitcnt lgkmcnt(0)
	s_bitcmp1_b32 s15, 0
	s_cselect_b32 s1, s8, s1
	s_cselect_b32 s0, s7, s0
	v_mov_b32_e32 v1, s0
	v_mov_b32_e32 v2, s1
	flat_load_dwordx2 v[3:4], v[1:2]
	s_cselect_b32 s0, s10, s3
	s_cselect_b32 s1, s9, s2
	v_mov_b32_e32 v1, s1
	v_mov_b32_e32 v2, s0
	flat_load_dwordx2 v[1:2], v[1:2]
	s_waitcnt vmcnt(0) lgkmcnt(0)
	v_cmp_eq_f32_e32 vcc, 0, v3
	v_cmp_eq_f32_e64 s[0:1], 0, v4
	s_and_b64 s[8:9], vcc, s[0:1]
	s_mov_b64 s[0:1], -1
	s_and_saveexec_b64 s[2:3], s[8:9]
; %bb.1:
	v_cmp_neq_f32_e32 vcc, 1.0, v1
	v_cmp_neq_f32_e64 s[0:1], 0, v2
	s_or_b64 s[0:1], vcc, s[0:1]
	s_orn2_b64 s[0:1], s[0:1], exec
; %bb.2:
	s_or_b64 exec, exec, s[2:3]
	s_and_saveexec_b64 s[2:3], s[0:1]
	s_cbranch_execz .LBB46_39
; %bb.3:
	s_load_dwordx4 s[0:3], s[4:5], 0x18
	s_load_dwordx2 s[8:9], s[4:5], 0x28
	s_waitcnt lgkmcnt(0)
	s_cmp_eq_u64 s[0:1], 0
	s_cbranch_scc1 .LBB46_5
; %bb.4:
	s_ashr_i32 s7, s6, 31
	s_lshl_b64 s[6:7], s[6:7], 2
	s_add_u32 s0, s0, s6
	s_addc_u32 s1, s1, s7
	s_load_dword s0, s[0:1], 0x0
	s_waitcnt lgkmcnt(0)
	s_sub_i32 s6, s0, s14
.LBB46_5:
	s_load_dword s0, s[4:5], 0x4
	s_load_dwordx2 s[12:13], s[4:5], 0x50
	v_mul_u32_u24_e32 v7, 0x843, v0
	v_mov_b32_e32 v5, 31
	v_mul_lo_u16_sdwa v5, v7, v5 dst_sel:DWORD dst_unused:UNUSED_PAD src0_sel:WORD_1 src1_sel:DWORD
	s_waitcnt lgkmcnt(0)
	s_cmp_eq_u32 s0, 1
	s_cselect_b64 vcc, -1, 0
	s_cmp_lg_u32 s0, 1
	s_cselect_b64 s[16:17], -1, 0
	s_ashr_i32 s7, s6, 31
	s_lshl_b64 s[0:1], s[6:7], 2
	s_add_u32 s2, s2, s0
	s_addc_u32 s3, s3, s1
	s_load_dword s7, s[2:3], 0x0
	s_add_u32 s2, s2, 4
	s_addc_u32 s3, s3, 0
	s_add_u32 s0, s8, s0
	s_addc_u32 s1, s9, s1
	s_cmp_eq_u64 s[8:9], 0
	s_cselect_b32 s1, s3, s1
	s_cselect_b32 s0, s2, s0
	s_load_dword s0, s[0:1], 0x0
	v_sub_u16_e32 v13, v0, v5
	v_mov_b32_e32 v6, 0
	v_lshlrev_b32_e32 v12, 3, v0
	v_mov_b32_e32 v5, 0
	s_waitcnt lgkmcnt(0)
	s_cmp_ge_i32 s7, s0
	s_cbranch_scc1 .LBB46_10
; %bb.6:
	s_load_dwordx4 s[8:11], s[4:5], 0x30
	s_load_dwordx2 s[2:3], s[4:5], 0x40
	s_sub_i32 s4, s0, s14
	s_mov_b32 s0, 0xffff
	s_movk_i32 s1, 0x3c1
	v_and_b32_sdwa v5, s0, v7 dst_sel:DWORD dst_unused:UNUSED_PAD src0_sel:DWORD src1_sel:WORD_1
	v_subrev_u32_e32 v6, 31, v5
	v_cmp_gt_u32_e64 s[0:1], s1, v0
	s_sub_i32 s5, s7, s14
	v_cndmask_b32_e64 v5, v6, v5, s[0:1]
	s_mul_i32 s1, s5, 0x1e08
	s_mul_hi_i32 s0, s5, 0x1e08
	s_waitcnt lgkmcnt(0)
	s_add_u32 s1, s10, s1
	s_addc_u32 s0, s11, s0
	v_cndmask_b32_e32 v7, v13, v5, vcc
	v_mov_b32_e32 v5, s0
	v_add_co_u32_e32 v8, vcc, s1, v12
	v_addc_co_u32_e32 v9, vcc, 0, v5, vcc
	s_movk_i32 s0, 0x3c0
	v_mov_b32_e32 v6, 0
	v_cmp_lt_u32_e32 vcc, s0, v0
	v_cndmask_b32_e64 v14, 0, 1, vcc
	v_mov_b32_e32 v5, v6
	s_branch .LBB46_8
.LBB46_7:                               ;   in Loop: Header=BB46_8 Depth=1
	s_or_b64 exec, exec, s[0:1]
	s_add_i32 s5, s5, 1
	s_cmp_lt_i32 s5, s4
	s_cbranch_scc0 .LBB46_10
.LBB46_8:                               ; =>This Inner Loop Header: Depth=1
	v_add_u32_e32 v10, s5, v14
	v_cmp_gt_i32_e32 vcc, s4, v10
	s_and_saveexec_b64 s[0:1], vcc
	s_cbranch_execz .LBB46_7
; %bb.9:                                ;   in Loop: Header=BB46_8 Depth=1
	v_ashrrev_i32_e32 v11, 31, v10
	v_lshlrev_b64 v[10:11], 2, v[10:11]
	v_mov_b32_e32 v15, s9
	v_add_co_u32_e32 v10, vcc, s8, v10
	v_addc_co_u32_e32 v11, vcc, v15, v11, vcc
	global_load_dword v10, v[10:11], off
	v_mov_b32_e32 v17, s3
	global_load_dwordx2 v[15:16], v[8:9], off
	s_waitcnt vmcnt(1)
	v_subrev_u32_e32 v10, s14, v10
	v_mad_u64_u32 v[10:11], s[10:11], v10, 31, v[7:8]
	v_ashrrev_i32_e32 v11, 31, v10
	v_lshlrev_b64 v[10:11], 3, v[10:11]
	v_add_co_u32_e32 v10, vcc, s2, v10
	v_addc_co_u32_e32 v11, vcc, v17, v11, vcc
	global_load_dwordx2 v[10:11], v[10:11], off
	v_add_co_u32_e32 v8, vcc, 0x1e08, v8
	v_addc_co_u32_e32 v9, vcc, 0, v9, vcc
	s_waitcnt vmcnt(0)
	v_fmac_f32_e32 v5, v15, v10
	v_fmac_f32_e32 v6, v16, v10
	v_fma_f32 v5, -v16, v11, v5
	v_fmac_f32_e32 v6, v15, v11
	s_branch .LBB46_7
.LBB46_10:
	s_and_b64 vcc, exec, s[16:17]
	ds_write_b64 v12, v[5:6]
	s_waitcnt lgkmcnt(0)
	s_barrier
	s_cbranch_vccz .LBB46_22
; %bb.11:
	v_cmp_gt_u16_e32 vcc, 15, v13
	s_and_saveexec_b64 s[0:1], vcc
	s_cbranch_execz .LBB46_13
; %bb.12:
	ds_read2_b64 v[7:10], v12 offset1:16
	s_waitcnt lgkmcnt(0)
	v_add_f32_e32 v7, v9, v7
	v_add_f32_e32 v8, v10, v8
	ds_write_b64 v12, v[7:8]
.LBB46_13:
	s_or_b64 exec, exec, s[0:1]
	v_cmp_gt_u16_e32 vcc, 8, v13
	s_waitcnt lgkmcnt(0)
	s_barrier
	s_and_saveexec_b64 s[0:1], vcc
	s_cbranch_execz .LBB46_15
; %bb.14:
	ds_read2_b64 v[7:10], v12 offset1:8
	s_waitcnt lgkmcnt(0)
	v_add_f32_e32 v7, v9, v7
	v_add_f32_e32 v8, v10, v8
	ds_write_b64 v12, v[7:8]
.LBB46_15:
	s_or_b64 exec, exec, s[0:1]
	v_cmp_gt_u16_e32 vcc, 4, v13
	s_waitcnt lgkmcnt(0)
	s_barrier
	;; [unrolled: 13-line block ×3, first 2 shown]
	s_and_saveexec_b64 s[0:1], vcc
	s_cbranch_execz .LBB46_19
; %bb.18:
	ds_read2_b64 v[7:10], v12 offset1:2
	s_waitcnt lgkmcnt(0)
	v_add_f32_e32 v7, v9, v7
	v_add_f32_e32 v8, v10, v8
	ds_write_b64 v12, v[7:8]
.LBB46_19:
	s_or_b64 exec, exec, s[0:1]
	v_cmp_gt_u32_e32 vcc, 31, v0
	v_mov_b32_e32 v8, v6
	v_mov_b32_e32 v7, v5
	s_waitcnt lgkmcnt(0)
	s_barrier
	s_and_saveexec_b64 s[0:1], vcc
	s_cbranch_execz .LBB46_21
; %bb.20:
	s_movk_i32 s2, 0xf0
	v_mad_u32_u24 v7, v0, s2, v12
	ds_read2_b64 v[7:10], v7 offset1:1
	s_waitcnt lgkmcnt(0)
	v_add_f32_e32 v7, v9, v7
	v_add_f32_e32 v8, v10, v8
.LBB46_21:
	s_or_b64 exec, exec, s[0:1]
	s_branch .LBB46_34
.LBB46_22:
                                        ; implicit-def: $vgpr8
                                        ; implicit-def: $vgpr7
	s_cbranch_execz .LBB46_34
; %bb.23:
	s_movk_i32 s0, 0x1d1
	v_cmp_gt_u32_e32 vcc, s0, v0
	s_and_saveexec_b64 s[0:1], vcc
	s_cbranch_execz .LBB46_25
; %bb.24:
	ds_read_b64 v[7:8], v12 offset:3968
	ds_read_b64 v[9:10], v12
	s_waitcnt lgkmcnt(0)
	v_add_f32_e32 v7, v7, v9
	v_add_f32_e32 v8, v8, v10
	ds_write_b64 v12, v[7:8]
.LBB46_25:
	s_or_b64 exec, exec, s[0:1]
	s_movk_i32 s0, 0xf8
	v_cmp_gt_u32_e32 vcc, s0, v0
	s_waitcnt lgkmcnt(0)
	s_barrier
	s_and_saveexec_b64 s[0:1], vcc
	s_cbranch_execz .LBB46_27
; %bb.26:
	ds_read2_b64 v[7:10], v12 offset1:248
	s_waitcnt lgkmcnt(0)
	v_add_f32_e32 v7, v9, v7
	v_add_f32_e32 v8, v10, v8
	ds_write_b64 v12, v[7:8]
.LBB46_27:
	s_or_b64 exec, exec, s[0:1]
	s_movk_i32 s0, 0x7c
	v_cmp_gt_u32_e32 vcc, s0, v0
	s_waitcnt lgkmcnt(0)
	s_barrier
	s_and_saveexec_b64 s[0:1], vcc
	s_cbranch_execz .LBB46_29
; %bb.28:
	ds_read2_b64 v[7:10], v12 offset1:124
	s_waitcnt lgkmcnt(0)
	v_add_f32_e32 v7, v9, v7
	v_add_f32_e32 v8, v10, v8
	ds_write_b64 v12, v[7:8]
.LBB46_29:
	s_or_b64 exec, exec, s[0:1]
	v_cmp_gt_u32_e32 vcc, 62, v0
	s_waitcnt lgkmcnt(0)
	s_barrier
	s_and_saveexec_b64 s[0:1], vcc
	s_cbranch_execz .LBB46_31
; %bb.30:
	ds_read2_b64 v[7:10], v12 offset1:62
	s_waitcnt lgkmcnt(0)
	v_add_f32_e32 v7, v9, v7
	v_add_f32_e32 v8, v10, v8
	ds_write_b64 v12, v[7:8]
.LBB46_31:
	s_or_b64 exec, exec, s[0:1]
	v_cmp_gt_u32_e32 vcc, 31, v0
	s_waitcnt lgkmcnt(0)
	s_and_saveexec_b64 s[0:1], vcc
	s_cbranch_execz .LBB46_33
; %bb.32:
	ds_read2_b64 v[5:8], v12 offset1:31
	s_waitcnt lgkmcnt(0)
	v_add_f32_e32 v5, v7, v5
	v_add_f32_e32 v6, v8, v6
.LBB46_33:
	s_or_b64 exec, exec, s[0:1]
	v_mov_b32_e32 v8, v6
	v_mov_b32_e32 v7, v5
.LBB46_34:
	v_cmp_gt_u32_e32 vcc, 31, v0
	s_and_b64 exec, exec, vcc
	s_cbranch_execz .LBB46_39
; %bb.35:
	v_cmp_eq_f32_e32 vcc, 0, v1
	v_cmp_eq_f32_e64 s[0:1], 0, v2
	v_mul_f32_e64 v5, v8, -v4
	v_mul_f32_e32 v6, v3, v8
	s_and_b64 s[0:1], vcc, s[0:1]
	v_fmac_f32_e32 v5, v3, v7
	v_fmac_f32_e32 v6, v4, v7
	s_and_saveexec_b64 s[2:3], s[0:1]
	s_xor_b64 s[0:1], exec, s[2:3]
	s_cbranch_execz .LBB46_37
; %bb.36:
	v_mad_u64_u32 v[0:1], s[2:3], s6, 31, v[0:1]
	v_mov_b32_e32 v1, 0
	v_mov_b32_e32 v2, s13
	v_lshlrev_b64 v[0:1], 3, v[0:1]
	v_add_co_u32_e32 v0, vcc, s12, v0
	v_addc_co_u32_e32 v1, vcc, v2, v1, vcc
	global_store_dwordx2 v[0:1], v[5:6], off
                                        ; implicit-def: $vgpr0
                                        ; implicit-def: $vgpr1_vgpr2
                                        ; implicit-def: $vgpr5
.LBB46_37:
	s_andn2_saveexec_b64 s[0:1], s[0:1]
	s_cbranch_execz .LBB46_39
; %bb.38:
	v_mad_u64_u32 v[3:4], s[0:1], s6, 31, v[0:1]
	v_mov_b32_e32 v4, 0
	v_mov_b32_e32 v0, s13
	v_lshlrev_b64 v[3:4], 3, v[3:4]
	v_add_co_u32_e32 v3, vcc, s12, v3
	v_addc_co_u32_e32 v4, vcc, v0, v4, vcc
	global_load_dwordx2 v[7:8], v[3:4], off
	s_waitcnt vmcnt(0)
	v_fmac_f32_e32 v5, v1, v7
	v_fmac_f32_e32 v6, v2, v7
	v_fma_f32 v5, -v2, v8, v5
	v_fmac_f32_e32 v6, v1, v8
	global_store_dwordx2 v[3:4], v[5:6], off
.LBB46_39:
	s_endpgm
	.section	.rodata,"a",@progbits
	.p2align	6, 0x0
	.amdhsa_kernel _ZN9rocsparseL20bsrxmvn_17_32_kernelILj31E21rocsparse_complex_numIfEiiS2_S2_S2_EEvT2_20rocsparse_direction_NS_24const_host_device_scalarIT0_EES3_PKS3_PKT1_SC_S9_PKT3_PKT4_S7_PT5_21rocsparse_index_base_b
		.amdhsa_group_segment_fixed_size 7688
		.amdhsa_private_segment_fixed_size 0
		.amdhsa_kernarg_size 96
		.amdhsa_user_sgpr_count 6
		.amdhsa_user_sgpr_private_segment_buffer 1
		.amdhsa_user_sgpr_dispatch_ptr 0
		.amdhsa_user_sgpr_queue_ptr 0
		.amdhsa_user_sgpr_kernarg_segment_ptr 1
		.amdhsa_user_sgpr_dispatch_id 0
		.amdhsa_user_sgpr_flat_scratch_init 0
		.amdhsa_user_sgpr_private_segment_size 0
		.amdhsa_uses_dynamic_stack 0
		.amdhsa_system_sgpr_private_segment_wavefront_offset 0
		.amdhsa_system_sgpr_workgroup_id_x 1
		.amdhsa_system_sgpr_workgroup_id_y 0
		.amdhsa_system_sgpr_workgroup_id_z 0
		.amdhsa_system_sgpr_workgroup_info 0
		.amdhsa_system_vgpr_workitem_id 0
		.amdhsa_next_free_vgpr 29
		.amdhsa_next_free_sgpr 61
		.amdhsa_reserve_vcc 1
		.amdhsa_reserve_flat_scratch 0
		.amdhsa_float_round_mode_32 0
		.amdhsa_float_round_mode_16_64 0
		.amdhsa_float_denorm_mode_32 3
		.amdhsa_float_denorm_mode_16_64 3
		.amdhsa_dx10_clamp 1
		.amdhsa_ieee_mode 1
		.amdhsa_fp16_overflow 0
		.amdhsa_exception_fp_ieee_invalid_op 0
		.amdhsa_exception_fp_denorm_src 0
		.amdhsa_exception_fp_ieee_div_zero 0
		.amdhsa_exception_fp_ieee_overflow 0
		.amdhsa_exception_fp_ieee_underflow 0
		.amdhsa_exception_fp_ieee_inexact 0
		.amdhsa_exception_int_div_zero 0
	.end_amdhsa_kernel
	.section	.text._ZN9rocsparseL20bsrxmvn_17_32_kernelILj31E21rocsparse_complex_numIfEiiS2_S2_S2_EEvT2_20rocsparse_direction_NS_24const_host_device_scalarIT0_EES3_PKS3_PKT1_SC_S9_PKT3_PKT4_S7_PT5_21rocsparse_index_base_b,"axG",@progbits,_ZN9rocsparseL20bsrxmvn_17_32_kernelILj31E21rocsparse_complex_numIfEiiS2_S2_S2_EEvT2_20rocsparse_direction_NS_24const_host_device_scalarIT0_EES3_PKS3_PKT1_SC_S9_PKT3_PKT4_S7_PT5_21rocsparse_index_base_b,comdat
.Lfunc_end46:
	.size	_ZN9rocsparseL20bsrxmvn_17_32_kernelILj31E21rocsparse_complex_numIfEiiS2_S2_S2_EEvT2_20rocsparse_direction_NS_24const_host_device_scalarIT0_EES3_PKS3_PKT1_SC_S9_PKT3_PKT4_S7_PT5_21rocsparse_index_base_b, .Lfunc_end46-_ZN9rocsparseL20bsrxmvn_17_32_kernelILj31E21rocsparse_complex_numIfEiiS2_S2_S2_EEvT2_20rocsparse_direction_NS_24const_host_device_scalarIT0_EES3_PKS3_PKT1_SC_S9_PKT3_PKT4_S7_PT5_21rocsparse_index_base_b
                                        ; -- End function
	.set _ZN9rocsparseL20bsrxmvn_17_32_kernelILj31E21rocsparse_complex_numIfEiiS2_S2_S2_EEvT2_20rocsparse_direction_NS_24const_host_device_scalarIT0_EES3_PKS3_PKT1_SC_S9_PKT3_PKT4_S7_PT5_21rocsparse_index_base_b.num_vgpr, 18
	.set _ZN9rocsparseL20bsrxmvn_17_32_kernelILj31E21rocsparse_complex_numIfEiiS2_S2_S2_EEvT2_20rocsparse_direction_NS_24const_host_device_scalarIT0_EES3_PKS3_PKT1_SC_S9_PKT3_PKT4_S7_PT5_21rocsparse_index_base_b.num_agpr, 0
	.set _ZN9rocsparseL20bsrxmvn_17_32_kernelILj31E21rocsparse_complex_numIfEiiS2_S2_S2_EEvT2_20rocsparse_direction_NS_24const_host_device_scalarIT0_EES3_PKS3_PKT1_SC_S9_PKT3_PKT4_S7_PT5_21rocsparse_index_base_b.numbered_sgpr, 18
	.set _ZN9rocsparseL20bsrxmvn_17_32_kernelILj31E21rocsparse_complex_numIfEiiS2_S2_S2_EEvT2_20rocsparse_direction_NS_24const_host_device_scalarIT0_EES3_PKS3_PKT1_SC_S9_PKT3_PKT4_S7_PT5_21rocsparse_index_base_b.num_named_barrier, 0
	.set _ZN9rocsparseL20bsrxmvn_17_32_kernelILj31E21rocsparse_complex_numIfEiiS2_S2_S2_EEvT2_20rocsparse_direction_NS_24const_host_device_scalarIT0_EES3_PKS3_PKT1_SC_S9_PKT3_PKT4_S7_PT5_21rocsparse_index_base_b.private_seg_size, 0
	.set _ZN9rocsparseL20bsrxmvn_17_32_kernelILj31E21rocsparse_complex_numIfEiiS2_S2_S2_EEvT2_20rocsparse_direction_NS_24const_host_device_scalarIT0_EES3_PKS3_PKT1_SC_S9_PKT3_PKT4_S7_PT5_21rocsparse_index_base_b.uses_vcc, 1
	.set _ZN9rocsparseL20bsrxmvn_17_32_kernelILj31E21rocsparse_complex_numIfEiiS2_S2_S2_EEvT2_20rocsparse_direction_NS_24const_host_device_scalarIT0_EES3_PKS3_PKT1_SC_S9_PKT3_PKT4_S7_PT5_21rocsparse_index_base_b.uses_flat_scratch, 0
	.set _ZN9rocsparseL20bsrxmvn_17_32_kernelILj31E21rocsparse_complex_numIfEiiS2_S2_S2_EEvT2_20rocsparse_direction_NS_24const_host_device_scalarIT0_EES3_PKS3_PKT1_SC_S9_PKT3_PKT4_S7_PT5_21rocsparse_index_base_b.has_dyn_sized_stack, 0
	.set _ZN9rocsparseL20bsrxmvn_17_32_kernelILj31E21rocsparse_complex_numIfEiiS2_S2_S2_EEvT2_20rocsparse_direction_NS_24const_host_device_scalarIT0_EES3_PKS3_PKT1_SC_S9_PKT3_PKT4_S7_PT5_21rocsparse_index_base_b.has_recursion, 0
	.set _ZN9rocsparseL20bsrxmvn_17_32_kernelILj31E21rocsparse_complex_numIfEiiS2_S2_S2_EEvT2_20rocsparse_direction_NS_24const_host_device_scalarIT0_EES3_PKS3_PKT1_SC_S9_PKT3_PKT4_S7_PT5_21rocsparse_index_base_b.has_indirect_call, 0
	.section	.AMDGPU.csdata,"",@progbits
; Kernel info:
; codeLenInByte = 1408
; TotalNumSgprs: 22
; NumVgprs: 18
; ScratchSize: 0
; MemoryBound: 0
; FloatMode: 240
; IeeeMode: 1
; LDSByteSize: 7688 bytes/workgroup (compile time only)
; SGPRBlocks: 8
; VGPRBlocks: 7
; NumSGPRsForWavesPerEU: 65
; NumVGPRsForWavesPerEU: 29
; Occupancy: 8
; WaveLimiterHint : 1
; COMPUTE_PGM_RSRC2:SCRATCH_EN: 0
; COMPUTE_PGM_RSRC2:USER_SGPR: 6
; COMPUTE_PGM_RSRC2:TRAP_HANDLER: 0
; COMPUTE_PGM_RSRC2:TGID_X_EN: 1
; COMPUTE_PGM_RSRC2:TGID_Y_EN: 0
; COMPUTE_PGM_RSRC2:TGID_Z_EN: 0
; COMPUTE_PGM_RSRC2:TIDIG_COMP_CNT: 0
	.section	.text._ZN9rocsparseL20bsrxmvn_17_32_kernelILj32E21rocsparse_complex_numIfEiiS2_S2_S2_EEvT2_20rocsparse_direction_NS_24const_host_device_scalarIT0_EES3_PKS3_PKT1_SC_S9_PKT3_PKT4_S7_PT5_21rocsparse_index_base_b,"axG",@progbits,_ZN9rocsparseL20bsrxmvn_17_32_kernelILj32E21rocsparse_complex_numIfEiiS2_S2_S2_EEvT2_20rocsparse_direction_NS_24const_host_device_scalarIT0_EES3_PKS3_PKT1_SC_S9_PKT3_PKT4_S7_PT5_21rocsparse_index_base_b,comdat
	.globl	_ZN9rocsparseL20bsrxmvn_17_32_kernelILj32E21rocsparse_complex_numIfEiiS2_S2_S2_EEvT2_20rocsparse_direction_NS_24const_host_device_scalarIT0_EES3_PKS3_PKT1_SC_S9_PKT3_PKT4_S7_PT5_21rocsparse_index_base_b ; -- Begin function _ZN9rocsparseL20bsrxmvn_17_32_kernelILj32E21rocsparse_complex_numIfEiiS2_S2_S2_EEvT2_20rocsparse_direction_NS_24const_host_device_scalarIT0_EES3_PKS3_PKT1_SC_S9_PKT3_PKT4_S7_PT5_21rocsparse_index_base_b
	.p2align	8
	.type	_ZN9rocsparseL20bsrxmvn_17_32_kernelILj32E21rocsparse_complex_numIfEiiS2_S2_S2_EEvT2_20rocsparse_direction_NS_24const_host_device_scalarIT0_EES3_PKS3_PKT1_SC_S9_PKT3_PKT4_S7_PT5_21rocsparse_index_base_b,@function
_ZN9rocsparseL20bsrxmvn_17_32_kernelILj32E21rocsparse_complex_numIfEiiS2_S2_S2_EEvT2_20rocsparse_direction_NS_24const_host_device_scalarIT0_EES3_PKS3_PKT1_SC_S9_PKT3_PKT4_S7_PT5_21rocsparse_index_base_b: ; @_ZN9rocsparseL20bsrxmvn_17_32_kernelILj32E21rocsparse_complex_numIfEiiS2_S2_S2_EEvT2_20rocsparse_direction_NS_24const_host_device_scalarIT0_EES3_PKS3_PKT1_SC_S9_PKT3_PKT4_S7_PT5_21rocsparse_index_base_b
; %bb.0:
	s_load_dwordx2 s[0:1], s[4:5], 0x8
	s_load_dwordx2 s[8:9], s[4:5], 0x58
	s_add_u32 s7, s4, 8
	s_addc_u32 s10, s5, 0
	s_add_u32 s11, s4, 0x48
	s_load_dwordx2 s[2:3], s[4:5], 0x48
	s_addc_u32 s12, s5, 0
	s_waitcnt lgkmcnt(0)
	s_bitcmp1_b32 s9, 0
	s_cselect_b32 s1, s10, s1
	s_cselect_b32 s0, s7, s0
	v_mov_b32_e32 v1, s0
	v_mov_b32_e32 v2, s1
	flat_load_dwordx2 v[3:4], v[1:2]
	s_cselect_b32 s0, s12, s3
	s_cselect_b32 s1, s11, s2
	v_mov_b32_e32 v1, s1
	v_mov_b32_e32 v2, s0
	flat_load_dwordx2 v[1:2], v[1:2]
	s_waitcnt vmcnt(0) lgkmcnt(0)
	v_cmp_eq_f32_e32 vcc, 0, v3
	v_cmp_eq_f32_e64 s[0:1], 0, v4
	s_and_b64 s[10:11], vcc, s[0:1]
	s_mov_b64 s[0:1], -1
	s_and_saveexec_b64 s[2:3], s[10:11]
; %bb.1:
	v_cmp_neq_f32_e32 vcc, 1.0, v1
	v_cmp_neq_f32_e64 s[0:1], 0, v2
	s_or_b64 s[0:1], vcc, s[0:1]
	s_orn2_b64 s[0:1], s[0:1], exec
; %bb.2:
	s_or_b64 exec, exec, s[2:3]
	s_and_saveexec_b64 s[2:3], s[0:1]
	s_cbranch_execz .LBB47_37
; %bb.3:
	s_load_dwordx4 s[0:3], s[4:5], 0x18
	s_load_dwordx2 s[10:11], s[4:5], 0x28
	s_waitcnt lgkmcnt(0)
	s_cmp_eq_u64 s[0:1], 0
	s_cbranch_scc1 .LBB47_5
; %bb.4:
	s_ashr_i32 s7, s6, 31
	s_lshl_b64 s[6:7], s[6:7], 2
	s_add_u32 s0, s0, s6
	s_addc_u32 s1, s1, s7
	s_load_dword s0, s[0:1], 0x0
	s_waitcnt lgkmcnt(0)
	s_sub_i32 s6, s0, s8
.LBB47_5:
	s_load_dword s0, s[4:5], 0x4
	v_and_b32_e32 v10, 31, v0
	v_mov_b32_e32 v6, 0
	v_lshlrev_b32_e32 v9, 3, v0
	v_mov_b32_e32 v5, 0
	s_waitcnt lgkmcnt(0)
	s_cmp_eq_u32 s0, 1
	s_cselect_b64 vcc, -1, 0
	s_cmp_lg_u32 s0, 1
	s_cselect_b64 s[0:1], -1, 0
	s_ashr_i32 s7, s6, 31
	s_lshl_b64 s[12:13], s[6:7], 2
	s_add_u32 s2, s2, s12
	s_addc_u32 s3, s3, s13
	s_load_dword s9, s[2:3], 0x0
	s_add_u32 s2, s2, 4
	s_addc_u32 s3, s3, 0
	s_add_u32 s7, s10, s12
	s_addc_u32 s12, s11, s13
	s_cmp_eq_u64 s[10:11], 0
	s_cselect_b32 s11, s3, s12
	s_cselect_b32 s10, s2, s7
	s_load_dword s7, s[10:11], 0x0
	s_load_dwordx2 s[2:3], s[4:5], 0x50
	s_waitcnt lgkmcnt(0)
	s_cmp_ge_i32 s9, s7
	s_cbranch_scc1 .LBB47_8
; %bb.6:
	s_load_dwordx4 s[12:15], s[4:5], 0x30
	s_load_dwordx2 s[10:11], s[4:5], 0x40
	s_sub_i32 s4, s9, s8
	s_ashr_i32 s5, s4, 31
	s_sub_i32 s7, s7, s8
	s_lshl_b64 s[16:17], s[4:5], 13
	s_waitcnt lgkmcnt(0)
	s_add_u32 s9, s14, s16
	v_lshrrev_b32_e32 v5, 5, v0
	s_addc_u32 s14, s15, s17
	v_cndmask_b32_e32 v11, v10, v5, vcc
	v_mov_b32_e32 v5, s14
	s_lshl_b64 s[14:15], s[4:5], 2
	v_mov_b32_e32 v6, 0
	v_add_co_u32_e32 v7, vcc, s9, v9
	s_add_u32 s12, s12, s14
	v_addc_co_u32_e32 v8, vcc, 0, v5, vcc
	s_addc_u32 s13, s13, s15
	v_mov_b32_e32 v12, s11
	v_mov_b32_e32 v5, v6
.LBB47_7:                               ; =>This Inner Loop Header: Depth=1
	s_load_dword s5, s[12:13], 0x0
	global_load_dwordx2 v[13:14], v[7:8], off
	s_add_i32 s4, s4, 1
	s_waitcnt lgkmcnt(0)
	s_sub_i32 s5, s5, s8
	v_lshl_or_b32 v15, s5, 5, v11
	v_ashrrev_i32_e32 v16, 31, v15
	v_lshlrev_b64 v[15:16], 3, v[15:16]
	s_add_u32 s12, s12, 4
	v_add_co_u32_e32 v15, vcc, s10, v15
	v_addc_co_u32_e32 v16, vcc, v12, v16, vcc
	global_load_dwordx2 v[15:16], v[15:16], off
	v_add_co_u32_e32 v7, vcc, 0x2000, v7
	s_addc_u32 s13, s13, 0
	v_addc_co_u32_e32 v8, vcc, 0, v8, vcc
	s_cmp_lt_i32 s4, s7
	s_waitcnt vmcnt(0)
	v_fmac_f32_e32 v5, v13, v15
	v_fmac_f32_e32 v6, v14, v15
	v_fma_f32 v5, -v14, v16, v5
	v_fmac_f32_e32 v6, v13, v16
	s_cbranch_scc1 .LBB47_7
.LBB47_8:
	s_and_b64 vcc, exec, s[0:1]
	ds_write_b64 v9, v[5:6]
	s_waitcnt lgkmcnt(0)
	s_barrier
	s_cbranch_vccz .LBB47_20
; %bb.9:
	v_cmp_gt_u32_e32 vcc, 16, v10
	s_and_saveexec_b64 s[0:1], vcc
	s_cbranch_execz .LBB47_11
; %bb.10:
	ds_read2_b64 v[11:14], v9 offset1:16
	s_waitcnt lgkmcnt(0)
	v_add_f32_e32 v7, v13, v11
	v_add_f32_e32 v8, v14, v12
	ds_write_b64 v9, v[7:8]
.LBB47_11:
	s_or_b64 exec, exec, s[0:1]
	v_cmp_gt_u32_e32 vcc, 8, v10
	s_waitcnt lgkmcnt(0)
	s_barrier
	s_and_saveexec_b64 s[0:1], vcc
	s_cbranch_execz .LBB47_13
; %bb.12:
	ds_read2_b64 v[11:14], v9 offset1:8
	s_waitcnt lgkmcnt(0)
	v_add_f32_e32 v7, v13, v11
	v_add_f32_e32 v8, v14, v12
	ds_write_b64 v9, v[7:8]
.LBB47_13:
	s_or_b64 exec, exec, s[0:1]
	v_cmp_gt_u32_e32 vcc, 4, v10
	s_waitcnt lgkmcnt(0)
	s_barrier
	;; [unrolled: 13-line block ×3, first 2 shown]
	s_and_saveexec_b64 s[0:1], vcc
	s_cbranch_execz .LBB47_17
; %bb.16:
	ds_read2_b64 v[10:13], v9 offset1:2
	s_waitcnt lgkmcnt(0)
	v_add_f32_e32 v7, v12, v10
	v_add_f32_e32 v8, v13, v11
	ds_write_b64 v9, v[7:8]
.LBB47_17:
	s_or_b64 exec, exec, s[0:1]
	v_cmp_gt_u32_e32 vcc, 32, v0
	v_mov_b32_e32 v8, v6
	v_mov_b32_e32 v7, v5
	s_waitcnt lgkmcnt(0)
	s_barrier
	s_and_saveexec_b64 s[0:1], vcc
	s_cbranch_execz .LBB47_19
; %bb.18:
	s_movk_i32 s4, 0xf8
	v_mad_u32_u24 v7, v0, s4, v9
	ds_read2_b64 v[10:13], v7 offset1:1
	s_waitcnt lgkmcnt(0)
	v_add_f32_e32 v7, v12, v10
	v_add_f32_e32 v8, v13, v11
.LBB47_19:
	s_or_b64 exec, exec, s[0:1]
	s_branch .LBB47_32
.LBB47_20:
                                        ; implicit-def: $vgpr8
                                        ; implicit-def: $vgpr7
	s_cbranch_execz .LBB47_32
; %bb.21:
	s_movk_i32 s0, 0x200
	v_cmp_gt_u32_e32 vcc, s0, v0
	s_and_saveexec_b64 s[0:1], vcc
	s_cbranch_execz .LBB47_23
; %bb.22:
	ds_read2st64_b64 v[10:13], v9 offset1:8
	s_waitcnt lgkmcnt(0)
	v_add_f32_e32 v7, v12, v10
	v_add_f32_e32 v8, v13, v11
	ds_write_b64 v9, v[7:8]
.LBB47_23:
	s_or_b64 exec, exec, s[0:1]
	s_movk_i32 s0, 0x100
	v_cmp_gt_u32_e32 vcc, s0, v0
	s_waitcnt lgkmcnt(0)
	s_barrier
	s_and_saveexec_b64 s[0:1], vcc
	s_cbranch_execz .LBB47_25
; %bb.24:
	ds_read2st64_b64 v[10:13], v9 offset1:4
	s_waitcnt lgkmcnt(0)
	v_add_f32_e32 v7, v12, v10
	v_add_f32_e32 v8, v13, v11
	ds_write_b64 v9, v[7:8]
.LBB47_25:
	s_or_b64 exec, exec, s[0:1]
	s_movk_i32 s0, 0x80
	v_cmp_gt_u32_e32 vcc, s0, v0
	s_waitcnt lgkmcnt(0)
	s_barrier
	s_and_saveexec_b64 s[0:1], vcc
	s_cbranch_execz .LBB47_27
; %bb.26:
	ds_read2st64_b64 v[10:13], v9 offset1:2
	s_waitcnt lgkmcnt(0)
	v_add_f32_e32 v7, v12, v10
	v_add_f32_e32 v8, v13, v11
	ds_write_b64 v9, v[7:8]
.LBB47_27:
	s_or_b64 exec, exec, s[0:1]
	v_cmp_gt_u32_e32 vcc, 64, v0
	s_waitcnt lgkmcnt(0)
	s_barrier
	s_and_saveexec_b64 s[0:1], vcc
	s_cbranch_execz .LBB47_29
; %bb.28:
	ds_read2st64_b64 v[10:13], v9 offset1:1
	s_waitcnt lgkmcnt(0)
	v_add_f32_e32 v7, v12, v10
	v_add_f32_e32 v8, v13, v11
	ds_write_b64 v9, v[7:8]
.LBB47_29:
	s_or_b64 exec, exec, s[0:1]
	v_cmp_gt_u32_e32 vcc, 32, v0
	s_waitcnt lgkmcnt(0)
	s_and_saveexec_b64 s[0:1], vcc
	s_cbranch_execz .LBB47_31
; %bb.30:
	ds_read2_b64 v[5:8], v9 offset1:32
	s_waitcnt lgkmcnt(0)
	v_add_f32_e32 v5, v7, v5
	v_add_f32_e32 v6, v8, v6
.LBB47_31:
	s_or_b64 exec, exec, s[0:1]
	v_mov_b32_e32 v8, v6
	v_mov_b32_e32 v7, v5
.LBB47_32:
	v_cmp_gt_u32_e32 vcc, 32, v0
	s_and_b64 exec, exec, vcc
	s_cbranch_execz .LBB47_37
; %bb.33:
	v_cmp_eq_f32_e32 vcc, 0, v1
	v_cmp_eq_f32_e64 s[0:1], 0, v2
	v_mul_f32_e64 v5, v8, -v4
	v_mul_f32_e32 v6, v3, v8
	s_and_b64 s[0:1], vcc, s[0:1]
	v_fmac_f32_e32 v5, v3, v7
	v_fmac_f32_e32 v6, v4, v7
	v_lshl_or_b32 v3, s6, 5, v0
	s_and_saveexec_b64 s[4:5], s[0:1]
	s_xor_b64 s[0:1], exec, s[4:5]
	s_cbranch_execz .LBB47_35
; %bb.34:
	v_mov_b32_e32 v4, 0
	v_lshlrev_b64 v[0:1], 3, v[3:4]
	v_mov_b32_e32 v2, s3
	v_add_co_u32_e32 v0, vcc, s2, v0
	v_addc_co_u32_e32 v1, vcc, v2, v1, vcc
	global_store_dwordx2 v[0:1], v[5:6], off
                                        ; implicit-def: $vgpr3
                                        ; implicit-def: $vgpr1_vgpr2
                                        ; implicit-def: $vgpr5
.LBB47_35:
	s_andn2_saveexec_b64 s[0:1], s[0:1]
	s_cbranch_execz .LBB47_37
; %bb.36:
	v_mov_b32_e32 v4, 0
	v_lshlrev_b64 v[3:4], 3, v[3:4]
	v_mov_b32_e32 v0, s3
	v_add_co_u32_e32 v3, vcc, s2, v3
	v_addc_co_u32_e32 v4, vcc, v0, v4, vcc
	global_load_dwordx2 v[7:8], v[3:4], off
	s_waitcnt vmcnt(0)
	v_fmac_f32_e32 v5, v1, v7
	v_fmac_f32_e32 v6, v2, v7
	v_fma_f32 v5, -v2, v8, v5
	v_fmac_f32_e32 v6, v1, v8
	global_store_dwordx2 v[3:4], v[5:6], off
.LBB47_37:
	s_endpgm
	.section	.rodata,"a",@progbits
	.p2align	6, 0x0
	.amdhsa_kernel _ZN9rocsparseL20bsrxmvn_17_32_kernelILj32E21rocsparse_complex_numIfEiiS2_S2_S2_EEvT2_20rocsparse_direction_NS_24const_host_device_scalarIT0_EES3_PKS3_PKT1_SC_S9_PKT3_PKT4_S7_PT5_21rocsparse_index_base_b
		.amdhsa_group_segment_fixed_size 8192
		.amdhsa_private_segment_fixed_size 0
		.amdhsa_kernarg_size 96
		.amdhsa_user_sgpr_count 6
		.amdhsa_user_sgpr_private_segment_buffer 1
		.amdhsa_user_sgpr_dispatch_ptr 0
		.amdhsa_user_sgpr_queue_ptr 0
		.amdhsa_user_sgpr_kernarg_segment_ptr 1
		.amdhsa_user_sgpr_dispatch_id 0
		.amdhsa_user_sgpr_flat_scratch_init 0
		.amdhsa_user_sgpr_private_segment_size 0
		.amdhsa_uses_dynamic_stack 0
		.amdhsa_system_sgpr_private_segment_wavefront_offset 0
		.amdhsa_system_sgpr_workgroup_id_x 1
		.amdhsa_system_sgpr_workgroup_id_y 0
		.amdhsa_system_sgpr_workgroup_id_z 0
		.amdhsa_system_sgpr_workgroup_info 0
		.amdhsa_system_vgpr_workitem_id 0
		.amdhsa_next_free_vgpr 29
		.amdhsa_next_free_sgpr 61
		.amdhsa_reserve_vcc 1
		.amdhsa_reserve_flat_scratch 0
		.amdhsa_float_round_mode_32 0
		.amdhsa_float_round_mode_16_64 0
		.amdhsa_float_denorm_mode_32 3
		.amdhsa_float_denorm_mode_16_64 3
		.amdhsa_dx10_clamp 1
		.amdhsa_ieee_mode 1
		.amdhsa_fp16_overflow 0
		.amdhsa_exception_fp_ieee_invalid_op 0
		.amdhsa_exception_fp_denorm_src 0
		.amdhsa_exception_fp_ieee_div_zero 0
		.amdhsa_exception_fp_ieee_overflow 0
		.amdhsa_exception_fp_ieee_underflow 0
		.amdhsa_exception_fp_ieee_inexact 0
		.amdhsa_exception_int_div_zero 0
	.end_amdhsa_kernel
	.section	.text._ZN9rocsparseL20bsrxmvn_17_32_kernelILj32E21rocsparse_complex_numIfEiiS2_S2_S2_EEvT2_20rocsparse_direction_NS_24const_host_device_scalarIT0_EES3_PKS3_PKT1_SC_S9_PKT3_PKT4_S7_PT5_21rocsparse_index_base_b,"axG",@progbits,_ZN9rocsparseL20bsrxmvn_17_32_kernelILj32E21rocsparse_complex_numIfEiiS2_S2_S2_EEvT2_20rocsparse_direction_NS_24const_host_device_scalarIT0_EES3_PKS3_PKT1_SC_S9_PKT3_PKT4_S7_PT5_21rocsparse_index_base_b,comdat
.Lfunc_end47:
	.size	_ZN9rocsparseL20bsrxmvn_17_32_kernelILj32E21rocsparse_complex_numIfEiiS2_S2_S2_EEvT2_20rocsparse_direction_NS_24const_host_device_scalarIT0_EES3_PKS3_PKT1_SC_S9_PKT3_PKT4_S7_PT5_21rocsparse_index_base_b, .Lfunc_end47-_ZN9rocsparseL20bsrxmvn_17_32_kernelILj32E21rocsparse_complex_numIfEiiS2_S2_S2_EEvT2_20rocsparse_direction_NS_24const_host_device_scalarIT0_EES3_PKS3_PKT1_SC_S9_PKT3_PKT4_S7_PT5_21rocsparse_index_base_b
                                        ; -- End function
	.set _ZN9rocsparseL20bsrxmvn_17_32_kernelILj32E21rocsparse_complex_numIfEiiS2_S2_S2_EEvT2_20rocsparse_direction_NS_24const_host_device_scalarIT0_EES3_PKS3_PKT1_SC_S9_PKT3_PKT4_S7_PT5_21rocsparse_index_base_b.num_vgpr, 17
	.set _ZN9rocsparseL20bsrxmvn_17_32_kernelILj32E21rocsparse_complex_numIfEiiS2_S2_S2_EEvT2_20rocsparse_direction_NS_24const_host_device_scalarIT0_EES3_PKS3_PKT1_SC_S9_PKT3_PKT4_S7_PT5_21rocsparse_index_base_b.num_agpr, 0
	.set _ZN9rocsparseL20bsrxmvn_17_32_kernelILj32E21rocsparse_complex_numIfEiiS2_S2_S2_EEvT2_20rocsparse_direction_NS_24const_host_device_scalarIT0_EES3_PKS3_PKT1_SC_S9_PKT3_PKT4_S7_PT5_21rocsparse_index_base_b.numbered_sgpr, 18
	.set _ZN9rocsparseL20bsrxmvn_17_32_kernelILj32E21rocsparse_complex_numIfEiiS2_S2_S2_EEvT2_20rocsparse_direction_NS_24const_host_device_scalarIT0_EES3_PKS3_PKT1_SC_S9_PKT3_PKT4_S7_PT5_21rocsparse_index_base_b.num_named_barrier, 0
	.set _ZN9rocsparseL20bsrxmvn_17_32_kernelILj32E21rocsparse_complex_numIfEiiS2_S2_S2_EEvT2_20rocsparse_direction_NS_24const_host_device_scalarIT0_EES3_PKS3_PKT1_SC_S9_PKT3_PKT4_S7_PT5_21rocsparse_index_base_b.private_seg_size, 0
	.set _ZN9rocsparseL20bsrxmvn_17_32_kernelILj32E21rocsparse_complex_numIfEiiS2_S2_S2_EEvT2_20rocsparse_direction_NS_24const_host_device_scalarIT0_EES3_PKS3_PKT1_SC_S9_PKT3_PKT4_S7_PT5_21rocsparse_index_base_b.uses_vcc, 1
	.set _ZN9rocsparseL20bsrxmvn_17_32_kernelILj32E21rocsparse_complex_numIfEiiS2_S2_S2_EEvT2_20rocsparse_direction_NS_24const_host_device_scalarIT0_EES3_PKS3_PKT1_SC_S9_PKT3_PKT4_S7_PT5_21rocsparse_index_base_b.uses_flat_scratch, 0
	.set _ZN9rocsparseL20bsrxmvn_17_32_kernelILj32E21rocsparse_complex_numIfEiiS2_S2_S2_EEvT2_20rocsparse_direction_NS_24const_host_device_scalarIT0_EES3_PKS3_PKT1_SC_S9_PKT3_PKT4_S7_PT5_21rocsparse_index_base_b.has_dyn_sized_stack, 0
	.set _ZN9rocsparseL20bsrxmvn_17_32_kernelILj32E21rocsparse_complex_numIfEiiS2_S2_S2_EEvT2_20rocsparse_direction_NS_24const_host_device_scalarIT0_EES3_PKS3_PKT1_SC_S9_PKT3_PKT4_S7_PT5_21rocsparse_index_base_b.has_recursion, 0
	.set _ZN9rocsparseL20bsrxmvn_17_32_kernelILj32E21rocsparse_complex_numIfEiiS2_S2_S2_EEvT2_20rocsparse_direction_NS_24const_host_device_scalarIT0_EES3_PKS3_PKT1_SC_S9_PKT3_PKT4_S7_PT5_21rocsparse_index_base_b.has_indirect_call, 0
	.section	.AMDGPU.csdata,"",@progbits
; Kernel info:
; codeLenInByte = 1280
; TotalNumSgprs: 22
; NumVgprs: 17
; ScratchSize: 0
; MemoryBound: 0
; FloatMode: 240
; IeeeMode: 1
; LDSByteSize: 8192 bytes/workgroup (compile time only)
; SGPRBlocks: 8
; VGPRBlocks: 7
; NumSGPRsForWavesPerEU: 65
; NumVGPRsForWavesPerEU: 29
; Occupancy: 8
; WaveLimiterHint : 1
; COMPUTE_PGM_RSRC2:SCRATCH_EN: 0
; COMPUTE_PGM_RSRC2:USER_SGPR: 6
; COMPUTE_PGM_RSRC2:TRAP_HANDLER: 0
; COMPUTE_PGM_RSRC2:TGID_X_EN: 1
; COMPUTE_PGM_RSRC2:TGID_Y_EN: 0
; COMPUTE_PGM_RSRC2:TGID_Z_EN: 0
; COMPUTE_PGM_RSRC2:TIDIG_COMP_CNT: 0
	.section	.text._ZN9rocsparseL20bsrxmvn_17_32_kernelILj17E21rocsparse_complex_numIdEiiS2_S2_S2_EEvT2_20rocsparse_direction_NS_24const_host_device_scalarIT0_EES3_PKS3_PKT1_SC_S9_PKT3_PKT4_S7_PT5_21rocsparse_index_base_b,"axG",@progbits,_ZN9rocsparseL20bsrxmvn_17_32_kernelILj17E21rocsparse_complex_numIdEiiS2_S2_S2_EEvT2_20rocsparse_direction_NS_24const_host_device_scalarIT0_EES3_PKS3_PKT1_SC_S9_PKT3_PKT4_S7_PT5_21rocsparse_index_base_b,comdat
	.globl	_ZN9rocsparseL20bsrxmvn_17_32_kernelILj17E21rocsparse_complex_numIdEiiS2_S2_S2_EEvT2_20rocsparse_direction_NS_24const_host_device_scalarIT0_EES3_PKS3_PKT1_SC_S9_PKT3_PKT4_S7_PT5_21rocsparse_index_base_b ; -- Begin function _ZN9rocsparseL20bsrxmvn_17_32_kernelILj17E21rocsparse_complex_numIdEiiS2_S2_S2_EEvT2_20rocsparse_direction_NS_24const_host_device_scalarIT0_EES3_PKS3_PKT1_SC_S9_PKT3_PKT4_S7_PT5_21rocsparse_index_base_b
	.p2align	8
	.type	_ZN9rocsparseL20bsrxmvn_17_32_kernelILj17E21rocsparse_complex_numIdEiiS2_S2_S2_EEvT2_20rocsparse_direction_NS_24const_host_device_scalarIT0_EES3_PKS3_PKT1_SC_S9_PKT3_PKT4_S7_PT5_21rocsparse_index_base_b,@function
_ZN9rocsparseL20bsrxmvn_17_32_kernelILj17E21rocsparse_complex_numIdEiiS2_S2_S2_EEvT2_20rocsparse_direction_NS_24const_host_device_scalarIT0_EES3_PKS3_PKT1_SC_S9_PKT3_PKT4_S7_PT5_21rocsparse_index_base_b: ; @_ZN9rocsparseL20bsrxmvn_17_32_kernelILj17E21rocsparse_complex_numIdEiiS2_S2_S2_EEvT2_20rocsparse_direction_NS_24const_host_device_scalarIT0_EES3_PKS3_PKT1_SC_S9_PKT3_PKT4_S7_PT5_21rocsparse_index_base_b
; %bb.0:
	s_load_dwordx2 s[0:1], s[4:5], 0x8
	s_load_dwordx2 s[10:11], s[4:5], 0x68
	s_add_u32 s7, s4, 8
	s_addc_u32 s8, s5, 0
	s_add_u32 s9, s4, 0x50
	s_addc_u32 s12, s5, 0
	s_waitcnt lgkmcnt(0)
	s_bitcmp1_b32 s11, 0
	s_cselect_b32 s1, s8, s1
	s_cselect_b32 s0, s7, s0
	v_mov_b32_e32 v1, s0
	v_mov_b32_e32 v2, s1
	flat_load_dwordx4 v[5:8], v[1:2]
	s_load_dwordx2 s[2:3], s[4:5], 0x50
	s_waitcnt lgkmcnt(0)
	s_cselect_b32 s0, s12, s3
	s_cselect_b32 s1, s9, s2
	v_mov_b32_e32 v1, s1
	v_mov_b32_e32 v2, s0
	flat_load_dwordx4 v[1:4], v[1:2]
	s_waitcnt vmcnt(0)
	v_cmp_eq_f64_e32 vcc, 0, v[5:6]
	v_cmp_eq_f64_e64 s[0:1], 0, v[7:8]
	s_and_b64 s[8:9], vcc, s[0:1]
	s_mov_b64 s[0:1], -1
	s_and_saveexec_b64 s[2:3], s[8:9]
	s_cbranch_execz .LBB48_2
; %bb.1:
	s_waitcnt lgkmcnt(0)
	v_cmp_neq_f64_e32 vcc, 1.0, v[1:2]
	v_cmp_neq_f64_e64 s[0:1], 0, v[3:4]
	s_or_b64 s[0:1], vcc, s[0:1]
	s_orn2_b64 s[0:1], s[0:1], exec
.LBB48_2:
	s_or_b64 exec, exec, s[2:3]
	s_and_saveexec_b64 s[2:3], s[0:1]
	s_cbranch_execz .LBB48_39
; %bb.3:
	s_load_dwordx4 s[0:3], s[4:5], 0x20
	s_load_dwordx2 s[14:15], s[4:5], 0x30
	s_waitcnt lgkmcnt(0)
	s_cmp_eq_u64 s[0:1], 0
	s_cbranch_scc1 .LBB48_5
; %bb.4:
	s_ashr_i32 s7, s6, 31
	s_lshl_b64 s[6:7], s[6:7], 2
	s_add_u32 s0, s0, s6
	s_addc_u32 s1, s1, s7
	s_load_dword s0, s[0:1], 0x0
	s_waitcnt lgkmcnt(0)
	s_sub_i32 s6, s0, s10
.LBB48_5:
	s_load_dword s0, s[4:5], 0x4
	s_load_dwordx2 s[8:9], s[4:5], 0x60
	v_mul_u32_u24_e32 v13, 0xf10, v0
	v_mov_b32_e32 v9, 17
	v_mul_lo_u16_sdwa v9, v13, v9 dst_sel:DWORD dst_unused:UNUSED_PAD src0_sel:WORD_1 src1_sel:DWORD
	s_waitcnt lgkmcnt(0)
	s_cmp_eq_u32 s0, 1
	s_cselect_b64 vcc, -1, 0
	s_cmp_lg_u32 s0, 1
	s_cselect_b64 s[12:13], -1, 0
	s_ashr_i32 s7, s6, 31
	s_lshl_b64 s[0:1], s[6:7], 2
	s_add_u32 s2, s2, s0
	s_addc_u32 s3, s3, s1
	s_load_dword s7, s[2:3], 0x0
	s_add_u32 s2, s2, 4
	s_addc_u32 s3, s3, 0
	s_add_u32 s0, s14, s0
	s_addc_u32 s1, s15, s1
	s_cmp_eq_u64 s[14:15], 0
	s_cselect_b32 s1, s3, s1
	s_cselect_b32 s0, s2, s0
	s_load_dword s11, s[0:1], 0x0
	v_sub_u16_e32 v19, v0, v9
	v_mov_b32_e32 v11, 0
	v_mov_b32_e32 v9, 0
	;; [unrolled: 1-line block ×3, first 2 shown]
	s_waitcnt lgkmcnt(0)
	s_cmp_ge_i32 s7, s11
	v_mov_b32_e32 v10, 0
	v_lshlrev_b32_e32 v18, 4, v0
	s_cbranch_scc1 .LBB48_10
; %bb.6:
	s_load_dwordx2 s[14:15], s[4:5], 0x48
	s_load_dwordx4 s[0:3], s[4:5], 0x38
	v_mov_b32_e32 v9, 31
	v_mul_lo_u16_sdwa v9, v13, v9 dst_sel:DWORD dst_unused:UNUSED_PAD src0_sel:WORD_1 src1_sel:DWORD
	v_lshrrev_b16_e32 v9, 9, v9
	s_sub_i32 s5, s7, s10
	s_sub_i32 s4, s11, s10
	v_mul_lo_u16_e32 v9, 17, v9
	s_mul_i32 s11, s5, 0x1210
	v_sub_u16_sdwa v9, v13, v9 dst_sel:DWORD dst_unused:UNUSED_PAD src0_sel:WORD_1 src1_sel:DWORD
	s_mul_hi_i32 s7, s5, 0x1210
	s_waitcnt lgkmcnt(0)
	s_add_u32 s2, s2, s11
	v_and_b32_e32 v9, 0xff, v9
	s_addc_u32 s3, s3, s7
	v_cndmask_b32_e32 v13, v19, v9, vcc
	v_mov_b32_e32 v9, s3
	v_add_co_u32_e32 v14, vcc, s2, v18
	v_mov_b32_e32 v11, 0
	v_addc_co_u32_e32 v15, vcc, 0, v9, vcc
	s_movk_i32 s2, 0xe3
	v_mov_b32_e32 v12, 0
	v_mov_b32_e32 v9, v11
	v_mul_u32_u24_sdwa v20, v0, s2 dst_sel:DWORD dst_unused:UNUSED_PAD src0_sel:WORD_0 src1_sel:DWORD
	v_mov_b32_e32 v10, v12
	s_branch .LBB48_8
.LBB48_7:                               ;   in Loop: Header=BB48_8 Depth=1
	s_or_b64 exec, exec, s[2:3]
	s_add_i32 s5, s5, 1
	s_cmp_lt_i32 s5, s4
	s_cbranch_scc0 .LBB48_10
.LBB48_8:                               ; =>This Inner Loop Header: Depth=1
	v_add_u32_sdwa v16, v20, s5 dst_sel:DWORD dst_unused:UNUSED_PAD src0_sel:WORD_1 src1_sel:DWORD
	v_cmp_gt_i32_e32 vcc, s4, v16
	s_and_saveexec_b64 s[2:3], vcc
	s_cbranch_execz .LBB48_7
; %bb.9:                                ;   in Loop: Header=BB48_8 Depth=1
	v_ashrrev_i32_e32 v17, 31, v16
	v_lshlrev_b64 v[16:17], 2, v[16:17]
	v_mov_b32_e32 v21, s1
	v_add_co_u32_e32 v16, vcc, s0, v16
	v_addc_co_u32_e32 v17, vcc, v21, v17, vcc
	global_load_dword v16, v[16:17], off
	v_mov_b32_e32 v25, s15
	global_load_dwordx4 v[21:24], v[14:15], off
	s_waitcnt vmcnt(1)
	v_subrev_u32_e32 v16, s10, v16
	v_mad_u64_u32 v[16:17], s[16:17], v16, 17, v[13:14]
	v_ashrrev_i32_e32 v17, 31, v16
	v_lshlrev_b64 v[16:17], 4, v[16:17]
	v_add_co_u32_e32 v16, vcc, s14, v16
	v_addc_co_u32_e32 v17, vcc, v25, v17, vcc
	global_load_dwordx4 v[25:28], v[16:17], off
	v_add_co_u32_e32 v14, vcc, 0x1210, v14
	v_addc_co_u32_e32 v15, vcc, 0, v15, vcc
	s_waitcnt vmcnt(0)
	v_fma_f64 v[9:10], v[21:22], v[25:26], v[9:10]
	v_fma_f64 v[11:12], v[23:24], v[25:26], v[11:12]
	v_fma_f64 v[9:10], -v[23:24], v[27:28], v[9:10]
	v_fma_f64 v[11:12], v[21:22], v[27:28], v[11:12]
	s_branch .LBB48_7
.LBB48_10:
	s_and_b64 vcc, exec, s[12:13]
	ds_write_b128 v18, v[9:12]
	s_waitcnt lgkmcnt(0)
	s_barrier
	s_cbranch_vccz .LBB48_22
; %bb.11:
	v_cmp_eq_u16_e32 vcc, 0, v19
	s_and_saveexec_b64 s[0:1], vcc
	s_cbranch_execz .LBB48_13
; %bb.12:
	ds_read_b128 v[13:16], v18 offset:256
	ds_read_b128 v[20:23], v18
	s_waitcnt lgkmcnt(0)
	v_add_f64 v[13:14], v[13:14], v[20:21]
	v_add_f64 v[15:16], v[15:16], v[22:23]
	ds_write_b128 v18, v[13:16]
.LBB48_13:
	s_or_b64 exec, exec, s[0:1]
	v_cmp_gt_u16_e32 vcc, 8, v19
	s_waitcnt lgkmcnt(0)
	s_barrier
	s_and_saveexec_b64 s[0:1], vcc
	s_cbranch_execz .LBB48_15
; %bb.14:
	ds_read_b128 v[13:16], v18 offset:128
	ds_read_b128 v[20:23], v18
	s_waitcnt lgkmcnt(0)
	v_add_f64 v[13:14], v[13:14], v[20:21]
	v_add_f64 v[15:16], v[15:16], v[22:23]
	ds_write_b128 v18, v[13:16]
.LBB48_15:
	s_or_b64 exec, exec, s[0:1]
	v_cmp_gt_u16_e32 vcc, 4, v19
	s_waitcnt lgkmcnt(0)
	s_barrier
	;; [unrolled: 14-line block ×3, first 2 shown]
	s_and_saveexec_b64 s[0:1], vcc
	s_cbranch_execz .LBB48_19
; %bb.18:
	ds_read_b128 v[13:16], v18
	ds_read_b128 v[19:22], v18 offset:32
	s_waitcnt lgkmcnt(0)
	v_add_f64 v[13:14], v[19:20], v[13:14]
	v_add_f64 v[15:16], v[21:22], v[15:16]
	ds_write_b128 v18, v[13:16]
.LBB48_19:
	s_or_b64 exec, exec, s[0:1]
	v_mov_b32_e32 v16, v12
	v_mov_b32_e32 v14, v10
	v_cmp_gt_u32_e32 vcc, 17, v0
	v_mov_b32_e32 v15, v11
	v_mov_b32_e32 v13, v9
	s_waitcnt lgkmcnt(0)
	s_barrier
	s_and_saveexec_b64 s[0:1], vcc
	s_cbranch_execz .LBB48_21
; %bb.20:
	v_lshl_add_u32 v17, v0, 8, v18
	ds_read_b128 v[13:16], v17
	ds_read_b128 v[19:22], v17 offset:16
	s_waitcnt lgkmcnt(0)
	v_add_f64 v[13:14], v[19:20], v[13:14]
	v_add_f64 v[15:16], v[21:22], v[15:16]
.LBB48_21:
	s_or_b64 exec, exec, s[0:1]
	v_cmp_gt_u32_e64 s[0:1], 17, v0
	s_branch .LBB48_34
.LBB48_22:
                                        ; implicit-def: $vgpr15_vgpr16
                                        ; implicit-def: $vgpr13_vgpr14
	v_cmp_gt_u32_e64 s[0:1], 17, v0
	s_cbranch_execz .LBB48_34
; %bb.23:
	s_and_saveexec_b64 s[2:3], s[0:1]
	s_cbranch_execz .LBB48_25
; %bb.24:
	ds_read_b128 v[13:16], v18 offset:4352
	ds_read_b128 v[19:22], v18
	s_waitcnt lgkmcnt(0)
	v_add_f64 v[13:14], v[13:14], v[19:20]
	v_add_f64 v[15:16], v[15:16], v[21:22]
	ds_write_b128 v18, v[13:16]
.LBB48_25:
	s_or_b64 exec, exec, s[2:3]
	s_movk_i32 s2, 0x88
	v_cmp_gt_u32_e32 vcc, s2, v0
	s_waitcnt lgkmcnt(0)
	s_barrier
	s_and_saveexec_b64 s[2:3], vcc
	s_cbranch_execz .LBB48_27
; %bb.26:
	ds_read_b128 v[13:16], v18 offset:2176
	ds_read_b128 v[19:22], v18
	s_waitcnt lgkmcnt(0)
	v_add_f64 v[13:14], v[13:14], v[19:20]
	v_add_f64 v[15:16], v[15:16], v[21:22]
	ds_write_b128 v18, v[13:16]
.LBB48_27:
	s_or_b64 exec, exec, s[2:3]
	s_movk_i32 s2, 0x44
	v_cmp_gt_u32_e32 vcc, s2, v0
	s_waitcnt lgkmcnt(0)
	s_barrier
	s_and_saveexec_b64 s[2:3], vcc
	s_cbranch_execz .LBB48_29
; %bb.28:
	ds_read_b128 v[13:16], v18 offset:1088
	ds_read_b128 v[19:22], v18
	s_waitcnt lgkmcnt(0)
	v_add_f64 v[13:14], v[13:14], v[19:20]
	v_add_f64 v[15:16], v[15:16], v[21:22]
	ds_write_b128 v18, v[13:16]
.LBB48_29:
	s_or_b64 exec, exec, s[2:3]
	v_cmp_gt_u32_e32 vcc, 34, v0
	s_waitcnt lgkmcnt(0)
	s_barrier
	s_and_saveexec_b64 s[2:3], vcc
	s_cbranch_execz .LBB48_31
; %bb.30:
	ds_read_b128 v[13:16], v18 offset:544
	ds_read_b128 v[19:22], v18
	s_waitcnt lgkmcnt(0)
	v_add_f64 v[13:14], v[13:14], v[19:20]
	v_add_f64 v[15:16], v[15:16], v[21:22]
	ds_write_b128 v18, v[13:16]
.LBB48_31:
	s_or_b64 exec, exec, s[2:3]
	s_waitcnt lgkmcnt(0)
	s_and_saveexec_b64 s[2:3], s[0:1]
	s_cbranch_execz .LBB48_33
; %bb.32:
	ds_read_b128 v[9:12], v18 offset:272
	ds_read_b128 v[13:16], v18
	s_waitcnt lgkmcnt(0)
	v_add_f64 v[9:10], v[9:10], v[13:14]
	v_add_f64 v[11:12], v[11:12], v[15:16]
.LBB48_33:
	s_or_b64 exec, exec, s[2:3]
	v_mov_b32_e32 v16, v12
	v_mov_b32_e32 v14, v10
	;; [unrolled: 1-line block ×4, first 2 shown]
.LBB48_34:
	v_cmp_gt_u32_e32 vcc, 17, v0
	s_and_b64 exec, exec, vcc
	s_cbranch_execz .LBB48_39
; %bb.35:
	v_mul_f64 v[9:10], v[15:16], -v[7:8]
	v_mul_f64 v[11:12], v[5:6], v[15:16]
	v_cmp_eq_f64_e32 vcc, 0, v[1:2]
	v_cmp_eq_f64_e64 s[0:1], 0, v[3:4]
	v_fma_f64 v[5:6], v[5:6], v[13:14], v[9:10]
	v_fma_f64 v[7:8], v[7:8], v[13:14], v[11:12]
	s_and_b64 s[0:1], vcc, s[0:1]
	s_and_saveexec_b64 s[2:3], s[0:1]
	s_xor_b64 s[0:1], exec, s[2:3]
	s_cbranch_execz .LBB48_37
; %bb.36:
	v_mad_u64_u32 v[0:1], s[2:3], s6, 17, v[0:1]
	v_mov_b32_e32 v1, 0
	v_mov_b32_e32 v2, s9
	v_lshlrev_b64 v[0:1], 4, v[0:1]
	v_add_co_u32_e32 v0, vcc, s8, v0
	v_addc_co_u32_e32 v1, vcc, v2, v1, vcc
	global_store_dwordx4 v[0:1], v[5:8], off
                                        ; implicit-def: $vgpr0
                                        ; implicit-def: $vgpr1_vgpr2
                                        ; implicit-def: $vgpr5_vgpr6
.LBB48_37:
	s_andn2_saveexec_b64 s[0:1], s[0:1]
	s_cbranch_execz .LBB48_39
; %bb.38:
	v_mad_u64_u32 v[9:10], s[0:1], s6, 17, v[0:1]
	v_mov_b32_e32 v10, 0
	v_mov_b32_e32 v0, s9
	v_lshlrev_b64 v[9:10], 4, v[9:10]
	v_add_co_u32_e32 v13, vcc, s8, v9
	v_addc_co_u32_e32 v14, vcc, v0, v10, vcc
	global_load_dwordx4 v[9:12], v[13:14], off
	s_waitcnt vmcnt(0)
	v_fma_f64 v[5:6], v[1:2], v[9:10], v[5:6]
	v_fma_f64 v[7:8], v[3:4], v[9:10], v[7:8]
	v_fma_f64 v[3:4], -v[3:4], v[11:12], v[5:6]
	v_fma_f64 v[5:6], v[1:2], v[11:12], v[7:8]
	global_store_dwordx4 v[13:14], v[3:6], off
.LBB48_39:
	s_endpgm
	.section	.rodata,"a",@progbits
	.p2align	6, 0x0
	.amdhsa_kernel _ZN9rocsparseL20bsrxmvn_17_32_kernelILj17E21rocsparse_complex_numIdEiiS2_S2_S2_EEvT2_20rocsparse_direction_NS_24const_host_device_scalarIT0_EES3_PKS3_PKT1_SC_S9_PKT3_PKT4_S7_PT5_21rocsparse_index_base_b
		.amdhsa_group_segment_fixed_size 4624
		.amdhsa_private_segment_fixed_size 0
		.amdhsa_kernarg_size 112
		.amdhsa_user_sgpr_count 6
		.amdhsa_user_sgpr_private_segment_buffer 1
		.amdhsa_user_sgpr_dispatch_ptr 0
		.amdhsa_user_sgpr_queue_ptr 0
		.amdhsa_user_sgpr_kernarg_segment_ptr 1
		.amdhsa_user_sgpr_dispatch_id 0
		.amdhsa_user_sgpr_flat_scratch_init 0
		.amdhsa_user_sgpr_private_segment_size 0
		.amdhsa_uses_dynamic_stack 0
		.amdhsa_system_sgpr_private_segment_wavefront_offset 0
		.amdhsa_system_sgpr_workgroup_id_x 1
		.amdhsa_system_sgpr_workgroup_id_y 0
		.amdhsa_system_sgpr_workgroup_id_z 0
		.amdhsa_system_sgpr_workgroup_info 0
		.amdhsa_system_vgpr_workitem_id 0
		.amdhsa_next_free_vgpr 29
		.amdhsa_next_free_sgpr 18
		.amdhsa_reserve_vcc 1
		.amdhsa_reserve_flat_scratch 0
		.amdhsa_float_round_mode_32 0
		.amdhsa_float_round_mode_16_64 0
		.amdhsa_float_denorm_mode_32 3
		.amdhsa_float_denorm_mode_16_64 3
		.amdhsa_dx10_clamp 1
		.amdhsa_ieee_mode 1
		.amdhsa_fp16_overflow 0
		.amdhsa_exception_fp_ieee_invalid_op 0
		.amdhsa_exception_fp_denorm_src 0
		.amdhsa_exception_fp_ieee_div_zero 0
		.amdhsa_exception_fp_ieee_overflow 0
		.amdhsa_exception_fp_ieee_underflow 0
		.amdhsa_exception_fp_ieee_inexact 0
		.amdhsa_exception_int_div_zero 0
	.end_amdhsa_kernel
	.section	.text._ZN9rocsparseL20bsrxmvn_17_32_kernelILj17E21rocsparse_complex_numIdEiiS2_S2_S2_EEvT2_20rocsparse_direction_NS_24const_host_device_scalarIT0_EES3_PKS3_PKT1_SC_S9_PKT3_PKT4_S7_PT5_21rocsparse_index_base_b,"axG",@progbits,_ZN9rocsparseL20bsrxmvn_17_32_kernelILj17E21rocsparse_complex_numIdEiiS2_S2_S2_EEvT2_20rocsparse_direction_NS_24const_host_device_scalarIT0_EES3_PKS3_PKT1_SC_S9_PKT3_PKT4_S7_PT5_21rocsparse_index_base_b,comdat
.Lfunc_end48:
	.size	_ZN9rocsparseL20bsrxmvn_17_32_kernelILj17E21rocsparse_complex_numIdEiiS2_S2_S2_EEvT2_20rocsparse_direction_NS_24const_host_device_scalarIT0_EES3_PKS3_PKT1_SC_S9_PKT3_PKT4_S7_PT5_21rocsparse_index_base_b, .Lfunc_end48-_ZN9rocsparseL20bsrxmvn_17_32_kernelILj17E21rocsparse_complex_numIdEiiS2_S2_S2_EEvT2_20rocsparse_direction_NS_24const_host_device_scalarIT0_EES3_PKS3_PKT1_SC_S9_PKT3_PKT4_S7_PT5_21rocsparse_index_base_b
                                        ; -- End function
	.set _ZN9rocsparseL20bsrxmvn_17_32_kernelILj17E21rocsparse_complex_numIdEiiS2_S2_S2_EEvT2_20rocsparse_direction_NS_24const_host_device_scalarIT0_EES3_PKS3_PKT1_SC_S9_PKT3_PKT4_S7_PT5_21rocsparse_index_base_b.num_vgpr, 29
	.set _ZN9rocsparseL20bsrxmvn_17_32_kernelILj17E21rocsparse_complex_numIdEiiS2_S2_S2_EEvT2_20rocsparse_direction_NS_24const_host_device_scalarIT0_EES3_PKS3_PKT1_SC_S9_PKT3_PKT4_S7_PT5_21rocsparse_index_base_b.num_agpr, 0
	.set _ZN9rocsparseL20bsrxmvn_17_32_kernelILj17E21rocsparse_complex_numIdEiiS2_S2_S2_EEvT2_20rocsparse_direction_NS_24const_host_device_scalarIT0_EES3_PKS3_PKT1_SC_S9_PKT3_PKT4_S7_PT5_21rocsparse_index_base_b.numbered_sgpr, 18
	.set _ZN9rocsparseL20bsrxmvn_17_32_kernelILj17E21rocsparse_complex_numIdEiiS2_S2_S2_EEvT2_20rocsparse_direction_NS_24const_host_device_scalarIT0_EES3_PKS3_PKT1_SC_S9_PKT3_PKT4_S7_PT5_21rocsparse_index_base_b.num_named_barrier, 0
	.set _ZN9rocsparseL20bsrxmvn_17_32_kernelILj17E21rocsparse_complex_numIdEiiS2_S2_S2_EEvT2_20rocsparse_direction_NS_24const_host_device_scalarIT0_EES3_PKS3_PKT1_SC_S9_PKT3_PKT4_S7_PT5_21rocsparse_index_base_b.private_seg_size, 0
	.set _ZN9rocsparseL20bsrxmvn_17_32_kernelILj17E21rocsparse_complex_numIdEiiS2_S2_S2_EEvT2_20rocsparse_direction_NS_24const_host_device_scalarIT0_EES3_PKS3_PKT1_SC_S9_PKT3_PKT4_S7_PT5_21rocsparse_index_base_b.uses_vcc, 1
	.set _ZN9rocsparseL20bsrxmvn_17_32_kernelILj17E21rocsparse_complex_numIdEiiS2_S2_S2_EEvT2_20rocsparse_direction_NS_24const_host_device_scalarIT0_EES3_PKS3_PKT1_SC_S9_PKT3_PKT4_S7_PT5_21rocsparse_index_base_b.uses_flat_scratch, 0
	.set _ZN9rocsparseL20bsrxmvn_17_32_kernelILj17E21rocsparse_complex_numIdEiiS2_S2_S2_EEvT2_20rocsparse_direction_NS_24const_host_device_scalarIT0_EES3_PKS3_PKT1_SC_S9_PKT3_PKT4_S7_PT5_21rocsparse_index_base_b.has_dyn_sized_stack, 0
	.set _ZN9rocsparseL20bsrxmvn_17_32_kernelILj17E21rocsparse_complex_numIdEiiS2_S2_S2_EEvT2_20rocsparse_direction_NS_24const_host_device_scalarIT0_EES3_PKS3_PKT1_SC_S9_PKT3_PKT4_S7_PT5_21rocsparse_index_base_b.has_recursion, 0
	.set _ZN9rocsparseL20bsrxmvn_17_32_kernelILj17E21rocsparse_complex_numIdEiiS2_S2_S2_EEvT2_20rocsparse_direction_NS_24const_host_device_scalarIT0_EES3_PKS3_PKT1_SC_S9_PKT3_PKT4_S7_PT5_21rocsparse_index_base_b.has_indirect_call, 0
	.section	.AMDGPU.csdata,"",@progbits
; Kernel info:
; codeLenInByte = 1636
; TotalNumSgprs: 22
; NumVgprs: 29
; ScratchSize: 0
; MemoryBound: 0
; FloatMode: 240
; IeeeMode: 1
; LDSByteSize: 4624 bytes/workgroup (compile time only)
; SGPRBlocks: 2
; VGPRBlocks: 7
; NumSGPRsForWavesPerEU: 22
; NumVGPRsForWavesPerEU: 29
; Occupancy: 8
; WaveLimiterHint : 1
; COMPUTE_PGM_RSRC2:SCRATCH_EN: 0
; COMPUTE_PGM_RSRC2:USER_SGPR: 6
; COMPUTE_PGM_RSRC2:TRAP_HANDLER: 0
; COMPUTE_PGM_RSRC2:TGID_X_EN: 1
; COMPUTE_PGM_RSRC2:TGID_Y_EN: 0
; COMPUTE_PGM_RSRC2:TGID_Z_EN: 0
; COMPUTE_PGM_RSRC2:TIDIG_COMP_CNT: 0
	.section	.text._ZN9rocsparseL20bsrxmvn_17_32_kernelILj18E21rocsparse_complex_numIdEiiS2_S2_S2_EEvT2_20rocsparse_direction_NS_24const_host_device_scalarIT0_EES3_PKS3_PKT1_SC_S9_PKT3_PKT4_S7_PT5_21rocsparse_index_base_b,"axG",@progbits,_ZN9rocsparseL20bsrxmvn_17_32_kernelILj18E21rocsparse_complex_numIdEiiS2_S2_S2_EEvT2_20rocsparse_direction_NS_24const_host_device_scalarIT0_EES3_PKS3_PKT1_SC_S9_PKT3_PKT4_S7_PT5_21rocsparse_index_base_b,comdat
	.globl	_ZN9rocsparseL20bsrxmvn_17_32_kernelILj18E21rocsparse_complex_numIdEiiS2_S2_S2_EEvT2_20rocsparse_direction_NS_24const_host_device_scalarIT0_EES3_PKS3_PKT1_SC_S9_PKT3_PKT4_S7_PT5_21rocsparse_index_base_b ; -- Begin function _ZN9rocsparseL20bsrxmvn_17_32_kernelILj18E21rocsparse_complex_numIdEiiS2_S2_S2_EEvT2_20rocsparse_direction_NS_24const_host_device_scalarIT0_EES3_PKS3_PKT1_SC_S9_PKT3_PKT4_S7_PT5_21rocsparse_index_base_b
	.p2align	8
	.type	_ZN9rocsparseL20bsrxmvn_17_32_kernelILj18E21rocsparse_complex_numIdEiiS2_S2_S2_EEvT2_20rocsparse_direction_NS_24const_host_device_scalarIT0_EES3_PKS3_PKT1_SC_S9_PKT3_PKT4_S7_PT5_21rocsparse_index_base_b,@function
_ZN9rocsparseL20bsrxmvn_17_32_kernelILj18E21rocsparse_complex_numIdEiiS2_S2_S2_EEvT2_20rocsparse_direction_NS_24const_host_device_scalarIT0_EES3_PKS3_PKT1_SC_S9_PKT3_PKT4_S7_PT5_21rocsparse_index_base_b: ; @_ZN9rocsparseL20bsrxmvn_17_32_kernelILj18E21rocsparse_complex_numIdEiiS2_S2_S2_EEvT2_20rocsparse_direction_NS_24const_host_device_scalarIT0_EES3_PKS3_PKT1_SC_S9_PKT3_PKT4_S7_PT5_21rocsparse_index_base_b
; %bb.0:
	s_load_dwordx2 s[0:1], s[4:5], 0x8
	s_load_dwordx2 s[10:11], s[4:5], 0x68
	s_add_u32 s7, s4, 8
	s_addc_u32 s8, s5, 0
	s_add_u32 s9, s4, 0x50
	s_addc_u32 s12, s5, 0
	s_waitcnt lgkmcnt(0)
	s_bitcmp1_b32 s11, 0
	s_cselect_b32 s1, s8, s1
	s_cselect_b32 s0, s7, s0
	v_mov_b32_e32 v1, s0
	v_mov_b32_e32 v2, s1
	flat_load_dwordx4 v[5:8], v[1:2]
	s_load_dwordx2 s[2:3], s[4:5], 0x50
	s_waitcnt lgkmcnt(0)
	s_cselect_b32 s0, s12, s3
	s_cselect_b32 s1, s9, s2
	v_mov_b32_e32 v1, s1
	v_mov_b32_e32 v2, s0
	flat_load_dwordx4 v[1:4], v[1:2]
	s_waitcnt vmcnt(0)
	v_cmp_eq_f64_e32 vcc, 0, v[5:6]
	v_cmp_eq_f64_e64 s[0:1], 0, v[7:8]
	s_and_b64 s[8:9], vcc, s[0:1]
	s_mov_b64 s[0:1], -1
	s_and_saveexec_b64 s[2:3], s[8:9]
	s_cbranch_execz .LBB49_2
; %bb.1:
	s_waitcnt lgkmcnt(0)
	v_cmp_neq_f64_e32 vcc, 1.0, v[1:2]
	v_cmp_neq_f64_e64 s[0:1], 0, v[3:4]
	s_or_b64 s[0:1], vcc, s[0:1]
	s_orn2_b64 s[0:1], s[0:1], exec
.LBB49_2:
	s_or_b64 exec, exec, s[2:3]
	s_and_saveexec_b64 s[2:3], s[0:1]
	s_cbranch_execz .LBB49_39
; %bb.3:
	s_load_dwordx4 s[0:3], s[4:5], 0x20
	s_load_dwordx2 s[14:15], s[4:5], 0x30
	s_waitcnt lgkmcnt(0)
	s_cmp_eq_u64 s[0:1], 0
	s_cbranch_scc1 .LBB49_5
; %bb.4:
	s_ashr_i32 s7, s6, 31
	s_lshl_b64 s[6:7], s[6:7], 2
	s_add_u32 s0, s0, s6
	s_addc_u32 s1, s1, s7
	s_load_dword s0, s[0:1], 0x0
	s_waitcnt lgkmcnt(0)
	s_sub_i32 s6, s0, s10
.LBB49_5:
	s_load_dword s0, s[4:5], 0x4
	s_load_dwordx2 s[8:9], s[4:5], 0x60
	v_mul_u32_u24_e32 v13, 0xe39, v0
	v_mov_b32_e32 v14, 18
	v_mul_lo_u16_sdwa v9, v13, v14 dst_sel:DWORD dst_unused:UNUSED_PAD src0_sel:WORD_1 src1_sel:DWORD
	s_waitcnt lgkmcnt(0)
	s_cmp_eq_u32 s0, 1
	s_cselect_b64 vcc, -1, 0
	s_cmp_lg_u32 s0, 1
	s_cselect_b64 s[12:13], -1, 0
	s_ashr_i32 s7, s6, 31
	s_lshl_b64 s[0:1], s[6:7], 2
	s_add_u32 s2, s2, s0
	s_addc_u32 s3, s3, s1
	s_load_dword s7, s[2:3], 0x0
	s_add_u32 s2, s2, 4
	s_addc_u32 s3, s3, 0
	s_add_u32 s0, s14, s0
	s_addc_u32 s1, s15, s1
	s_cmp_eq_u64 s[14:15], 0
	s_cselect_b32 s1, s3, s1
	s_cselect_b32 s0, s2, s0
	s_load_dword s11, s[0:1], 0x0
	v_sub_u16_e32 v19, v0, v9
	v_mov_b32_e32 v11, 0
	v_mov_b32_e32 v9, 0
	;; [unrolled: 1-line block ×3, first 2 shown]
	s_waitcnt lgkmcnt(0)
	s_cmp_ge_i32 s7, s11
	v_mov_b32_e32 v10, 0
	v_lshlrev_b32_e32 v18, 4, v0
	s_cbranch_scc1 .LBB49_10
; %bb.6:
	s_load_dwordx2 s[14:15], s[4:5], 0x48
	s_load_dwordx4 s[0:3], s[4:5], 0x38
	v_mov_b32_e32 v9, 15
	v_mul_lo_u16_sdwa v9, v13, v9 dst_sel:DWORD dst_unused:UNUSED_PAD src0_sel:WORD_1 src1_sel:DWORD
	s_sub_i32 s5, s7, s10
	s_sub_i32 s4, s11, s10
	v_mul_lo_u16_sdwa v9, v9, v14 dst_sel:DWORD dst_unused:UNUSED_PAD src0_sel:BYTE_1 src1_sel:DWORD
	s_mul_i32 s11, s5, 0x1440
	v_sub_u16_sdwa v9, v13, v9 dst_sel:DWORD dst_unused:UNUSED_PAD src0_sel:WORD_1 src1_sel:DWORD
	s_mul_hi_i32 s7, s5, 0x1440
	s_waitcnt lgkmcnt(0)
	s_add_u32 s2, s2, s11
	v_and_b32_e32 v9, 0xff, v9
	s_addc_u32 s3, s3, s7
	v_cndmask_b32_e32 v13, v19, v9, vcc
	v_mov_b32_e32 v9, s3
	v_add_co_u32_e32 v14, vcc, s2, v18
	s_movk_i32 s2, 0x195
	v_addc_co_u32_e32 v15, vcc, 0, v9, vcc
	v_mul_u32_u24_sdwa v9, v0, s2 dst_sel:DWORD dst_unused:UNUSED_PAD src0_sel:WORD_0 src1_sel:DWORD
	v_mov_b32_e32 v11, 0
	v_mov_b32_e32 v12, 0
	v_lshrrev_b32_e32 v20, 17, v9
	v_mov_b32_e32 v9, v11
	v_mov_b32_e32 v10, v12
	s_branch .LBB49_8
.LBB49_7:                               ;   in Loop: Header=BB49_8 Depth=1
	s_or_b64 exec, exec, s[2:3]
	s_add_i32 s5, s5, 1
	s_cmp_lt_i32 s5, s4
	s_cbranch_scc0 .LBB49_10
.LBB49_8:                               ; =>This Inner Loop Header: Depth=1
	v_add_u32_e32 v16, s5, v20
	v_cmp_gt_i32_e32 vcc, s4, v16
	s_and_saveexec_b64 s[2:3], vcc
	s_cbranch_execz .LBB49_7
; %bb.9:                                ;   in Loop: Header=BB49_8 Depth=1
	v_ashrrev_i32_e32 v17, 31, v16
	v_lshlrev_b64 v[16:17], 2, v[16:17]
	v_mov_b32_e32 v21, s1
	v_add_co_u32_e32 v16, vcc, s0, v16
	v_addc_co_u32_e32 v17, vcc, v21, v17, vcc
	global_load_dword v16, v[16:17], off
	v_mov_b32_e32 v25, s15
	global_load_dwordx4 v[21:24], v[14:15], off
	s_waitcnt vmcnt(1)
	v_subrev_u32_e32 v16, s10, v16
	v_mad_u64_u32 v[16:17], s[16:17], v16, 18, v[13:14]
	v_ashrrev_i32_e32 v17, 31, v16
	v_lshlrev_b64 v[16:17], 4, v[16:17]
	v_add_co_u32_e32 v16, vcc, s14, v16
	v_addc_co_u32_e32 v17, vcc, v25, v17, vcc
	global_load_dwordx4 v[25:28], v[16:17], off
	v_add_co_u32_e32 v14, vcc, 0x1440, v14
	v_addc_co_u32_e32 v15, vcc, 0, v15, vcc
	s_waitcnt vmcnt(0)
	v_fma_f64 v[9:10], v[21:22], v[25:26], v[9:10]
	v_fma_f64 v[11:12], v[23:24], v[25:26], v[11:12]
	v_fma_f64 v[9:10], -v[23:24], v[27:28], v[9:10]
	v_fma_f64 v[11:12], v[21:22], v[27:28], v[11:12]
	s_branch .LBB49_7
.LBB49_10:
	s_and_b64 vcc, exec, s[12:13]
	ds_write_b128 v18, v[9:12]
	s_waitcnt lgkmcnt(0)
	s_barrier
	s_cbranch_vccz .LBB49_22
; %bb.11:
	v_cmp_gt_u16_e32 vcc, 2, v19
	s_and_saveexec_b64 s[0:1], vcc
	s_cbranch_execz .LBB49_13
; %bb.12:
	ds_read_b128 v[13:16], v18 offset:256
	ds_read_b128 v[20:23], v18
	s_waitcnt lgkmcnt(0)
	v_add_f64 v[13:14], v[13:14], v[20:21]
	v_add_f64 v[15:16], v[15:16], v[22:23]
	ds_write_b128 v18, v[13:16]
.LBB49_13:
	s_or_b64 exec, exec, s[0:1]
	v_cmp_gt_u16_e64 s[0:1], 8, v19
	s_waitcnt lgkmcnt(0)
	s_barrier
	s_and_saveexec_b64 s[2:3], s[0:1]
	s_cbranch_execz .LBB49_15
; %bb.14:
	ds_read_b128 v[13:16], v18 offset:128
	ds_read_b128 v[20:23], v18
	s_waitcnt lgkmcnt(0)
	v_add_f64 v[13:14], v[13:14], v[20:21]
	v_add_f64 v[15:16], v[15:16], v[22:23]
	ds_write_b128 v18, v[13:16]
.LBB49_15:
	s_or_b64 exec, exec, s[2:3]
	v_cmp_gt_u16_e64 s[0:1], 4, v19
	s_waitcnt lgkmcnt(0)
	s_barrier
	s_and_saveexec_b64 s[2:3], s[0:1]
	s_cbranch_execz .LBB49_17
; %bb.16:
	ds_read_b128 v[13:16], v18 offset:64
	ds_read_b128 v[19:22], v18
	s_waitcnt lgkmcnt(0)
	v_add_f64 v[13:14], v[13:14], v[19:20]
	v_add_f64 v[15:16], v[15:16], v[21:22]
	ds_write_b128 v18, v[13:16]
.LBB49_17:
	s_or_b64 exec, exec, s[2:3]
	s_waitcnt lgkmcnt(0)
	s_barrier
	s_and_saveexec_b64 s[0:1], vcc
	s_cbranch_execz .LBB49_19
; %bb.18:
	ds_read_b128 v[13:16], v18
	ds_read_b128 v[19:22], v18 offset:32
	s_waitcnt lgkmcnt(0)
	v_add_f64 v[13:14], v[19:20], v[13:14]
	v_add_f64 v[15:16], v[21:22], v[15:16]
	ds_write_b128 v18, v[13:16]
.LBB49_19:
	s_or_b64 exec, exec, s[0:1]
	v_mov_b32_e32 v16, v12
	v_mov_b32_e32 v14, v10
	v_cmp_gt_u32_e32 vcc, 18, v0
	v_mov_b32_e32 v15, v11
	v_mov_b32_e32 v13, v9
	s_waitcnt lgkmcnt(0)
	s_barrier
	s_and_saveexec_b64 s[0:1], vcc
	s_cbranch_execz .LBB49_21
; %bb.20:
	s_movk_i32 s2, 0x110
	v_mad_u32_u24 v17, v0, s2, v18
	ds_read_b128 v[13:16], v17
	ds_read_b128 v[19:22], v17 offset:16
	s_waitcnt lgkmcnt(0)
	v_add_f64 v[13:14], v[19:20], v[13:14]
	v_add_f64 v[15:16], v[21:22], v[15:16]
.LBB49_21:
	s_or_b64 exec, exec, s[0:1]
	s_branch .LBB49_34
.LBB49_22:
                                        ; implicit-def: $vgpr15_vgpr16
                                        ; implicit-def: $vgpr13_vgpr14
	s_cbranch_execz .LBB49_34
; %bb.23:
	v_cmp_gt_u32_e32 vcc, 36, v0
	s_and_saveexec_b64 s[0:1], vcc
	s_cbranch_execz .LBB49_25
; %bb.24:
	ds_read_b128 v[13:16], v18 offset:4608
	ds_read_b128 v[19:22], v18
	s_waitcnt lgkmcnt(0)
	v_add_f64 v[13:14], v[13:14], v[19:20]
	v_add_f64 v[15:16], v[15:16], v[21:22]
	ds_write_b128 v18, v[13:16]
.LBB49_25:
	s_or_b64 exec, exec, s[0:1]
	s_movk_i32 s0, 0x90
	v_cmp_gt_u32_e64 s[0:1], s0, v0
	s_waitcnt lgkmcnt(0)
	s_barrier
	s_and_saveexec_b64 s[2:3], s[0:1]
	s_cbranch_execz .LBB49_27
; %bb.26:
	ds_read_b128 v[13:16], v18 offset:2304
	ds_read_b128 v[19:22], v18
	s_waitcnt lgkmcnt(0)
	v_add_f64 v[13:14], v[13:14], v[19:20]
	v_add_f64 v[15:16], v[15:16], v[21:22]
	ds_write_b128 v18, v[13:16]
.LBB49_27:
	s_or_b64 exec, exec, s[2:3]
	s_movk_i32 s0, 0x48
	v_cmp_gt_u32_e64 s[0:1], s0, v0
	s_waitcnt lgkmcnt(0)
	s_barrier
	s_and_saveexec_b64 s[2:3], s[0:1]
	s_cbranch_execz .LBB49_29
; %bb.28:
	ds_read_b128 v[13:16], v18 offset:1152
	ds_read_b128 v[19:22], v18
	s_waitcnt lgkmcnt(0)
	v_add_f64 v[13:14], v[13:14], v[19:20]
	v_add_f64 v[15:16], v[15:16], v[21:22]
	ds_write_b128 v18, v[13:16]
.LBB49_29:
	s_or_b64 exec, exec, s[2:3]
	s_waitcnt lgkmcnt(0)
	s_barrier
	s_and_saveexec_b64 s[0:1], vcc
	s_cbranch_execz .LBB49_31
; %bb.30:
	ds_read_b128 v[13:16], v18 offset:576
	ds_read_b128 v[19:22], v18
	s_waitcnt lgkmcnt(0)
	v_add_f64 v[13:14], v[13:14], v[19:20]
	v_add_f64 v[15:16], v[15:16], v[21:22]
	ds_write_b128 v18, v[13:16]
.LBB49_31:
	s_or_b64 exec, exec, s[0:1]
	v_cmp_gt_u32_e32 vcc, 18, v0
	s_waitcnt lgkmcnt(0)
	s_and_saveexec_b64 s[0:1], vcc
	s_cbranch_execz .LBB49_33
; %bb.32:
	ds_read_b128 v[9:12], v18 offset:288
	ds_read_b128 v[13:16], v18
	s_waitcnt lgkmcnt(0)
	v_add_f64 v[9:10], v[9:10], v[13:14]
	v_add_f64 v[11:12], v[11:12], v[15:16]
.LBB49_33:
	s_or_b64 exec, exec, s[0:1]
	v_mov_b32_e32 v16, v12
	v_mov_b32_e32 v14, v10
	;; [unrolled: 1-line block ×4, first 2 shown]
.LBB49_34:
	v_cmp_gt_u32_e32 vcc, 18, v0
	s_and_b64 exec, exec, vcc
	s_cbranch_execz .LBB49_39
; %bb.35:
	v_mul_f64 v[9:10], v[15:16], -v[7:8]
	v_mul_f64 v[11:12], v[5:6], v[15:16]
	v_cmp_eq_f64_e32 vcc, 0, v[1:2]
	v_cmp_eq_f64_e64 s[0:1], 0, v[3:4]
	v_fma_f64 v[5:6], v[5:6], v[13:14], v[9:10]
	v_fma_f64 v[7:8], v[7:8], v[13:14], v[11:12]
	s_and_b64 s[0:1], vcc, s[0:1]
	s_and_saveexec_b64 s[2:3], s[0:1]
	s_xor_b64 s[0:1], exec, s[2:3]
	s_cbranch_execz .LBB49_37
; %bb.36:
	v_mad_u64_u32 v[0:1], s[2:3], s6, 18, v[0:1]
	v_mov_b32_e32 v1, 0
	v_mov_b32_e32 v2, s9
	v_lshlrev_b64 v[0:1], 4, v[0:1]
	v_add_co_u32_e32 v0, vcc, s8, v0
	v_addc_co_u32_e32 v1, vcc, v2, v1, vcc
	global_store_dwordx4 v[0:1], v[5:8], off
                                        ; implicit-def: $vgpr0
                                        ; implicit-def: $vgpr1_vgpr2
                                        ; implicit-def: $vgpr5_vgpr6
.LBB49_37:
	s_andn2_saveexec_b64 s[0:1], s[0:1]
	s_cbranch_execz .LBB49_39
; %bb.38:
	v_mad_u64_u32 v[9:10], s[0:1], s6, 18, v[0:1]
	v_mov_b32_e32 v10, 0
	v_mov_b32_e32 v0, s9
	v_lshlrev_b64 v[9:10], 4, v[9:10]
	v_add_co_u32_e32 v13, vcc, s8, v9
	v_addc_co_u32_e32 v14, vcc, v0, v10, vcc
	global_load_dwordx4 v[9:12], v[13:14], off
	s_waitcnt vmcnt(0)
	v_fma_f64 v[5:6], v[1:2], v[9:10], v[5:6]
	v_fma_f64 v[7:8], v[3:4], v[9:10], v[7:8]
	v_fma_f64 v[3:4], -v[3:4], v[11:12], v[5:6]
	v_fma_f64 v[5:6], v[1:2], v[11:12], v[7:8]
	global_store_dwordx4 v[13:14], v[3:6], off
.LBB49_39:
	s_endpgm
	.section	.rodata,"a",@progbits
	.p2align	6, 0x0
	.amdhsa_kernel _ZN9rocsparseL20bsrxmvn_17_32_kernelILj18E21rocsparse_complex_numIdEiiS2_S2_S2_EEvT2_20rocsparse_direction_NS_24const_host_device_scalarIT0_EES3_PKS3_PKT1_SC_S9_PKT3_PKT4_S7_PT5_21rocsparse_index_base_b
		.amdhsa_group_segment_fixed_size 5184
		.amdhsa_private_segment_fixed_size 0
		.amdhsa_kernarg_size 112
		.amdhsa_user_sgpr_count 6
		.amdhsa_user_sgpr_private_segment_buffer 1
		.amdhsa_user_sgpr_dispatch_ptr 0
		.amdhsa_user_sgpr_queue_ptr 0
		.amdhsa_user_sgpr_kernarg_segment_ptr 1
		.amdhsa_user_sgpr_dispatch_id 0
		.amdhsa_user_sgpr_flat_scratch_init 0
		.amdhsa_user_sgpr_private_segment_size 0
		.amdhsa_uses_dynamic_stack 0
		.amdhsa_system_sgpr_private_segment_wavefront_offset 0
		.amdhsa_system_sgpr_workgroup_id_x 1
		.amdhsa_system_sgpr_workgroup_id_y 0
		.amdhsa_system_sgpr_workgroup_id_z 0
		.amdhsa_system_sgpr_workgroup_info 0
		.amdhsa_system_vgpr_workitem_id 0
		.amdhsa_next_free_vgpr 29
		.amdhsa_next_free_sgpr 61
		.amdhsa_reserve_vcc 1
		.amdhsa_reserve_flat_scratch 0
		.amdhsa_float_round_mode_32 0
		.amdhsa_float_round_mode_16_64 0
		.amdhsa_float_denorm_mode_32 3
		.amdhsa_float_denorm_mode_16_64 3
		.amdhsa_dx10_clamp 1
		.amdhsa_ieee_mode 1
		.amdhsa_fp16_overflow 0
		.amdhsa_exception_fp_ieee_invalid_op 0
		.amdhsa_exception_fp_denorm_src 0
		.amdhsa_exception_fp_ieee_div_zero 0
		.amdhsa_exception_fp_ieee_overflow 0
		.amdhsa_exception_fp_ieee_underflow 0
		.amdhsa_exception_fp_ieee_inexact 0
		.amdhsa_exception_int_div_zero 0
	.end_amdhsa_kernel
	.section	.text._ZN9rocsparseL20bsrxmvn_17_32_kernelILj18E21rocsparse_complex_numIdEiiS2_S2_S2_EEvT2_20rocsparse_direction_NS_24const_host_device_scalarIT0_EES3_PKS3_PKT1_SC_S9_PKT3_PKT4_S7_PT5_21rocsparse_index_base_b,"axG",@progbits,_ZN9rocsparseL20bsrxmvn_17_32_kernelILj18E21rocsparse_complex_numIdEiiS2_S2_S2_EEvT2_20rocsparse_direction_NS_24const_host_device_scalarIT0_EES3_PKS3_PKT1_SC_S9_PKT3_PKT4_S7_PT5_21rocsparse_index_base_b,comdat
.Lfunc_end49:
	.size	_ZN9rocsparseL20bsrxmvn_17_32_kernelILj18E21rocsparse_complex_numIdEiiS2_S2_S2_EEvT2_20rocsparse_direction_NS_24const_host_device_scalarIT0_EES3_PKS3_PKT1_SC_S9_PKT3_PKT4_S7_PT5_21rocsparse_index_base_b, .Lfunc_end49-_ZN9rocsparseL20bsrxmvn_17_32_kernelILj18E21rocsparse_complex_numIdEiiS2_S2_S2_EEvT2_20rocsparse_direction_NS_24const_host_device_scalarIT0_EES3_PKS3_PKT1_SC_S9_PKT3_PKT4_S7_PT5_21rocsparse_index_base_b
                                        ; -- End function
	.set _ZN9rocsparseL20bsrxmvn_17_32_kernelILj18E21rocsparse_complex_numIdEiiS2_S2_S2_EEvT2_20rocsparse_direction_NS_24const_host_device_scalarIT0_EES3_PKS3_PKT1_SC_S9_PKT3_PKT4_S7_PT5_21rocsparse_index_base_b.num_vgpr, 29
	.set _ZN9rocsparseL20bsrxmvn_17_32_kernelILj18E21rocsparse_complex_numIdEiiS2_S2_S2_EEvT2_20rocsparse_direction_NS_24const_host_device_scalarIT0_EES3_PKS3_PKT1_SC_S9_PKT3_PKT4_S7_PT5_21rocsparse_index_base_b.num_agpr, 0
	.set _ZN9rocsparseL20bsrxmvn_17_32_kernelILj18E21rocsparse_complex_numIdEiiS2_S2_S2_EEvT2_20rocsparse_direction_NS_24const_host_device_scalarIT0_EES3_PKS3_PKT1_SC_S9_PKT3_PKT4_S7_PT5_21rocsparse_index_base_b.numbered_sgpr, 18
	.set _ZN9rocsparseL20bsrxmvn_17_32_kernelILj18E21rocsparse_complex_numIdEiiS2_S2_S2_EEvT2_20rocsparse_direction_NS_24const_host_device_scalarIT0_EES3_PKS3_PKT1_SC_S9_PKT3_PKT4_S7_PT5_21rocsparse_index_base_b.num_named_barrier, 0
	.set _ZN9rocsparseL20bsrxmvn_17_32_kernelILj18E21rocsparse_complex_numIdEiiS2_S2_S2_EEvT2_20rocsparse_direction_NS_24const_host_device_scalarIT0_EES3_PKS3_PKT1_SC_S9_PKT3_PKT4_S7_PT5_21rocsparse_index_base_b.private_seg_size, 0
	.set _ZN9rocsparseL20bsrxmvn_17_32_kernelILj18E21rocsparse_complex_numIdEiiS2_S2_S2_EEvT2_20rocsparse_direction_NS_24const_host_device_scalarIT0_EES3_PKS3_PKT1_SC_S9_PKT3_PKT4_S7_PT5_21rocsparse_index_base_b.uses_vcc, 1
	.set _ZN9rocsparseL20bsrxmvn_17_32_kernelILj18E21rocsparse_complex_numIdEiiS2_S2_S2_EEvT2_20rocsparse_direction_NS_24const_host_device_scalarIT0_EES3_PKS3_PKT1_SC_S9_PKT3_PKT4_S7_PT5_21rocsparse_index_base_b.uses_flat_scratch, 0
	.set _ZN9rocsparseL20bsrxmvn_17_32_kernelILj18E21rocsparse_complex_numIdEiiS2_S2_S2_EEvT2_20rocsparse_direction_NS_24const_host_device_scalarIT0_EES3_PKS3_PKT1_SC_S9_PKT3_PKT4_S7_PT5_21rocsparse_index_base_b.has_dyn_sized_stack, 0
	.set _ZN9rocsparseL20bsrxmvn_17_32_kernelILj18E21rocsparse_complex_numIdEiiS2_S2_S2_EEvT2_20rocsparse_direction_NS_24const_host_device_scalarIT0_EES3_PKS3_PKT1_SC_S9_PKT3_PKT4_S7_PT5_21rocsparse_index_base_b.has_recursion, 0
	.set _ZN9rocsparseL20bsrxmvn_17_32_kernelILj18E21rocsparse_complex_numIdEiiS2_S2_S2_EEvT2_20rocsparse_direction_NS_24const_host_device_scalarIT0_EES3_PKS3_PKT1_SC_S9_PKT3_PKT4_S7_PT5_21rocsparse_index_base_b.has_indirect_call, 0
	.section	.AMDGPU.csdata,"",@progbits
; Kernel info:
; codeLenInByte = 1640
; TotalNumSgprs: 22
; NumVgprs: 29
; ScratchSize: 0
; MemoryBound: 0
; FloatMode: 240
; IeeeMode: 1
; LDSByteSize: 5184 bytes/workgroup (compile time only)
; SGPRBlocks: 8
; VGPRBlocks: 7
; NumSGPRsForWavesPerEU: 65
; NumVGPRsForWavesPerEU: 29
; Occupancy: 8
; WaveLimiterHint : 1
; COMPUTE_PGM_RSRC2:SCRATCH_EN: 0
; COMPUTE_PGM_RSRC2:USER_SGPR: 6
; COMPUTE_PGM_RSRC2:TRAP_HANDLER: 0
; COMPUTE_PGM_RSRC2:TGID_X_EN: 1
; COMPUTE_PGM_RSRC2:TGID_Y_EN: 0
; COMPUTE_PGM_RSRC2:TGID_Z_EN: 0
; COMPUTE_PGM_RSRC2:TIDIG_COMP_CNT: 0
	.section	.text._ZN9rocsparseL20bsrxmvn_17_32_kernelILj19E21rocsparse_complex_numIdEiiS2_S2_S2_EEvT2_20rocsparse_direction_NS_24const_host_device_scalarIT0_EES3_PKS3_PKT1_SC_S9_PKT3_PKT4_S7_PT5_21rocsparse_index_base_b,"axG",@progbits,_ZN9rocsparseL20bsrxmvn_17_32_kernelILj19E21rocsparse_complex_numIdEiiS2_S2_S2_EEvT2_20rocsparse_direction_NS_24const_host_device_scalarIT0_EES3_PKS3_PKT1_SC_S9_PKT3_PKT4_S7_PT5_21rocsparse_index_base_b,comdat
	.globl	_ZN9rocsparseL20bsrxmvn_17_32_kernelILj19E21rocsparse_complex_numIdEiiS2_S2_S2_EEvT2_20rocsparse_direction_NS_24const_host_device_scalarIT0_EES3_PKS3_PKT1_SC_S9_PKT3_PKT4_S7_PT5_21rocsparse_index_base_b ; -- Begin function _ZN9rocsparseL20bsrxmvn_17_32_kernelILj19E21rocsparse_complex_numIdEiiS2_S2_S2_EEvT2_20rocsparse_direction_NS_24const_host_device_scalarIT0_EES3_PKS3_PKT1_SC_S9_PKT3_PKT4_S7_PT5_21rocsparse_index_base_b
	.p2align	8
	.type	_ZN9rocsparseL20bsrxmvn_17_32_kernelILj19E21rocsparse_complex_numIdEiiS2_S2_S2_EEvT2_20rocsparse_direction_NS_24const_host_device_scalarIT0_EES3_PKS3_PKT1_SC_S9_PKT3_PKT4_S7_PT5_21rocsparse_index_base_b,@function
_ZN9rocsparseL20bsrxmvn_17_32_kernelILj19E21rocsparse_complex_numIdEiiS2_S2_S2_EEvT2_20rocsparse_direction_NS_24const_host_device_scalarIT0_EES3_PKS3_PKT1_SC_S9_PKT3_PKT4_S7_PT5_21rocsparse_index_base_b: ; @_ZN9rocsparseL20bsrxmvn_17_32_kernelILj19E21rocsparse_complex_numIdEiiS2_S2_S2_EEvT2_20rocsparse_direction_NS_24const_host_device_scalarIT0_EES3_PKS3_PKT1_SC_S9_PKT3_PKT4_S7_PT5_21rocsparse_index_base_b
; %bb.0:
	s_load_dwordx2 s[0:1], s[4:5], 0x8
	s_load_dwordx2 s[10:11], s[4:5], 0x68
	s_add_u32 s7, s4, 8
	s_addc_u32 s8, s5, 0
	s_add_u32 s9, s4, 0x50
	s_addc_u32 s12, s5, 0
	s_waitcnt lgkmcnt(0)
	s_bitcmp1_b32 s11, 0
	s_cselect_b32 s1, s8, s1
	s_cselect_b32 s0, s7, s0
	v_mov_b32_e32 v1, s0
	v_mov_b32_e32 v2, s1
	flat_load_dwordx4 v[5:8], v[1:2]
	s_load_dwordx2 s[2:3], s[4:5], 0x50
	s_waitcnt lgkmcnt(0)
	s_cselect_b32 s0, s12, s3
	s_cselect_b32 s1, s9, s2
	v_mov_b32_e32 v1, s1
	v_mov_b32_e32 v2, s0
	flat_load_dwordx4 v[1:4], v[1:2]
	s_waitcnt vmcnt(0)
	v_cmp_eq_f64_e32 vcc, 0, v[5:6]
	v_cmp_eq_f64_e64 s[0:1], 0, v[7:8]
	s_and_b64 s[8:9], vcc, s[0:1]
	s_mov_b64 s[0:1], -1
	s_and_saveexec_b64 s[2:3], s[8:9]
	s_cbranch_execz .LBB50_2
; %bb.1:
	s_waitcnt lgkmcnt(0)
	v_cmp_neq_f64_e32 vcc, 1.0, v[1:2]
	v_cmp_neq_f64_e64 s[0:1], 0, v[3:4]
	s_or_b64 s[0:1], vcc, s[0:1]
	s_orn2_b64 s[0:1], s[0:1], exec
.LBB50_2:
	s_or_b64 exec, exec, s[2:3]
	s_and_saveexec_b64 s[2:3], s[0:1]
	s_cbranch_execz .LBB50_39
; %bb.3:
	s_load_dwordx4 s[0:3], s[4:5], 0x20
	s_load_dwordx2 s[14:15], s[4:5], 0x30
	s_waitcnt lgkmcnt(0)
	s_cmp_eq_u64 s[0:1], 0
	s_cbranch_scc1 .LBB50_5
; %bb.4:
	s_ashr_i32 s7, s6, 31
	s_lshl_b64 s[6:7], s[6:7], 2
	s_add_u32 s0, s0, s6
	s_addc_u32 s1, s1, s7
	s_load_dword s0, s[0:1], 0x0
	s_waitcnt lgkmcnt(0)
	s_sub_i32 s6, s0, s10
.LBB50_5:
	s_load_dword s0, s[4:5], 0x4
	s_load_dwordx2 s[8:9], s[4:5], 0x60
	v_mul_u32_u24_e32 v13, 0xd7a, v0
	v_mov_b32_e32 v14, 19
	v_mul_lo_u16_sdwa v9, v13, v14 dst_sel:DWORD dst_unused:UNUSED_PAD src0_sel:WORD_1 src1_sel:DWORD
	s_waitcnt lgkmcnt(0)
	s_cmp_eq_u32 s0, 1
	s_cselect_b64 vcc, -1, 0
	s_cmp_lg_u32 s0, 1
	s_cselect_b64 s[12:13], -1, 0
	s_ashr_i32 s7, s6, 31
	s_lshl_b64 s[0:1], s[6:7], 2
	s_add_u32 s2, s2, s0
	s_addc_u32 s3, s3, s1
	s_load_dword s7, s[2:3], 0x0
	s_add_u32 s2, s2, 4
	s_addc_u32 s3, s3, 0
	s_add_u32 s0, s14, s0
	s_addc_u32 s1, s15, s1
	s_cmp_eq_u64 s[14:15], 0
	s_cselect_b32 s1, s3, s1
	s_cselect_b32 s0, s2, s0
	s_load_dword s11, s[0:1], 0x0
	v_sub_u16_e32 v19, v0, v9
	v_mov_b32_e32 v11, 0
	v_mov_b32_e32 v9, 0
	;; [unrolled: 1-line block ×3, first 2 shown]
	s_waitcnt lgkmcnt(0)
	s_cmp_ge_i32 s7, s11
	v_mov_b32_e32 v10, 0
	v_lshlrev_b32_e32 v18, 4, v0
	s_cbranch_scc1 .LBB50_10
; %bb.6:
	s_load_dwordx2 s[14:15], s[4:5], 0x48
	s_load_dwordx4 s[0:3], s[4:5], 0x38
	v_mov_b32_e32 v9, 14
	v_mul_lo_u16_sdwa v9, v13, v9 dst_sel:DWORD dst_unused:UNUSED_PAD src0_sel:WORD_1 src1_sel:DWORD
	s_sub_i32 s5, s7, s10
	s_sub_i32 s4, s11, s10
	v_mul_lo_u16_sdwa v9, v9, v14 dst_sel:DWORD dst_unused:UNUSED_PAD src0_sel:BYTE_1 src1_sel:DWORD
	s_mul_i32 s11, s5, 0x1690
	v_sub_u16_sdwa v9, v13, v9 dst_sel:DWORD dst_unused:UNUSED_PAD src0_sel:WORD_1 src1_sel:DWORD
	s_mul_hi_i32 s7, s5, 0x1690
	s_waitcnt lgkmcnt(0)
	s_add_u32 s2, s2, s11
	v_and_b32_e32 v9, 0xff, v9
	s_addc_u32 s3, s3, s7
	v_cndmask_b32_e32 v13, v19, v9, vcc
	v_mov_b32_e32 v9, s3
	v_add_co_u32_e32 v14, vcc, s2, v18
	v_mov_b32_e32 v11, 0
	v_addc_co_u32_e32 v15, vcc, 0, v9, vcc
	s_movk_i32 s2, 0xb6
	v_mov_b32_e32 v12, 0
	v_mov_b32_e32 v9, v11
	v_mul_u32_u24_sdwa v20, v0, s2 dst_sel:DWORD dst_unused:UNUSED_PAD src0_sel:WORD_0 src1_sel:DWORD
	v_mov_b32_e32 v10, v12
	s_branch .LBB50_8
.LBB50_7:                               ;   in Loop: Header=BB50_8 Depth=1
	s_or_b64 exec, exec, s[2:3]
	s_add_i32 s5, s5, 1
	s_cmp_lt_i32 s5, s4
	s_cbranch_scc0 .LBB50_10
.LBB50_8:                               ; =>This Inner Loop Header: Depth=1
	v_add_u32_sdwa v16, v20, s5 dst_sel:DWORD dst_unused:UNUSED_PAD src0_sel:WORD_1 src1_sel:DWORD
	v_cmp_gt_i32_e32 vcc, s4, v16
	s_and_saveexec_b64 s[2:3], vcc
	s_cbranch_execz .LBB50_7
; %bb.9:                                ;   in Loop: Header=BB50_8 Depth=1
	v_ashrrev_i32_e32 v17, 31, v16
	v_lshlrev_b64 v[16:17], 2, v[16:17]
	v_mov_b32_e32 v21, s1
	v_add_co_u32_e32 v16, vcc, s0, v16
	v_addc_co_u32_e32 v17, vcc, v21, v17, vcc
	global_load_dword v16, v[16:17], off
	v_mov_b32_e32 v25, s15
	global_load_dwordx4 v[21:24], v[14:15], off
	s_waitcnt vmcnt(1)
	v_subrev_u32_e32 v16, s10, v16
	v_mad_u64_u32 v[16:17], s[16:17], v16, 19, v[13:14]
	v_ashrrev_i32_e32 v17, 31, v16
	v_lshlrev_b64 v[16:17], 4, v[16:17]
	v_add_co_u32_e32 v16, vcc, s14, v16
	v_addc_co_u32_e32 v17, vcc, v25, v17, vcc
	global_load_dwordx4 v[25:28], v[16:17], off
	v_add_co_u32_e32 v14, vcc, 0x1690, v14
	v_addc_co_u32_e32 v15, vcc, 0, v15, vcc
	s_waitcnt vmcnt(0)
	v_fma_f64 v[9:10], v[21:22], v[25:26], v[9:10]
	v_fma_f64 v[11:12], v[23:24], v[25:26], v[11:12]
	v_fma_f64 v[9:10], -v[23:24], v[27:28], v[9:10]
	v_fma_f64 v[11:12], v[21:22], v[27:28], v[11:12]
	s_branch .LBB50_7
.LBB50_10:
	s_and_b64 vcc, exec, s[12:13]
	ds_write_b128 v18, v[9:12]
	s_waitcnt lgkmcnt(0)
	s_barrier
	s_cbranch_vccz .LBB50_22
; %bb.11:
	v_cmp_gt_u16_e32 vcc, 3, v19
	s_and_saveexec_b64 s[0:1], vcc
	s_cbranch_execz .LBB50_13
; %bb.12:
	ds_read_b128 v[13:16], v18 offset:256
	ds_read_b128 v[20:23], v18
	s_waitcnt lgkmcnt(0)
	v_add_f64 v[13:14], v[13:14], v[20:21]
	v_add_f64 v[15:16], v[15:16], v[22:23]
	ds_write_b128 v18, v[13:16]
.LBB50_13:
	s_or_b64 exec, exec, s[0:1]
	v_cmp_gt_u16_e32 vcc, 8, v19
	s_waitcnt lgkmcnt(0)
	s_barrier
	s_and_saveexec_b64 s[0:1], vcc
	s_cbranch_execz .LBB50_15
; %bb.14:
	ds_read_b128 v[13:16], v18 offset:128
	ds_read_b128 v[20:23], v18
	s_waitcnt lgkmcnt(0)
	v_add_f64 v[13:14], v[13:14], v[20:21]
	v_add_f64 v[15:16], v[15:16], v[22:23]
	ds_write_b128 v18, v[13:16]
.LBB50_15:
	s_or_b64 exec, exec, s[0:1]
	v_cmp_gt_u16_e32 vcc, 4, v19
	s_waitcnt lgkmcnt(0)
	s_barrier
	;; [unrolled: 14-line block ×3, first 2 shown]
	s_and_saveexec_b64 s[0:1], vcc
	s_cbranch_execz .LBB50_19
; %bb.18:
	ds_read_b128 v[13:16], v18
	ds_read_b128 v[19:22], v18 offset:32
	s_waitcnt lgkmcnt(0)
	v_add_f64 v[13:14], v[19:20], v[13:14]
	v_add_f64 v[15:16], v[21:22], v[15:16]
	ds_write_b128 v18, v[13:16]
.LBB50_19:
	s_or_b64 exec, exec, s[0:1]
	v_mov_b32_e32 v16, v12
	v_mov_b32_e32 v14, v10
	v_cmp_gt_u32_e32 vcc, 19, v0
	v_mov_b32_e32 v15, v11
	v_mov_b32_e32 v13, v9
	s_waitcnt lgkmcnt(0)
	s_barrier
	s_and_saveexec_b64 s[0:1], vcc
	s_cbranch_execz .LBB50_21
; %bb.20:
	s_movk_i32 s2, 0x120
	v_mad_u32_u24 v17, v0, s2, v18
	ds_read_b128 v[13:16], v17
	ds_read_b128 v[19:22], v17 offset:16
	s_waitcnt lgkmcnt(0)
	v_add_f64 v[13:14], v[19:20], v[13:14]
	v_add_f64 v[15:16], v[21:22], v[15:16]
.LBB50_21:
	s_or_b64 exec, exec, s[0:1]
	s_branch .LBB50_34
.LBB50_22:
                                        ; implicit-def: $vgpr15_vgpr16
                                        ; implicit-def: $vgpr13_vgpr14
	s_cbranch_execz .LBB50_34
; %bb.23:
	v_cmp_gt_u32_e32 vcc, 57, v0
	s_and_saveexec_b64 s[0:1], vcc
	s_cbranch_execz .LBB50_25
; %bb.24:
	ds_read_b128 v[13:16], v18 offset:4864
	ds_read_b128 v[19:22], v18
	s_waitcnt lgkmcnt(0)
	v_add_f64 v[13:14], v[13:14], v[19:20]
	v_add_f64 v[15:16], v[15:16], v[21:22]
	ds_write_b128 v18, v[13:16]
.LBB50_25:
	s_or_b64 exec, exec, s[0:1]
	s_movk_i32 s0, 0x98
	v_cmp_gt_u32_e32 vcc, s0, v0
	s_waitcnt lgkmcnt(0)
	s_barrier
	s_and_saveexec_b64 s[0:1], vcc
	s_cbranch_execz .LBB50_27
; %bb.26:
	ds_read_b128 v[13:16], v18 offset:2432
	ds_read_b128 v[19:22], v18
	s_waitcnt lgkmcnt(0)
	v_add_f64 v[13:14], v[13:14], v[19:20]
	v_add_f64 v[15:16], v[15:16], v[21:22]
	ds_write_b128 v18, v[13:16]
.LBB50_27:
	s_or_b64 exec, exec, s[0:1]
	s_movk_i32 s0, 0x4c
	v_cmp_gt_u32_e32 vcc, s0, v0
	s_waitcnt lgkmcnt(0)
	s_barrier
	s_and_saveexec_b64 s[0:1], vcc
	s_cbranch_execz .LBB50_29
; %bb.28:
	ds_read_b128 v[13:16], v18 offset:1216
	ds_read_b128 v[19:22], v18
	s_waitcnt lgkmcnt(0)
	v_add_f64 v[13:14], v[13:14], v[19:20]
	v_add_f64 v[15:16], v[15:16], v[21:22]
	ds_write_b128 v18, v[13:16]
.LBB50_29:
	s_or_b64 exec, exec, s[0:1]
	v_cmp_gt_u32_e32 vcc, 38, v0
	s_waitcnt lgkmcnt(0)
	s_barrier
	s_and_saveexec_b64 s[0:1], vcc
	s_cbranch_execz .LBB50_31
; %bb.30:
	ds_read_b128 v[13:16], v18 offset:608
	ds_read_b128 v[19:22], v18
	s_waitcnt lgkmcnt(0)
	v_add_f64 v[13:14], v[13:14], v[19:20]
	v_add_f64 v[15:16], v[15:16], v[21:22]
	ds_write_b128 v18, v[13:16]
.LBB50_31:
	s_or_b64 exec, exec, s[0:1]
	v_cmp_gt_u32_e32 vcc, 19, v0
	s_waitcnt lgkmcnt(0)
	s_and_saveexec_b64 s[0:1], vcc
	s_cbranch_execz .LBB50_33
; %bb.32:
	ds_read_b128 v[9:12], v18 offset:304
	ds_read_b128 v[13:16], v18
	s_waitcnt lgkmcnt(0)
	v_add_f64 v[9:10], v[9:10], v[13:14]
	v_add_f64 v[11:12], v[11:12], v[15:16]
.LBB50_33:
	s_or_b64 exec, exec, s[0:1]
	v_mov_b32_e32 v16, v12
	v_mov_b32_e32 v14, v10
	;; [unrolled: 1-line block ×4, first 2 shown]
.LBB50_34:
	v_cmp_gt_u32_e32 vcc, 19, v0
	s_and_b64 exec, exec, vcc
	s_cbranch_execz .LBB50_39
; %bb.35:
	v_mul_f64 v[9:10], v[15:16], -v[7:8]
	v_mul_f64 v[11:12], v[5:6], v[15:16]
	v_cmp_eq_f64_e32 vcc, 0, v[1:2]
	v_cmp_eq_f64_e64 s[0:1], 0, v[3:4]
	v_fma_f64 v[5:6], v[5:6], v[13:14], v[9:10]
	v_fma_f64 v[7:8], v[7:8], v[13:14], v[11:12]
	s_and_b64 s[0:1], vcc, s[0:1]
	s_and_saveexec_b64 s[2:3], s[0:1]
	s_xor_b64 s[0:1], exec, s[2:3]
	s_cbranch_execz .LBB50_37
; %bb.36:
	v_mad_u64_u32 v[0:1], s[2:3], s6, 19, v[0:1]
	v_mov_b32_e32 v1, 0
	v_mov_b32_e32 v2, s9
	v_lshlrev_b64 v[0:1], 4, v[0:1]
	v_add_co_u32_e32 v0, vcc, s8, v0
	v_addc_co_u32_e32 v1, vcc, v2, v1, vcc
	global_store_dwordx4 v[0:1], v[5:8], off
                                        ; implicit-def: $vgpr0
                                        ; implicit-def: $vgpr1_vgpr2
                                        ; implicit-def: $vgpr5_vgpr6
.LBB50_37:
	s_andn2_saveexec_b64 s[0:1], s[0:1]
	s_cbranch_execz .LBB50_39
; %bb.38:
	v_mad_u64_u32 v[9:10], s[0:1], s6, 19, v[0:1]
	v_mov_b32_e32 v10, 0
	v_mov_b32_e32 v0, s9
	v_lshlrev_b64 v[9:10], 4, v[9:10]
	v_add_co_u32_e32 v13, vcc, s8, v9
	v_addc_co_u32_e32 v14, vcc, v0, v10, vcc
	global_load_dwordx4 v[9:12], v[13:14], off
	s_waitcnt vmcnt(0)
	v_fma_f64 v[5:6], v[1:2], v[9:10], v[5:6]
	v_fma_f64 v[7:8], v[3:4], v[9:10], v[7:8]
	v_fma_f64 v[3:4], -v[3:4], v[11:12], v[5:6]
	v_fma_f64 v[5:6], v[1:2], v[11:12], v[7:8]
	global_store_dwordx4 v[13:14], v[3:6], off
.LBB50_39:
	s_endpgm
	.section	.rodata,"a",@progbits
	.p2align	6, 0x0
	.amdhsa_kernel _ZN9rocsparseL20bsrxmvn_17_32_kernelILj19E21rocsparse_complex_numIdEiiS2_S2_S2_EEvT2_20rocsparse_direction_NS_24const_host_device_scalarIT0_EES3_PKS3_PKT1_SC_S9_PKT3_PKT4_S7_PT5_21rocsparse_index_base_b
		.amdhsa_group_segment_fixed_size 5776
		.amdhsa_private_segment_fixed_size 0
		.amdhsa_kernarg_size 112
		.amdhsa_user_sgpr_count 6
		.amdhsa_user_sgpr_private_segment_buffer 1
		.amdhsa_user_sgpr_dispatch_ptr 0
		.amdhsa_user_sgpr_queue_ptr 0
		.amdhsa_user_sgpr_kernarg_segment_ptr 1
		.amdhsa_user_sgpr_dispatch_id 0
		.amdhsa_user_sgpr_flat_scratch_init 0
		.amdhsa_user_sgpr_private_segment_size 0
		.amdhsa_uses_dynamic_stack 0
		.amdhsa_system_sgpr_private_segment_wavefront_offset 0
		.amdhsa_system_sgpr_workgroup_id_x 1
		.amdhsa_system_sgpr_workgroup_id_y 0
		.amdhsa_system_sgpr_workgroup_id_z 0
		.amdhsa_system_sgpr_workgroup_info 0
		.amdhsa_system_vgpr_workitem_id 0
		.amdhsa_next_free_vgpr 29
		.amdhsa_next_free_sgpr 61
		.amdhsa_reserve_vcc 1
		.amdhsa_reserve_flat_scratch 0
		.amdhsa_float_round_mode_32 0
		.amdhsa_float_round_mode_16_64 0
		.amdhsa_float_denorm_mode_32 3
		.amdhsa_float_denorm_mode_16_64 3
		.amdhsa_dx10_clamp 1
		.amdhsa_ieee_mode 1
		.amdhsa_fp16_overflow 0
		.amdhsa_exception_fp_ieee_invalid_op 0
		.amdhsa_exception_fp_denorm_src 0
		.amdhsa_exception_fp_ieee_div_zero 0
		.amdhsa_exception_fp_ieee_overflow 0
		.amdhsa_exception_fp_ieee_underflow 0
		.amdhsa_exception_fp_ieee_inexact 0
		.amdhsa_exception_int_div_zero 0
	.end_amdhsa_kernel
	.section	.text._ZN9rocsparseL20bsrxmvn_17_32_kernelILj19E21rocsparse_complex_numIdEiiS2_S2_S2_EEvT2_20rocsparse_direction_NS_24const_host_device_scalarIT0_EES3_PKS3_PKT1_SC_S9_PKT3_PKT4_S7_PT5_21rocsparse_index_base_b,"axG",@progbits,_ZN9rocsparseL20bsrxmvn_17_32_kernelILj19E21rocsparse_complex_numIdEiiS2_S2_S2_EEvT2_20rocsparse_direction_NS_24const_host_device_scalarIT0_EES3_PKS3_PKT1_SC_S9_PKT3_PKT4_S7_PT5_21rocsparse_index_base_b,comdat
.Lfunc_end50:
	.size	_ZN9rocsparseL20bsrxmvn_17_32_kernelILj19E21rocsparse_complex_numIdEiiS2_S2_S2_EEvT2_20rocsparse_direction_NS_24const_host_device_scalarIT0_EES3_PKS3_PKT1_SC_S9_PKT3_PKT4_S7_PT5_21rocsparse_index_base_b, .Lfunc_end50-_ZN9rocsparseL20bsrxmvn_17_32_kernelILj19E21rocsparse_complex_numIdEiiS2_S2_S2_EEvT2_20rocsparse_direction_NS_24const_host_device_scalarIT0_EES3_PKS3_PKT1_SC_S9_PKT3_PKT4_S7_PT5_21rocsparse_index_base_b
                                        ; -- End function
	.set _ZN9rocsparseL20bsrxmvn_17_32_kernelILj19E21rocsparse_complex_numIdEiiS2_S2_S2_EEvT2_20rocsparse_direction_NS_24const_host_device_scalarIT0_EES3_PKS3_PKT1_SC_S9_PKT3_PKT4_S7_PT5_21rocsparse_index_base_b.num_vgpr, 29
	.set _ZN9rocsparseL20bsrxmvn_17_32_kernelILj19E21rocsparse_complex_numIdEiiS2_S2_S2_EEvT2_20rocsparse_direction_NS_24const_host_device_scalarIT0_EES3_PKS3_PKT1_SC_S9_PKT3_PKT4_S7_PT5_21rocsparse_index_base_b.num_agpr, 0
	.set _ZN9rocsparseL20bsrxmvn_17_32_kernelILj19E21rocsparse_complex_numIdEiiS2_S2_S2_EEvT2_20rocsparse_direction_NS_24const_host_device_scalarIT0_EES3_PKS3_PKT1_SC_S9_PKT3_PKT4_S7_PT5_21rocsparse_index_base_b.numbered_sgpr, 18
	.set _ZN9rocsparseL20bsrxmvn_17_32_kernelILj19E21rocsparse_complex_numIdEiiS2_S2_S2_EEvT2_20rocsparse_direction_NS_24const_host_device_scalarIT0_EES3_PKS3_PKT1_SC_S9_PKT3_PKT4_S7_PT5_21rocsparse_index_base_b.num_named_barrier, 0
	.set _ZN9rocsparseL20bsrxmvn_17_32_kernelILj19E21rocsparse_complex_numIdEiiS2_S2_S2_EEvT2_20rocsparse_direction_NS_24const_host_device_scalarIT0_EES3_PKS3_PKT1_SC_S9_PKT3_PKT4_S7_PT5_21rocsparse_index_base_b.private_seg_size, 0
	.set _ZN9rocsparseL20bsrxmvn_17_32_kernelILj19E21rocsparse_complex_numIdEiiS2_S2_S2_EEvT2_20rocsparse_direction_NS_24const_host_device_scalarIT0_EES3_PKS3_PKT1_SC_S9_PKT3_PKT4_S7_PT5_21rocsparse_index_base_b.uses_vcc, 1
	.set _ZN9rocsparseL20bsrxmvn_17_32_kernelILj19E21rocsparse_complex_numIdEiiS2_S2_S2_EEvT2_20rocsparse_direction_NS_24const_host_device_scalarIT0_EES3_PKS3_PKT1_SC_S9_PKT3_PKT4_S7_PT5_21rocsparse_index_base_b.uses_flat_scratch, 0
	.set _ZN9rocsparseL20bsrxmvn_17_32_kernelILj19E21rocsparse_complex_numIdEiiS2_S2_S2_EEvT2_20rocsparse_direction_NS_24const_host_device_scalarIT0_EES3_PKS3_PKT1_SC_S9_PKT3_PKT4_S7_PT5_21rocsparse_index_base_b.has_dyn_sized_stack, 0
	.set _ZN9rocsparseL20bsrxmvn_17_32_kernelILj19E21rocsparse_complex_numIdEiiS2_S2_S2_EEvT2_20rocsparse_direction_NS_24const_host_device_scalarIT0_EES3_PKS3_PKT1_SC_S9_PKT3_PKT4_S7_PT5_21rocsparse_index_base_b.has_recursion, 0
	.set _ZN9rocsparseL20bsrxmvn_17_32_kernelILj19E21rocsparse_complex_numIdEiiS2_S2_S2_EEvT2_20rocsparse_direction_NS_24const_host_device_scalarIT0_EES3_PKS3_PKT1_SC_S9_PKT3_PKT4_S7_PT5_21rocsparse_index_base_b.has_indirect_call, 0
	.section	.AMDGPU.csdata,"",@progbits
; Kernel info:
; codeLenInByte = 1632
; TotalNumSgprs: 22
; NumVgprs: 29
; ScratchSize: 0
; MemoryBound: 0
; FloatMode: 240
; IeeeMode: 1
; LDSByteSize: 5776 bytes/workgroup (compile time only)
; SGPRBlocks: 8
; VGPRBlocks: 7
; NumSGPRsForWavesPerEU: 65
; NumVGPRsForWavesPerEU: 29
; Occupancy: 8
; WaveLimiterHint : 1
; COMPUTE_PGM_RSRC2:SCRATCH_EN: 0
; COMPUTE_PGM_RSRC2:USER_SGPR: 6
; COMPUTE_PGM_RSRC2:TRAP_HANDLER: 0
; COMPUTE_PGM_RSRC2:TGID_X_EN: 1
; COMPUTE_PGM_RSRC2:TGID_Y_EN: 0
; COMPUTE_PGM_RSRC2:TGID_Z_EN: 0
; COMPUTE_PGM_RSRC2:TIDIG_COMP_CNT: 0
	.section	.text._ZN9rocsparseL20bsrxmvn_17_32_kernelILj20E21rocsparse_complex_numIdEiiS2_S2_S2_EEvT2_20rocsparse_direction_NS_24const_host_device_scalarIT0_EES3_PKS3_PKT1_SC_S9_PKT3_PKT4_S7_PT5_21rocsparse_index_base_b,"axG",@progbits,_ZN9rocsparseL20bsrxmvn_17_32_kernelILj20E21rocsparse_complex_numIdEiiS2_S2_S2_EEvT2_20rocsparse_direction_NS_24const_host_device_scalarIT0_EES3_PKS3_PKT1_SC_S9_PKT3_PKT4_S7_PT5_21rocsparse_index_base_b,comdat
	.globl	_ZN9rocsparseL20bsrxmvn_17_32_kernelILj20E21rocsparse_complex_numIdEiiS2_S2_S2_EEvT2_20rocsparse_direction_NS_24const_host_device_scalarIT0_EES3_PKS3_PKT1_SC_S9_PKT3_PKT4_S7_PT5_21rocsparse_index_base_b ; -- Begin function _ZN9rocsparseL20bsrxmvn_17_32_kernelILj20E21rocsparse_complex_numIdEiiS2_S2_S2_EEvT2_20rocsparse_direction_NS_24const_host_device_scalarIT0_EES3_PKS3_PKT1_SC_S9_PKT3_PKT4_S7_PT5_21rocsparse_index_base_b
	.p2align	8
	.type	_ZN9rocsparseL20bsrxmvn_17_32_kernelILj20E21rocsparse_complex_numIdEiiS2_S2_S2_EEvT2_20rocsparse_direction_NS_24const_host_device_scalarIT0_EES3_PKS3_PKT1_SC_S9_PKT3_PKT4_S7_PT5_21rocsparse_index_base_b,@function
_ZN9rocsparseL20bsrxmvn_17_32_kernelILj20E21rocsparse_complex_numIdEiiS2_S2_S2_EEvT2_20rocsparse_direction_NS_24const_host_device_scalarIT0_EES3_PKS3_PKT1_SC_S9_PKT3_PKT4_S7_PT5_21rocsparse_index_base_b: ; @_ZN9rocsparseL20bsrxmvn_17_32_kernelILj20E21rocsparse_complex_numIdEiiS2_S2_S2_EEvT2_20rocsparse_direction_NS_24const_host_device_scalarIT0_EES3_PKS3_PKT1_SC_S9_PKT3_PKT4_S7_PT5_21rocsparse_index_base_b
; %bb.0:
	s_load_dwordx2 s[0:1], s[4:5], 0x8
	s_load_dwordx2 s[10:11], s[4:5], 0x68
	s_add_u32 s7, s4, 8
	s_addc_u32 s8, s5, 0
	s_add_u32 s9, s4, 0x50
	s_addc_u32 s12, s5, 0
	s_waitcnt lgkmcnt(0)
	s_bitcmp1_b32 s11, 0
	s_cselect_b32 s1, s8, s1
	s_cselect_b32 s0, s7, s0
	v_mov_b32_e32 v1, s0
	v_mov_b32_e32 v2, s1
	flat_load_dwordx4 v[5:8], v[1:2]
	s_load_dwordx2 s[2:3], s[4:5], 0x50
	s_waitcnt lgkmcnt(0)
	s_cselect_b32 s0, s12, s3
	s_cselect_b32 s1, s9, s2
	v_mov_b32_e32 v1, s1
	v_mov_b32_e32 v2, s0
	flat_load_dwordx4 v[1:4], v[1:2]
	s_waitcnt vmcnt(0)
	v_cmp_eq_f64_e32 vcc, 0, v[5:6]
	v_cmp_eq_f64_e64 s[0:1], 0, v[7:8]
	s_and_b64 s[8:9], vcc, s[0:1]
	s_mov_b64 s[0:1], -1
	s_and_saveexec_b64 s[2:3], s[8:9]
	s_cbranch_execz .LBB51_2
; %bb.1:
	s_waitcnt lgkmcnt(0)
	v_cmp_neq_f64_e32 vcc, 1.0, v[1:2]
	v_cmp_neq_f64_e64 s[0:1], 0, v[3:4]
	s_or_b64 s[0:1], vcc, s[0:1]
	s_orn2_b64 s[0:1], s[0:1], exec
.LBB51_2:
	s_or_b64 exec, exec, s[2:3]
	s_and_saveexec_b64 s[2:3], s[0:1]
	s_cbranch_execz .LBB51_39
; %bb.3:
	s_load_dwordx4 s[0:3], s[4:5], 0x20
	s_load_dwordx2 s[14:15], s[4:5], 0x30
	s_waitcnt lgkmcnt(0)
	s_cmp_eq_u64 s[0:1], 0
	s_cbranch_scc1 .LBB51_5
; %bb.4:
	s_ashr_i32 s7, s6, 31
	s_lshl_b64 s[6:7], s[6:7], 2
	s_add_u32 s0, s0, s6
	s_addc_u32 s1, s1, s7
	s_load_dword s0, s[0:1], 0x0
	s_waitcnt lgkmcnt(0)
	s_sub_i32 s6, s0, s10
.LBB51_5:
	s_load_dword s0, s[4:5], 0x4
	s_load_dwordx2 s[8:9], s[4:5], 0x60
	v_mul_u32_u24_e32 v13, 0xccd, v0
	v_mov_b32_e32 v14, 20
	v_mul_lo_u16_sdwa v9, v13, v14 dst_sel:DWORD dst_unused:UNUSED_PAD src0_sel:WORD_1 src1_sel:DWORD
	s_waitcnt lgkmcnt(0)
	s_cmp_eq_u32 s0, 1
	s_cselect_b64 vcc, -1, 0
	s_cmp_lg_u32 s0, 1
	s_cselect_b64 s[12:13], -1, 0
	s_ashr_i32 s7, s6, 31
	s_lshl_b64 s[0:1], s[6:7], 2
	s_add_u32 s2, s2, s0
	s_addc_u32 s3, s3, s1
	s_load_dword s7, s[2:3], 0x0
	s_add_u32 s2, s2, 4
	s_addc_u32 s3, s3, 0
	s_add_u32 s0, s14, s0
	s_addc_u32 s1, s15, s1
	s_cmp_eq_u64 s[14:15], 0
	s_cselect_b32 s1, s3, s1
	s_cselect_b32 s0, s2, s0
	s_load_dword s11, s[0:1], 0x0
	v_sub_u16_e32 v19, v0, v9
	v_mov_b32_e32 v11, 0
	v_mov_b32_e32 v9, 0
	;; [unrolled: 1-line block ×3, first 2 shown]
	s_waitcnt lgkmcnt(0)
	s_cmp_ge_i32 s7, s11
	v_mov_b32_e32 v10, 0
	v_lshlrev_b32_e32 v18, 4, v0
	s_cbranch_scc1 .LBB51_10
; %bb.6:
	s_load_dwordx2 s[14:15], s[4:5], 0x48
	s_load_dwordx4 s[0:3], s[4:5], 0x38
	v_mov_b32_e32 v9, 13
	v_mul_lo_u16_sdwa v9, v13, v9 dst_sel:DWORD dst_unused:UNUSED_PAD src0_sel:WORD_1 src1_sel:DWORD
	s_sub_i32 s5, s7, s10
	s_sub_i32 s4, s11, s10
	v_mul_lo_u16_sdwa v9, v9, v14 dst_sel:DWORD dst_unused:UNUSED_PAD src0_sel:BYTE_1 src1_sel:DWORD
	s_mul_i32 s11, s5, 0x1900
	v_sub_u16_sdwa v9, v13, v9 dst_sel:DWORD dst_unused:UNUSED_PAD src0_sel:WORD_1 src1_sel:DWORD
	s_mul_hi_i32 s7, s5, 0x1900
	s_waitcnt lgkmcnt(0)
	s_add_u32 s2, s2, s11
	v_and_b32_e32 v9, 0xff, v9
	s_addc_u32 s3, s3, s7
	v_cndmask_b32_e32 v13, v19, v9, vcc
	v_mov_b32_e32 v9, s3
	v_add_co_u32_e32 v14, vcc, s2, v18
	v_mov_b32_e32 v11, 0
	v_addc_co_u32_e32 v15, vcc, 0, v9, vcc
	s_movk_i32 s2, 0xa4
	v_mov_b32_e32 v12, 0
	v_mov_b32_e32 v9, v11
	v_mul_u32_u24_sdwa v20, v0, s2 dst_sel:DWORD dst_unused:UNUSED_PAD src0_sel:WORD_0 src1_sel:DWORD
	v_mov_b32_e32 v10, v12
	s_branch .LBB51_8
.LBB51_7:                               ;   in Loop: Header=BB51_8 Depth=1
	s_or_b64 exec, exec, s[2:3]
	s_add_i32 s5, s5, 1
	s_cmp_lt_i32 s5, s4
	s_cbranch_scc0 .LBB51_10
.LBB51_8:                               ; =>This Inner Loop Header: Depth=1
	v_add_u32_sdwa v16, v20, s5 dst_sel:DWORD dst_unused:UNUSED_PAD src0_sel:WORD_1 src1_sel:DWORD
	v_cmp_gt_i32_e32 vcc, s4, v16
	s_and_saveexec_b64 s[2:3], vcc
	s_cbranch_execz .LBB51_7
; %bb.9:                                ;   in Loop: Header=BB51_8 Depth=1
	v_ashrrev_i32_e32 v17, 31, v16
	v_lshlrev_b64 v[16:17], 2, v[16:17]
	v_mov_b32_e32 v21, s1
	v_add_co_u32_e32 v16, vcc, s0, v16
	v_addc_co_u32_e32 v17, vcc, v21, v17, vcc
	global_load_dword v16, v[16:17], off
	v_mov_b32_e32 v25, s15
	global_load_dwordx4 v[21:24], v[14:15], off
	s_waitcnt vmcnt(1)
	v_subrev_u32_e32 v16, s10, v16
	v_mad_u64_u32 v[16:17], s[16:17], v16, 20, v[13:14]
	v_ashrrev_i32_e32 v17, 31, v16
	v_lshlrev_b64 v[16:17], 4, v[16:17]
	v_add_co_u32_e32 v16, vcc, s14, v16
	v_addc_co_u32_e32 v17, vcc, v25, v17, vcc
	global_load_dwordx4 v[25:28], v[16:17], off
	v_add_co_u32_e32 v14, vcc, 0x1900, v14
	v_addc_co_u32_e32 v15, vcc, 0, v15, vcc
	s_waitcnt vmcnt(0)
	v_fma_f64 v[9:10], v[21:22], v[25:26], v[9:10]
	v_fma_f64 v[11:12], v[23:24], v[25:26], v[11:12]
	v_fma_f64 v[9:10], -v[23:24], v[27:28], v[9:10]
	v_fma_f64 v[11:12], v[21:22], v[27:28], v[11:12]
	s_branch .LBB51_7
.LBB51_10:
	s_and_b64 vcc, exec, s[12:13]
	ds_write_b128 v18, v[9:12]
	s_waitcnt lgkmcnt(0)
	s_barrier
	s_cbranch_vccz .LBB51_22
; %bb.11:
	v_cmp_gt_u16_e32 vcc, 4, v19
	s_and_saveexec_b64 s[0:1], vcc
	s_cbranch_execz .LBB51_13
; %bb.12:
	ds_read_b128 v[13:16], v18 offset:256
	ds_read_b128 v[20:23], v18
	s_waitcnt lgkmcnt(0)
	v_add_f64 v[13:14], v[13:14], v[20:21]
	v_add_f64 v[15:16], v[15:16], v[22:23]
	ds_write_b128 v18, v[13:16]
.LBB51_13:
	s_or_b64 exec, exec, s[0:1]
	v_cmp_gt_u16_e64 s[0:1], 8, v19
	s_waitcnt lgkmcnt(0)
	s_barrier
	s_and_saveexec_b64 s[2:3], s[0:1]
	s_cbranch_execz .LBB51_15
; %bb.14:
	ds_read_b128 v[13:16], v18 offset:128
	ds_read_b128 v[20:23], v18
	s_waitcnt lgkmcnt(0)
	v_add_f64 v[13:14], v[13:14], v[20:21]
	v_add_f64 v[15:16], v[15:16], v[22:23]
	ds_write_b128 v18, v[13:16]
.LBB51_15:
	s_or_b64 exec, exec, s[2:3]
	s_waitcnt lgkmcnt(0)
	s_barrier
	s_and_saveexec_b64 s[0:1], vcc
	s_cbranch_execz .LBB51_17
; %bb.16:
	ds_read_b128 v[13:16], v18 offset:64
	ds_read_b128 v[20:23], v18
	s_waitcnt lgkmcnt(0)
	v_add_f64 v[13:14], v[13:14], v[20:21]
	v_add_f64 v[15:16], v[15:16], v[22:23]
	ds_write_b128 v18, v[13:16]
.LBB51_17:
	s_or_b64 exec, exec, s[0:1]
	v_cmp_gt_u16_e32 vcc, 2, v19
	s_waitcnt lgkmcnt(0)
	s_barrier
	s_and_saveexec_b64 s[0:1], vcc
	s_cbranch_execz .LBB51_19
; %bb.18:
	ds_read_b128 v[13:16], v18
	ds_read_b128 v[19:22], v18 offset:32
	s_waitcnt lgkmcnt(0)
	v_add_f64 v[13:14], v[19:20], v[13:14]
	v_add_f64 v[15:16], v[21:22], v[15:16]
	ds_write_b128 v18, v[13:16]
.LBB51_19:
	s_or_b64 exec, exec, s[0:1]
	v_mov_b32_e32 v16, v12
	v_mov_b32_e32 v14, v10
	v_cmp_gt_u32_e32 vcc, 20, v0
	v_mov_b32_e32 v15, v11
	v_mov_b32_e32 v13, v9
	s_waitcnt lgkmcnt(0)
	s_barrier
	s_and_saveexec_b64 s[0:1], vcc
	s_cbranch_execz .LBB51_21
; %bb.20:
	s_movk_i32 s2, 0x130
	v_mad_u32_u24 v17, v0, s2, v18
	ds_read_b128 v[13:16], v17
	ds_read_b128 v[19:22], v17 offset:16
	s_waitcnt lgkmcnt(0)
	v_add_f64 v[13:14], v[19:20], v[13:14]
	v_add_f64 v[15:16], v[21:22], v[15:16]
.LBB51_21:
	s_or_b64 exec, exec, s[0:1]
	s_branch .LBB51_34
.LBB51_22:
                                        ; implicit-def: $vgpr15_vgpr16
                                        ; implicit-def: $vgpr13_vgpr14
	s_cbranch_execz .LBB51_34
; %bb.23:
	s_movk_i32 s0, 0x50
	v_cmp_gt_u32_e32 vcc, s0, v0
	s_and_saveexec_b64 s[0:1], vcc
	s_cbranch_execz .LBB51_25
; %bb.24:
	ds_read_b128 v[13:16], v18 offset:5120
	ds_read_b128 v[19:22], v18
	s_waitcnt lgkmcnt(0)
	v_add_f64 v[13:14], v[13:14], v[19:20]
	v_add_f64 v[15:16], v[15:16], v[21:22]
	ds_write_b128 v18, v[13:16]
.LBB51_25:
	s_or_b64 exec, exec, s[0:1]
	s_movk_i32 s0, 0xa0
	v_cmp_gt_u32_e64 s[0:1], s0, v0
	s_waitcnt lgkmcnt(0)
	s_barrier
	s_and_saveexec_b64 s[2:3], s[0:1]
	s_cbranch_execz .LBB51_27
; %bb.26:
	ds_read_b128 v[13:16], v18 offset:2560
	ds_read_b128 v[19:22], v18
	s_waitcnt lgkmcnt(0)
	v_add_f64 v[13:14], v[13:14], v[19:20]
	v_add_f64 v[15:16], v[15:16], v[21:22]
	ds_write_b128 v18, v[13:16]
.LBB51_27:
	s_or_b64 exec, exec, s[2:3]
	s_waitcnt lgkmcnt(0)
	s_barrier
	s_and_saveexec_b64 s[0:1], vcc
	s_cbranch_execz .LBB51_29
; %bb.28:
	ds_read_b128 v[13:16], v18 offset:1280
	ds_read_b128 v[19:22], v18
	s_waitcnt lgkmcnt(0)
	v_add_f64 v[13:14], v[13:14], v[19:20]
	v_add_f64 v[15:16], v[15:16], v[21:22]
	ds_write_b128 v18, v[13:16]
.LBB51_29:
	s_or_b64 exec, exec, s[0:1]
	v_cmp_gt_u32_e32 vcc, 40, v0
	s_waitcnt lgkmcnt(0)
	s_barrier
	s_and_saveexec_b64 s[0:1], vcc
	s_cbranch_execz .LBB51_31
; %bb.30:
	ds_read_b128 v[13:16], v18 offset:640
	ds_read_b128 v[19:22], v18
	s_waitcnt lgkmcnt(0)
	v_add_f64 v[13:14], v[13:14], v[19:20]
	v_add_f64 v[15:16], v[15:16], v[21:22]
	ds_write_b128 v18, v[13:16]
.LBB51_31:
	s_or_b64 exec, exec, s[0:1]
	v_cmp_gt_u32_e32 vcc, 20, v0
	s_waitcnt lgkmcnt(0)
	s_and_saveexec_b64 s[0:1], vcc
	s_cbranch_execz .LBB51_33
; %bb.32:
	ds_read_b128 v[9:12], v18 offset:320
	ds_read_b128 v[13:16], v18
	s_waitcnt lgkmcnt(0)
	v_add_f64 v[9:10], v[9:10], v[13:14]
	v_add_f64 v[11:12], v[11:12], v[15:16]
.LBB51_33:
	s_or_b64 exec, exec, s[0:1]
	v_mov_b32_e32 v16, v12
	v_mov_b32_e32 v14, v10
	;; [unrolled: 1-line block ×4, first 2 shown]
.LBB51_34:
	v_cmp_gt_u32_e32 vcc, 20, v0
	s_and_b64 exec, exec, vcc
	s_cbranch_execz .LBB51_39
; %bb.35:
	v_mul_f64 v[9:10], v[15:16], -v[7:8]
	v_mul_f64 v[11:12], v[5:6], v[15:16]
	v_cmp_eq_f64_e32 vcc, 0, v[1:2]
	v_cmp_eq_f64_e64 s[0:1], 0, v[3:4]
	v_fma_f64 v[5:6], v[5:6], v[13:14], v[9:10]
	v_fma_f64 v[7:8], v[7:8], v[13:14], v[11:12]
	s_and_b64 s[0:1], vcc, s[0:1]
	s_and_saveexec_b64 s[2:3], s[0:1]
	s_xor_b64 s[0:1], exec, s[2:3]
	s_cbranch_execz .LBB51_37
; %bb.36:
	v_mad_u64_u32 v[0:1], s[2:3], s6, 20, v[0:1]
	v_mov_b32_e32 v1, 0
	v_mov_b32_e32 v2, s9
	v_lshlrev_b64 v[0:1], 4, v[0:1]
	v_add_co_u32_e32 v0, vcc, s8, v0
	v_addc_co_u32_e32 v1, vcc, v2, v1, vcc
	global_store_dwordx4 v[0:1], v[5:8], off
                                        ; implicit-def: $vgpr0
                                        ; implicit-def: $vgpr1_vgpr2
                                        ; implicit-def: $vgpr5_vgpr6
.LBB51_37:
	s_andn2_saveexec_b64 s[0:1], s[0:1]
	s_cbranch_execz .LBB51_39
; %bb.38:
	v_mad_u64_u32 v[9:10], s[0:1], s6, 20, v[0:1]
	v_mov_b32_e32 v10, 0
	v_mov_b32_e32 v0, s9
	v_lshlrev_b64 v[9:10], 4, v[9:10]
	v_add_co_u32_e32 v13, vcc, s8, v9
	v_addc_co_u32_e32 v14, vcc, v0, v10, vcc
	global_load_dwordx4 v[9:12], v[13:14], off
	s_waitcnt vmcnt(0)
	v_fma_f64 v[5:6], v[1:2], v[9:10], v[5:6]
	v_fma_f64 v[7:8], v[3:4], v[9:10], v[7:8]
	v_fma_f64 v[3:4], -v[3:4], v[11:12], v[5:6]
	v_fma_f64 v[5:6], v[1:2], v[11:12], v[7:8]
	global_store_dwordx4 v[13:14], v[3:6], off
.LBB51_39:
	s_endpgm
	.section	.rodata,"a",@progbits
	.p2align	6, 0x0
	.amdhsa_kernel _ZN9rocsparseL20bsrxmvn_17_32_kernelILj20E21rocsparse_complex_numIdEiiS2_S2_S2_EEvT2_20rocsparse_direction_NS_24const_host_device_scalarIT0_EES3_PKS3_PKT1_SC_S9_PKT3_PKT4_S7_PT5_21rocsparse_index_base_b
		.amdhsa_group_segment_fixed_size 6400
		.amdhsa_private_segment_fixed_size 0
		.amdhsa_kernarg_size 112
		.amdhsa_user_sgpr_count 6
		.amdhsa_user_sgpr_private_segment_buffer 1
		.amdhsa_user_sgpr_dispatch_ptr 0
		.amdhsa_user_sgpr_queue_ptr 0
		.amdhsa_user_sgpr_kernarg_segment_ptr 1
		.amdhsa_user_sgpr_dispatch_id 0
		.amdhsa_user_sgpr_flat_scratch_init 0
		.amdhsa_user_sgpr_private_segment_size 0
		.amdhsa_uses_dynamic_stack 0
		.amdhsa_system_sgpr_private_segment_wavefront_offset 0
		.amdhsa_system_sgpr_workgroup_id_x 1
		.amdhsa_system_sgpr_workgroup_id_y 0
		.amdhsa_system_sgpr_workgroup_id_z 0
		.amdhsa_system_sgpr_workgroup_info 0
		.amdhsa_system_vgpr_workitem_id 0
		.amdhsa_next_free_vgpr 29
		.amdhsa_next_free_sgpr 61
		.amdhsa_reserve_vcc 1
		.amdhsa_reserve_flat_scratch 0
		.amdhsa_float_round_mode_32 0
		.amdhsa_float_round_mode_16_64 0
		.amdhsa_float_denorm_mode_32 3
		.amdhsa_float_denorm_mode_16_64 3
		.amdhsa_dx10_clamp 1
		.amdhsa_ieee_mode 1
		.amdhsa_fp16_overflow 0
		.amdhsa_exception_fp_ieee_invalid_op 0
		.amdhsa_exception_fp_denorm_src 0
		.amdhsa_exception_fp_ieee_div_zero 0
		.amdhsa_exception_fp_ieee_overflow 0
		.amdhsa_exception_fp_ieee_underflow 0
		.amdhsa_exception_fp_ieee_inexact 0
		.amdhsa_exception_int_div_zero 0
	.end_amdhsa_kernel
	.section	.text._ZN9rocsparseL20bsrxmvn_17_32_kernelILj20E21rocsparse_complex_numIdEiiS2_S2_S2_EEvT2_20rocsparse_direction_NS_24const_host_device_scalarIT0_EES3_PKS3_PKT1_SC_S9_PKT3_PKT4_S7_PT5_21rocsparse_index_base_b,"axG",@progbits,_ZN9rocsparseL20bsrxmvn_17_32_kernelILj20E21rocsparse_complex_numIdEiiS2_S2_S2_EEvT2_20rocsparse_direction_NS_24const_host_device_scalarIT0_EES3_PKS3_PKT1_SC_S9_PKT3_PKT4_S7_PT5_21rocsparse_index_base_b,comdat
.Lfunc_end51:
	.size	_ZN9rocsparseL20bsrxmvn_17_32_kernelILj20E21rocsparse_complex_numIdEiiS2_S2_S2_EEvT2_20rocsparse_direction_NS_24const_host_device_scalarIT0_EES3_PKS3_PKT1_SC_S9_PKT3_PKT4_S7_PT5_21rocsparse_index_base_b, .Lfunc_end51-_ZN9rocsparseL20bsrxmvn_17_32_kernelILj20E21rocsparse_complex_numIdEiiS2_S2_S2_EEvT2_20rocsparse_direction_NS_24const_host_device_scalarIT0_EES3_PKS3_PKT1_SC_S9_PKT3_PKT4_S7_PT5_21rocsparse_index_base_b
                                        ; -- End function
	.set _ZN9rocsparseL20bsrxmvn_17_32_kernelILj20E21rocsparse_complex_numIdEiiS2_S2_S2_EEvT2_20rocsparse_direction_NS_24const_host_device_scalarIT0_EES3_PKS3_PKT1_SC_S9_PKT3_PKT4_S7_PT5_21rocsparse_index_base_b.num_vgpr, 29
	.set _ZN9rocsparseL20bsrxmvn_17_32_kernelILj20E21rocsparse_complex_numIdEiiS2_S2_S2_EEvT2_20rocsparse_direction_NS_24const_host_device_scalarIT0_EES3_PKS3_PKT1_SC_S9_PKT3_PKT4_S7_PT5_21rocsparse_index_base_b.num_agpr, 0
	.set _ZN9rocsparseL20bsrxmvn_17_32_kernelILj20E21rocsparse_complex_numIdEiiS2_S2_S2_EEvT2_20rocsparse_direction_NS_24const_host_device_scalarIT0_EES3_PKS3_PKT1_SC_S9_PKT3_PKT4_S7_PT5_21rocsparse_index_base_b.numbered_sgpr, 18
	.set _ZN9rocsparseL20bsrxmvn_17_32_kernelILj20E21rocsparse_complex_numIdEiiS2_S2_S2_EEvT2_20rocsparse_direction_NS_24const_host_device_scalarIT0_EES3_PKS3_PKT1_SC_S9_PKT3_PKT4_S7_PT5_21rocsparse_index_base_b.num_named_barrier, 0
	.set _ZN9rocsparseL20bsrxmvn_17_32_kernelILj20E21rocsparse_complex_numIdEiiS2_S2_S2_EEvT2_20rocsparse_direction_NS_24const_host_device_scalarIT0_EES3_PKS3_PKT1_SC_S9_PKT3_PKT4_S7_PT5_21rocsparse_index_base_b.private_seg_size, 0
	.set _ZN9rocsparseL20bsrxmvn_17_32_kernelILj20E21rocsparse_complex_numIdEiiS2_S2_S2_EEvT2_20rocsparse_direction_NS_24const_host_device_scalarIT0_EES3_PKS3_PKT1_SC_S9_PKT3_PKT4_S7_PT5_21rocsparse_index_base_b.uses_vcc, 1
	.set _ZN9rocsparseL20bsrxmvn_17_32_kernelILj20E21rocsparse_complex_numIdEiiS2_S2_S2_EEvT2_20rocsparse_direction_NS_24const_host_device_scalarIT0_EES3_PKS3_PKT1_SC_S9_PKT3_PKT4_S7_PT5_21rocsparse_index_base_b.uses_flat_scratch, 0
	.set _ZN9rocsparseL20bsrxmvn_17_32_kernelILj20E21rocsparse_complex_numIdEiiS2_S2_S2_EEvT2_20rocsparse_direction_NS_24const_host_device_scalarIT0_EES3_PKS3_PKT1_SC_S9_PKT3_PKT4_S7_PT5_21rocsparse_index_base_b.has_dyn_sized_stack, 0
	.set _ZN9rocsparseL20bsrxmvn_17_32_kernelILj20E21rocsparse_complex_numIdEiiS2_S2_S2_EEvT2_20rocsparse_direction_NS_24const_host_device_scalarIT0_EES3_PKS3_PKT1_SC_S9_PKT3_PKT4_S7_PT5_21rocsparse_index_base_b.has_recursion, 0
	.set _ZN9rocsparseL20bsrxmvn_17_32_kernelILj20E21rocsparse_complex_numIdEiiS2_S2_S2_EEvT2_20rocsparse_direction_NS_24const_host_device_scalarIT0_EES3_PKS3_PKT1_SC_S9_PKT3_PKT4_S7_PT5_21rocsparse_index_base_b.has_indirect_call, 0
	.section	.AMDGPU.csdata,"",@progbits
; Kernel info:
; codeLenInByte = 1632
; TotalNumSgprs: 22
; NumVgprs: 29
; ScratchSize: 0
; MemoryBound: 0
; FloatMode: 240
; IeeeMode: 1
; LDSByteSize: 6400 bytes/workgroup (compile time only)
; SGPRBlocks: 8
; VGPRBlocks: 7
; NumSGPRsForWavesPerEU: 65
; NumVGPRsForWavesPerEU: 29
; Occupancy: 8
; WaveLimiterHint : 1
; COMPUTE_PGM_RSRC2:SCRATCH_EN: 0
; COMPUTE_PGM_RSRC2:USER_SGPR: 6
; COMPUTE_PGM_RSRC2:TRAP_HANDLER: 0
; COMPUTE_PGM_RSRC2:TGID_X_EN: 1
; COMPUTE_PGM_RSRC2:TGID_Y_EN: 0
; COMPUTE_PGM_RSRC2:TGID_Z_EN: 0
; COMPUTE_PGM_RSRC2:TIDIG_COMP_CNT: 0
	.section	.text._ZN9rocsparseL20bsrxmvn_17_32_kernelILj21E21rocsparse_complex_numIdEiiS2_S2_S2_EEvT2_20rocsparse_direction_NS_24const_host_device_scalarIT0_EES3_PKS3_PKT1_SC_S9_PKT3_PKT4_S7_PT5_21rocsparse_index_base_b,"axG",@progbits,_ZN9rocsparseL20bsrxmvn_17_32_kernelILj21E21rocsparse_complex_numIdEiiS2_S2_S2_EEvT2_20rocsparse_direction_NS_24const_host_device_scalarIT0_EES3_PKS3_PKT1_SC_S9_PKT3_PKT4_S7_PT5_21rocsparse_index_base_b,comdat
	.globl	_ZN9rocsparseL20bsrxmvn_17_32_kernelILj21E21rocsparse_complex_numIdEiiS2_S2_S2_EEvT2_20rocsparse_direction_NS_24const_host_device_scalarIT0_EES3_PKS3_PKT1_SC_S9_PKT3_PKT4_S7_PT5_21rocsparse_index_base_b ; -- Begin function _ZN9rocsparseL20bsrxmvn_17_32_kernelILj21E21rocsparse_complex_numIdEiiS2_S2_S2_EEvT2_20rocsparse_direction_NS_24const_host_device_scalarIT0_EES3_PKS3_PKT1_SC_S9_PKT3_PKT4_S7_PT5_21rocsparse_index_base_b
	.p2align	8
	.type	_ZN9rocsparseL20bsrxmvn_17_32_kernelILj21E21rocsparse_complex_numIdEiiS2_S2_S2_EEvT2_20rocsparse_direction_NS_24const_host_device_scalarIT0_EES3_PKS3_PKT1_SC_S9_PKT3_PKT4_S7_PT5_21rocsparse_index_base_b,@function
_ZN9rocsparseL20bsrxmvn_17_32_kernelILj21E21rocsparse_complex_numIdEiiS2_S2_S2_EEvT2_20rocsparse_direction_NS_24const_host_device_scalarIT0_EES3_PKS3_PKT1_SC_S9_PKT3_PKT4_S7_PT5_21rocsparse_index_base_b: ; @_ZN9rocsparseL20bsrxmvn_17_32_kernelILj21E21rocsparse_complex_numIdEiiS2_S2_S2_EEvT2_20rocsparse_direction_NS_24const_host_device_scalarIT0_EES3_PKS3_PKT1_SC_S9_PKT3_PKT4_S7_PT5_21rocsparse_index_base_b
; %bb.0:
	s_load_dwordx2 s[0:1], s[4:5], 0x8
	s_load_dwordx2 s[10:11], s[4:5], 0x68
	s_add_u32 s7, s4, 8
	s_addc_u32 s8, s5, 0
	s_add_u32 s9, s4, 0x50
	s_addc_u32 s12, s5, 0
	s_waitcnt lgkmcnt(0)
	s_bitcmp1_b32 s11, 0
	s_cselect_b32 s1, s8, s1
	s_cselect_b32 s0, s7, s0
	v_mov_b32_e32 v1, s0
	v_mov_b32_e32 v2, s1
	flat_load_dwordx4 v[5:8], v[1:2]
	s_load_dwordx2 s[2:3], s[4:5], 0x50
	s_waitcnt lgkmcnt(0)
	s_cselect_b32 s0, s12, s3
	s_cselect_b32 s1, s9, s2
	v_mov_b32_e32 v1, s1
	v_mov_b32_e32 v2, s0
	flat_load_dwordx4 v[1:4], v[1:2]
	s_waitcnt vmcnt(0)
	v_cmp_eq_f64_e32 vcc, 0, v[5:6]
	v_cmp_eq_f64_e64 s[0:1], 0, v[7:8]
	s_and_b64 s[8:9], vcc, s[0:1]
	s_mov_b64 s[0:1], -1
	s_and_saveexec_b64 s[2:3], s[8:9]
	s_cbranch_execz .LBB52_2
; %bb.1:
	s_waitcnt lgkmcnt(0)
	v_cmp_neq_f64_e32 vcc, 1.0, v[1:2]
	v_cmp_neq_f64_e64 s[0:1], 0, v[3:4]
	s_or_b64 s[0:1], vcc, s[0:1]
	s_orn2_b64 s[0:1], s[0:1], exec
.LBB52_2:
	s_or_b64 exec, exec, s[2:3]
	s_and_saveexec_b64 s[2:3], s[0:1]
	s_cbranch_execz .LBB52_39
; %bb.3:
	s_load_dwordx4 s[0:3], s[4:5], 0x20
	s_load_dwordx2 s[14:15], s[4:5], 0x30
	s_waitcnt lgkmcnt(0)
	s_cmp_eq_u64 s[0:1], 0
	s_cbranch_scc1 .LBB52_5
; %bb.4:
	s_ashr_i32 s7, s6, 31
	s_lshl_b64 s[6:7], s[6:7], 2
	s_add_u32 s0, s0, s6
	s_addc_u32 s1, s1, s7
	s_load_dword s0, s[0:1], 0x0
	s_waitcnt lgkmcnt(0)
	s_sub_i32 s6, s0, s10
.LBB52_5:
	s_load_dword s0, s[4:5], 0x4
	s_load_dwordx2 s[8:9], s[4:5], 0x60
	v_mul_u32_u24_e32 v13, 0xc31, v0
	v_mov_b32_e32 v9, 21
	v_mul_lo_u16_sdwa v9, v13, v9 dst_sel:DWORD dst_unused:UNUSED_PAD src0_sel:WORD_1 src1_sel:DWORD
	s_waitcnt lgkmcnt(0)
	s_cmp_eq_u32 s0, 1
	s_cselect_b64 vcc, -1, 0
	s_cmp_lg_u32 s0, 1
	s_cselect_b64 s[12:13], -1, 0
	s_ashr_i32 s7, s6, 31
	s_lshl_b64 s[0:1], s[6:7], 2
	s_add_u32 s2, s2, s0
	s_addc_u32 s3, s3, s1
	s_load_dword s7, s[2:3], 0x0
	s_add_u32 s2, s2, 4
	s_addc_u32 s3, s3, 0
	s_add_u32 s0, s14, s0
	s_addc_u32 s1, s15, s1
	s_cmp_eq_u64 s[14:15], 0
	s_cselect_b32 s1, s3, s1
	s_cselect_b32 s0, s2, s0
	s_load_dword s11, s[0:1], 0x0
	v_sub_u16_e32 v19, v0, v9
	v_mov_b32_e32 v11, 0
	v_mov_b32_e32 v9, 0
	;; [unrolled: 1-line block ×3, first 2 shown]
	s_waitcnt lgkmcnt(0)
	s_cmp_ge_i32 s7, s11
	v_mov_b32_e32 v10, 0
	v_lshlrev_b32_e32 v18, 4, v0
	s_cbranch_scc1 .LBB52_10
; %bb.6:
	s_load_dwordx2 s[14:15], s[4:5], 0x48
	s_load_dwordx4 s[0:3], s[4:5], 0x38
	v_mov_b32_e32 v9, 25
	v_mul_lo_u16_sdwa v9, v13, v9 dst_sel:DWORD dst_unused:UNUSED_PAD src0_sel:WORD_1 src1_sel:DWORD
	v_lshrrev_b16_e32 v9, 9, v9
	s_sub_i32 s5, s7, s10
	s_sub_i32 s4, s11, s10
	v_mul_lo_u16_e32 v9, 21, v9
	s_mul_i32 s11, s5, 0x1b90
	v_sub_u16_sdwa v9, v13, v9 dst_sel:DWORD dst_unused:UNUSED_PAD src0_sel:WORD_1 src1_sel:DWORD
	s_mul_hi_i32 s7, s5, 0x1b90
	s_waitcnt lgkmcnt(0)
	s_add_u32 s2, s2, s11
	v_and_b32_e32 v9, 0xff, v9
	s_addc_u32 s3, s3, s7
	v_cndmask_b32_e32 v13, v19, v9, vcc
	v_mov_b32_e32 v9, s3
	v_add_co_u32_e32 v14, vcc, s2, v18
	s_movk_i32 s2, 0x253
	v_addc_co_u32_e32 v15, vcc, 0, v9, vcc
	v_mul_u32_u24_sdwa v9, v0, s2 dst_sel:DWORD dst_unused:UNUSED_PAD src0_sel:WORD_0 src1_sel:DWORD
	v_mov_b32_e32 v11, 0
	v_mov_b32_e32 v12, 0
	v_lshrrev_b32_e32 v20, 18, v9
	v_mov_b32_e32 v9, v11
	v_mov_b32_e32 v10, v12
	s_branch .LBB52_8
.LBB52_7:                               ;   in Loop: Header=BB52_8 Depth=1
	s_or_b64 exec, exec, s[2:3]
	s_add_i32 s5, s5, 1
	s_cmp_lt_i32 s5, s4
	s_cbranch_scc0 .LBB52_10
.LBB52_8:                               ; =>This Inner Loop Header: Depth=1
	v_add_u32_e32 v16, s5, v20
	v_cmp_gt_i32_e32 vcc, s4, v16
	s_and_saveexec_b64 s[2:3], vcc
	s_cbranch_execz .LBB52_7
; %bb.9:                                ;   in Loop: Header=BB52_8 Depth=1
	v_ashrrev_i32_e32 v17, 31, v16
	v_lshlrev_b64 v[16:17], 2, v[16:17]
	v_mov_b32_e32 v21, s1
	v_add_co_u32_e32 v16, vcc, s0, v16
	v_addc_co_u32_e32 v17, vcc, v21, v17, vcc
	global_load_dword v16, v[16:17], off
	v_mov_b32_e32 v25, s15
	global_load_dwordx4 v[21:24], v[14:15], off
	s_waitcnt vmcnt(1)
	v_subrev_u32_e32 v16, s10, v16
	v_mad_u64_u32 v[16:17], s[16:17], v16, 21, v[13:14]
	v_ashrrev_i32_e32 v17, 31, v16
	v_lshlrev_b64 v[16:17], 4, v[16:17]
	v_add_co_u32_e32 v16, vcc, s14, v16
	v_addc_co_u32_e32 v17, vcc, v25, v17, vcc
	global_load_dwordx4 v[25:28], v[16:17], off
	v_add_co_u32_e32 v14, vcc, 0x1b90, v14
	v_addc_co_u32_e32 v15, vcc, 0, v15, vcc
	s_waitcnt vmcnt(0)
	v_fma_f64 v[9:10], v[21:22], v[25:26], v[9:10]
	v_fma_f64 v[11:12], v[23:24], v[25:26], v[11:12]
	v_fma_f64 v[9:10], -v[23:24], v[27:28], v[9:10]
	v_fma_f64 v[11:12], v[21:22], v[27:28], v[11:12]
	s_branch .LBB52_7
.LBB52_10:
	s_and_b64 vcc, exec, s[12:13]
	ds_write_b128 v18, v[9:12]
	s_waitcnt lgkmcnt(0)
	s_barrier
	s_cbranch_vccz .LBB52_22
; %bb.11:
	v_cmp_gt_u16_e32 vcc, 5, v19
	s_and_saveexec_b64 s[0:1], vcc
	s_cbranch_execz .LBB52_13
; %bb.12:
	ds_read_b128 v[13:16], v18 offset:256
	ds_read_b128 v[20:23], v18
	s_waitcnt lgkmcnt(0)
	v_add_f64 v[13:14], v[13:14], v[20:21]
	v_add_f64 v[15:16], v[15:16], v[22:23]
	ds_write_b128 v18, v[13:16]
.LBB52_13:
	s_or_b64 exec, exec, s[0:1]
	v_cmp_gt_u16_e32 vcc, 8, v19
	s_waitcnt lgkmcnt(0)
	s_barrier
	s_and_saveexec_b64 s[0:1], vcc
	s_cbranch_execz .LBB52_15
; %bb.14:
	ds_read_b128 v[13:16], v18 offset:128
	ds_read_b128 v[20:23], v18
	s_waitcnt lgkmcnt(0)
	v_add_f64 v[13:14], v[13:14], v[20:21]
	v_add_f64 v[15:16], v[15:16], v[22:23]
	ds_write_b128 v18, v[13:16]
.LBB52_15:
	s_or_b64 exec, exec, s[0:1]
	v_cmp_gt_u16_e32 vcc, 4, v19
	s_waitcnt lgkmcnt(0)
	s_barrier
	;; [unrolled: 14-line block ×3, first 2 shown]
	s_and_saveexec_b64 s[0:1], vcc
	s_cbranch_execz .LBB52_19
; %bb.18:
	ds_read_b128 v[13:16], v18
	ds_read_b128 v[19:22], v18 offset:32
	s_waitcnt lgkmcnt(0)
	v_add_f64 v[13:14], v[19:20], v[13:14]
	v_add_f64 v[15:16], v[21:22], v[15:16]
	ds_write_b128 v18, v[13:16]
.LBB52_19:
	s_or_b64 exec, exec, s[0:1]
	v_mov_b32_e32 v16, v12
	v_mov_b32_e32 v14, v10
	v_cmp_gt_u32_e32 vcc, 21, v0
	v_mov_b32_e32 v15, v11
	v_mov_b32_e32 v13, v9
	s_waitcnt lgkmcnt(0)
	s_barrier
	s_and_saveexec_b64 s[0:1], vcc
	s_cbranch_execz .LBB52_21
; %bb.20:
	s_movk_i32 s2, 0x140
	v_mad_u32_u24 v17, v0, s2, v18
	ds_read_b128 v[13:16], v17
	ds_read_b128 v[19:22], v17 offset:16
	s_waitcnt lgkmcnt(0)
	v_add_f64 v[13:14], v[19:20], v[13:14]
	v_add_f64 v[15:16], v[21:22], v[15:16]
.LBB52_21:
	s_or_b64 exec, exec, s[0:1]
	s_branch .LBB52_34
.LBB52_22:
                                        ; implicit-def: $vgpr15_vgpr16
                                        ; implicit-def: $vgpr13_vgpr14
	s_cbranch_execz .LBB52_34
; %bb.23:
	s_movk_i32 s0, 0x69
	v_cmp_gt_u32_e32 vcc, s0, v0
	s_and_saveexec_b64 s[0:1], vcc
	s_cbranch_execz .LBB52_25
; %bb.24:
	ds_read_b128 v[13:16], v18 offset:5376
	ds_read_b128 v[19:22], v18
	s_waitcnt lgkmcnt(0)
	v_add_f64 v[13:14], v[13:14], v[19:20]
	v_add_f64 v[15:16], v[15:16], v[21:22]
	ds_write_b128 v18, v[13:16]
.LBB52_25:
	s_or_b64 exec, exec, s[0:1]
	s_movk_i32 s0, 0xa8
	v_cmp_gt_u32_e32 vcc, s0, v0
	s_waitcnt lgkmcnt(0)
	s_barrier
	s_and_saveexec_b64 s[0:1], vcc
	s_cbranch_execz .LBB52_27
; %bb.26:
	ds_read_b128 v[13:16], v18 offset:2688
	ds_read_b128 v[19:22], v18
	s_waitcnt lgkmcnt(0)
	v_add_f64 v[13:14], v[13:14], v[19:20]
	v_add_f64 v[15:16], v[15:16], v[21:22]
	ds_write_b128 v18, v[13:16]
.LBB52_27:
	s_or_b64 exec, exec, s[0:1]
	s_movk_i32 s0, 0x54
	v_cmp_gt_u32_e32 vcc, s0, v0
	s_waitcnt lgkmcnt(0)
	s_barrier
	s_and_saveexec_b64 s[0:1], vcc
	s_cbranch_execz .LBB52_29
; %bb.28:
	ds_read_b128 v[13:16], v18 offset:1344
	ds_read_b128 v[19:22], v18
	s_waitcnt lgkmcnt(0)
	v_add_f64 v[13:14], v[13:14], v[19:20]
	v_add_f64 v[15:16], v[15:16], v[21:22]
	ds_write_b128 v18, v[13:16]
.LBB52_29:
	s_or_b64 exec, exec, s[0:1]
	v_cmp_gt_u32_e32 vcc, 42, v0
	s_waitcnt lgkmcnt(0)
	s_barrier
	s_and_saveexec_b64 s[0:1], vcc
	s_cbranch_execz .LBB52_31
; %bb.30:
	ds_read_b128 v[13:16], v18 offset:672
	ds_read_b128 v[19:22], v18
	s_waitcnt lgkmcnt(0)
	v_add_f64 v[13:14], v[13:14], v[19:20]
	v_add_f64 v[15:16], v[15:16], v[21:22]
	ds_write_b128 v18, v[13:16]
.LBB52_31:
	s_or_b64 exec, exec, s[0:1]
	v_cmp_gt_u32_e32 vcc, 21, v0
	s_waitcnt lgkmcnt(0)
	s_and_saveexec_b64 s[0:1], vcc
	s_cbranch_execz .LBB52_33
; %bb.32:
	ds_read_b128 v[9:12], v18 offset:336
	ds_read_b128 v[13:16], v18
	s_waitcnt lgkmcnt(0)
	v_add_f64 v[9:10], v[9:10], v[13:14]
	v_add_f64 v[11:12], v[11:12], v[15:16]
.LBB52_33:
	s_or_b64 exec, exec, s[0:1]
	v_mov_b32_e32 v16, v12
	v_mov_b32_e32 v14, v10
	v_mov_b32_e32 v15, v11
	v_mov_b32_e32 v13, v9
.LBB52_34:
	v_cmp_gt_u32_e32 vcc, 21, v0
	s_and_b64 exec, exec, vcc
	s_cbranch_execz .LBB52_39
; %bb.35:
	v_mul_f64 v[9:10], v[15:16], -v[7:8]
	v_mul_f64 v[11:12], v[5:6], v[15:16]
	v_cmp_eq_f64_e32 vcc, 0, v[1:2]
	v_cmp_eq_f64_e64 s[0:1], 0, v[3:4]
	v_fma_f64 v[5:6], v[5:6], v[13:14], v[9:10]
	v_fma_f64 v[7:8], v[7:8], v[13:14], v[11:12]
	s_and_b64 s[0:1], vcc, s[0:1]
	s_and_saveexec_b64 s[2:3], s[0:1]
	s_xor_b64 s[0:1], exec, s[2:3]
	s_cbranch_execz .LBB52_37
; %bb.36:
	v_mad_u64_u32 v[0:1], s[2:3], s6, 21, v[0:1]
	v_mov_b32_e32 v1, 0
	v_mov_b32_e32 v2, s9
	v_lshlrev_b64 v[0:1], 4, v[0:1]
	v_add_co_u32_e32 v0, vcc, s8, v0
	v_addc_co_u32_e32 v1, vcc, v2, v1, vcc
	global_store_dwordx4 v[0:1], v[5:8], off
                                        ; implicit-def: $vgpr0
                                        ; implicit-def: $vgpr1_vgpr2
                                        ; implicit-def: $vgpr5_vgpr6
.LBB52_37:
	s_andn2_saveexec_b64 s[0:1], s[0:1]
	s_cbranch_execz .LBB52_39
; %bb.38:
	v_mad_u64_u32 v[9:10], s[0:1], s6, 21, v[0:1]
	v_mov_b32_e32 v10, 0
	v_mov_b32_e32 v0, s9
	v_lshlrev_b64 v[9:10], 4, v[9:10]
	v_add_co_u32_e32 v13, vcc, s8, v9
	v_addc_co_u32_e32 v14, vcc, v0, v10, vcc
	global_load_dwordx4 v[9:12], v[13:14], off
	s_waitcnt vmcnt(0)
	v_fma_f64 v[5:6], v[1:2], v[9:10], v[5:6]
	v_fma_f64 v[7:8], v[3:4], v[9:10], v[7:8]
	v_fma_f64 v[3:4], -v[3:4], v[11:12], v[5:6]
	v_fma_f64 v[5:6], v[1:2], v[11:12], v[7:8]
	global_store_dwordx4 v[13:14], v[3:6], off
.LBB52_39:
	s_endpgm
	.section	.rodata,"a",@progbits
	.p2align	6, 0x0
	.amdhsa_kernel _ZN9rocsparseL20bsrxmvn_17_32_kernelILj21E21rocsparse_complex_numIdEiiS2_S2_S2_EEvT2_20rocsparse_direction_NS_24const_host_device_scalarIT0_EES3_PKS3_PKT1_SC_S9_PKT3_PKT4_S7_PT5_21rocsparse_index_base_b
		.amdhsa_group_segment_fixed_size 7056
		.amdhsa_private_segment_fixed_size 0
		.amdhsa_kernarg_size 112
		.amdhsa_user_sgpr_count 6
		.amdhsa_user_sgpr_private_segment_buffer 1
		.amdhsa_user_sgpr_dispatch_ptr 0
		.amdhsa_user_sgpr_queue_ptr 0
		.amdhsa_user_sgpr_kernarg_segment_ptr 1
		.amdhsa_user_sgpr_dispatch_id 0
		.amdhsa_user_sgpr_flat_scratch_init 0
		.amdhsa_user_sgpr_private_segment_size 0
		.amdhsa_uses_dynamic_stack 0
		.amdhsa_system_sgpr_private_segment_wavefront_offset 0
		.amdhsa_system_sgpr_workgroup_id_x 1
		.amdhsa_system_sgpr_workgroup_id_y 0
		.amdhsa_system_sgpr_workgroup_id_z 0
		.amdhsa_system_sgpr_workgroup_info 0
		.amdhsa_system_vgpr_workitem_id 0
		.amdhsa_next_free_vgpr 29
		.amdhsa_next_free_sgpr 61
		.amdhsa_reserve_vcc 1
		.amdhsa_reserve_flat_scratch 0
		.amdhsa_float_round_mode_32 0
		.amdhsa_float_round_mode_16_64 0
		.amdhsa_float_denorm_mode_32 3
		.amdhsa_float_denorm_mode_16_64 3
		.amdhsa_dx10_clamp 1
		.amdhsa_ieee_mode 1
		.amdhsa_fp16_overflow 0
		.amdhsa_exception_fp_ieee_invalid_op 0
		.amdhsa_exception_fp_denorm_src 0
		.amdhsa_exception_fp_ieee_div_zero 0
		.amdhsa_exception_fp_ieee_overflow 0
		.amdhsa_exception_fp_ieee_underflow 0
		.amdhsa_exception_fp_ieee_inexact 0
		.amdhsa_exception_int_div_zero 0
	.end_amdhsa_kernel
	.section	.text._ZN9rocsparseL20bsrxmvn_17_32_kernelILj21E21rocsparse_complex_numIdEiiS2_S2_S2_EEvT2_20rocsparse_direction_NS_24const_host_device_scalarIT0_EES3_PKS3_PKT1_SC_S9_PKT3_PKT4_S7_PT5_21rocsparse_index_base_b,"axG",@progbits,_ZN9rocsparseL20bsrxmvn_17_32_kernelILj21E21rocsparse_complex_numIdEiiS2_S2_S2_EEvT2_20rocsparse_direction_NS_24const_host_device_scalarIT0_EES3_PKS3_PKT1_SC_S9_PKT3_PKT4_S7_PT5_21rocsparse_index_base_b,comdat
.Lfunc_end52:
	.size	_ZN9rocsparseL20bsrxmvn_17_32_kernelILj21E21rocsparse_complex_numIdEiiS2_S2_S2_EEvT2_20rocsparse_direction_NS_24const_host_device_scalarIT0_EES3_PKS3_PKT1_SC_S9_PKT3_PKT4_S7_PT5_21rocsparse_index_base_b, .Lfunc_end52-_ZN9rocsparseL20bsrxmvn_17_32_kernelILj21E21rocsparse_complex_numIdEiiS2_S2_S2_EEvT2_20rocsparse_direction_NS_24const_host_device_scalarIT0_EES3_PKS3_PKT1_SC_S9_PKT3_PKT4_S7_PT5_21rocsparse_index_base_b
                                        ; -- End function
	.set _ZN9rocsparseL20bsrxmvn_17_32_kernelILj21E21rocsparse_complex_numIdEiiS2_S2_S2_EEvT2_20rocsparse_direction_NS_24const_host_device_scalarIT0_EES3_PKS3_PKT1_SC_S9_PKT3_PKT4_S7_PT5_21rocsparse_index_base_b.num_vgpr, 29
	.set _ZN9rocsparseL20bsrxmvn_17_32_kernelILj21E21rocsparse_complex_numIdEiiS2_S2_S2_EEvT2_20rocsparse_direction_NS_24const_host_device_scalarIT0_EES3_PKS3_PKT1_SC_S9_PKT3_PKT4_S7_PT5_21rocsparse_index_base_b.num_agpr, 0
	.set _ZN9rocsparseL20bsrxmvn_17_32_kernelILj21E21rocsparse_complex_numIdEiiS2_S2_S2_EEvT2_20rocsparse_direction_NS_24const_host_device_scalarIT0_EES3_PKS3_PKT1_SC_S9_PKT3_PKT4_S7_PT5_21rocsparse_index_base_b.numbered_sgpr, 18
	.set _ZN9rocsparseL20bsrxmvn_17_32_kernelILj21E21rocsparse_complex_numIdEiiS2_S2_S2_EEvT2_20rocsparse_direction_NS_24const_host_device_scalarIT0_EES3_PKS3_PKT1_SC_S9_PKT3_PKT4_S7_PT5_21rocsparse_index_base_b.num_named_barrier, 0
	.set _ZN9rocsparseL20bsrxmvn_17_32_kernelILj21E21rocsparse_complex_numIdEiiS2_S2_S2_EEvT2_20rocsparse_direction_NS_24const_host_device_scalarIT0_EES3_PKS3_PKT1_SC_S9_PKT3_PKT4_S7_PT5_21rocsparse_index_base_b.private_seg_size, 0
	.set _ZN9rocsparseL20bsrxmvn_17_32_kernelILj21E21rocsparse_complex_numIdEiiS2_S2_S2_EEvT2_20rocsparse_direction_NS_24const_host_device_scalarIT0_EES3_PKS3_PKT1_SC_S9_PKT3_PKT4_S7_PT5_21rocsparse_index_base_b.uses_vcc, 1
	.set _ZN9rocsparseL20bsrxmvn_17_32_kernelILj21E21rocsparse_complex_numIdEiiS2_S2_S2_EEvT2_20rocsparse_direction_NS_24const_host_device_scalarIT0_EES3_PKS3_PKT1_SC_S9_PKT3_PKT4_S7_PT5_21rocsparse_index_base_b.uses_flat_scratch, 0
	.set _ZN9rocsparseL20bsrxmvn_17_32_kernelILj21E21rocsparse_complex_numIdEiiS2_S2_S2_EEvT2_20rocsparse_direction_NS_24const_host_device_scalarIT0_EES3_PKS3_PKT1_SC_S9_PKT3_PKT4_S7_PT5_21rocsparse_index_base_b.has_dyn_sized_stack, 0
	.set _ZN9rocsparseL20bsrxmvn_17_32_kernelILj21E21rocsparse_complex_numIdEiiS2_S2_S2_EEvT2_20rocsparse_direction_NS_24const_host_device_scalarIT0_EES3_PKS3_PKT1_SC_S9_PKT3_PKT4_S7_PT5_21rocsparse_index_base_b.has_recursion, 0
	.set _ZN9rocsparseL20bsrxmvn_17_32_kernelILj21E21rocsparse_complex_numIdEiiS2_S2_S2_EEvT2_20rocsparse_direction_NS_24const_host_device_scalarIT0_EES3_PKS3_PKT1_SC_S9_PKT3_PKT4_S7_PT5_21rocsparse_index_base_b.has_indirect_call, 0
	.section	.AMDGPU.csdata,"",@progbits
; Kernel info:
; codeLenInByte = 1636
; TotalNumSgprs: 22
; NumVgprs: 29
; ScratchSize: 0
; MemoryBound: 0
; FloatMode: 240
; IeeeMode: 1
; LDSByteSize: 7056 bytes/workgroup (compile time only)
; SGPRBlocks: 8
; VGPRBlocks: 7
; NumSGPRsForWavesPerEU: 65
; NumVGPRsForWavesPerEU: 29
; Occupancy: 8
; WaveLimiterHint : 1
; COMPUTE_PGM_RSRC2:SCRATCH_EN: 0
; COMPUTE_PGM_RSRC2:USER_SGPR: 6
; COMPUTE_PGM_RSRC2:TRAP_HANDLER: 0
; COMPUTE_PGM_RSRC2:TGID_X_EN: 1
; COMPUTE_PGM_RSRC2:TGID_Y_EN: 0
; COMPUTE_PGM_RSRC2:TGID_Z_EN: 0
; COMPUTE_PGM_RSRC2:TIDIG_COMP_CNT: 0
	.section	.text._ZN9rocsparseL20bsrxmvn_17_32_kernelILj22E21rocsparse_complex_numIdEiiS2_S2_S2_EEvT2_20rocsparse_direction_NS_24const_host_device_scalarIT0_EES3_PKS3_PKT1_SC_S9_PKT3_PKT4_S7_PT5_21rocsparse_index_base_b,"axG",@progbits,_ZN9rocsparseL20bsrxmvn_17_32_kernelILj22E21rocsparse_complex_numIdEiiS2_S2_S2_EEvT2_20rocsparse_direction_NS_24const_host_device_scalarIT0_EES3_PKS3_PKT1_SC_S9_PKT3_PKT4_S7_PT5_21rocsparse_index_base_b,comdat
	.globl	_ZN9rocsparseL20bsrxmvn_17_32_kernelILj22E21rocsparse_complex_numIdEiiS2_S2_S2_EEvT2_20rocsparse_direction_NS_24const_host_device_scalarIT0_EES3_PKS3_PKT1_SC_S9_PKT3_PKT4_S7_PT5_21rocsparse_index_base_b ; -- Begin function _ZN9rocsparseL20bsrxmvn_17_32_kernelILj22E21rocsparse_complex_numIdEiiS2_S2_S2_EEvT2_20rocsparse_direction_NS_24const_host_device_scalarIT0_EES3_PKS3_PKT1_SC_S9_PKT3_PKT4_S7_PT5_21rocsparse_index_base_b
	.p2align	8
	.type	_ZN9rocsparseL20bsrxmvn_17_32_kernelILj22E21rocsparse_complex_numIdEiiS2_S2_S2_EEvT2_20rocsparse_direction_NS_24const_host_device_scalarIT0_EES3_PKS3_PKT1_SC_S9_PKT3_PKT4_S7_PT5_21rocsparse_index_base_b,@function
_ZN9rocsparseL20bsrxmvn_17_32_kernelILj22E21rocsparse_complex_numIdEiiS2_S2_S2_EEvT2_20rocsparse_direction_NS_24const_host_device_scalarIT0_EES3_PKS3_PKT1_SC_S9_PKT3_PKT4_S7_PT5_21rocsparse_index_base_b: ; @_ZN9rocsparseL20bsrxmvn_17_32_kernelILj22E21rocsparse_complex_numIdEiiS2_S2_S2_EEvT2_20rocsparse_direction_NS_24const_host_device_scalarIT0_EES3_PKS3_PKT1_SC_S9_PKT3_PKT4_S7_PT5_21rocsparse_index_base_b
; %bb.0:
	s_load_dwordx2 s[0:1], s[4:5], 0x8
	s_load_dwordx2 s[10:11], s[4:5], 0x68
	s_add_u32 s7, s4, 8
	s_addc_u32 s8, s5, 0
	s_add_u32 s9, s4, 0x50
	s_addc_u32 s12, s5, 0
	s_waitcnt lgkmcnt(0)
	s_bitcmp1_b32 s11, 0
	s_cselect_b32 s1, s8, s1
	s_cselect_b32 s0, s7, s0
	v_mov_b32_e32 v1, s0
	v_mov_b32_e32 v2, s1
	flat_load_dwordx4 v[5:8], v[1:2]
	s_load_dwordx2 s[2:3], s[4:5], 0x50
	s_waitcnt lgkmcnt(0)
	s_cselect_b32 s0, s12, s3
	s_cselect_b32 s1, s9, s2
	v_mov_b32_e32 v1, s1
	v_mov_b32_e32 v2, s0
	flat_load_dwordx4 v[1:4], v[1:2]
	s_waitcnt vmcnt(0)
	v_cmp_eq_f64_e32 vcc, 0, v[5:6]
	v_cmp_eq_f64_e64 s[0:1], 0, v[7:8]
	s_and_b64 s[8:9], vcc, s[0:1]
	s_mov_b64 s[0:1], -1
	s_and_saveexec_b64 s[2:3], s[8:9]
	s_cbranch_execz .LBB53_2
; %bb.1:
	s_waitcnt lgkmcnt(0)
	v_cmp_neq_f64_e32 vcc, 1.0, v[1:2]
	v_cmp_neq_f64_e64 s[0:1], 0, v[3:4]
	s_or_b64 s[0:1], vcc, s[0:1]
	s_orn2_b64 s[0:1], s[0:1], exec
.LBB53_2:
	s_or_b64 exec, exec, s[2:3]
	s_and_saveexec_b64 s[2:3], s[0:1]
	s_cbranch_execz .LBB53_39
; %bb.3:
	s_load_dwordx4 s[0:3], s[4:5], 0x20
	s_load_dwordx2 s[14:15], s[4:5], 0x30
	s_waitcnt lgkmcnt(0)
	s_cmp_eq_u64 s[0:1], 0
	s_cbranch_scc1 .LBB53_5
; %bb.4:
	s_ashr_i32 s7, s6, 31
	s_lshl_b64 s[6:7], s[6:7], 2
	s_add_u32 s0, s0, s6
	s_addc_u32 s1, s1, s7
	s_load_dword s0, s[0:1], 0x0
	s_waitcnt lgkmcnt(0)
	s_sub_i32 s6, s0, s10
.LBB53_5:
	s_load_dword s0, s[4:5], 0x4
	s_load_dwordx2 s[8:9], s[4:5], 0x60
	v_mul_u32_u24_e32 v13, 0xba3, v0
	v_mov_b32_e32 v14, 22
	v_mul_lo_u16_sdwa v9, v13, v14 dst_sel:DWORD dst_unused:UNUSED_PAD src0_sel:WORD_1 src1_sel:DWORD
	s_waitcnt lgkmcnt(0)
	s_cmp_eq_u32 s0, 1
	s_cselect_b64 vcc, -1, 0
	s_cmp_lg_u32 s0, 1
	s_cselect_b64 s[12:13], -1, 0
	s_ashr_i32 s7, s6, 31
	s_lshl_b64 s[0:1], s[6:7], 2
	s_add_u32 s2, s2, s0
	s_addc_u32 s3, s3, s1
	s_load_dword s7, s[2:3], 0x0
	s_add_u32 s2, s2, 4
	s_addc_u32 s3, s3, 0
	s_add_u32 s0, s14, s0
	s_addc_u32 s1, s15, s1
	s_cmp_eq_u64 s[14:15], 0
	s_cselect_b32 s1, s3, s1
	s_cselect_b32 s0, s2, s0
	s_load_dword s11, s[0:1], 0x0
	v_sub_u16_e32 v19, v0, v9
	v_mov_b32_e32 v11, 0
	v_mov_b32_e32 v9, 0
	;; [unrolled: 1-line block ×3, first 2 shown]
	s_waitcnt lgkmcnt(0)
	s_cmp_ge_i32 s7, s11
	v_mov_b32_e32 v10, 0
	v_lshlrev_b32_e32 v18, 4, v0
	s_cbranch_scc1 .LBB53_10
; %bb.6:
	s_load_dwordx2 s[14:15], s[4:5], 0x48
	s_load_dwordx4 s[0:3], s[4:5], 0x38
	v_mov_b32_e32 v9, 12
	v_mul_lo_u16_sdwa v9, v13, v9 dst_sel:DWORD dst_unused:UNUSED_PAD src0_sel:WORD_1 src1_sel:DWORD
	s_sub_i32 s5, s7, s10
	s_sub_i32 s4, s11, s10
	v_mul_lo_u16_sdwa v9, v9, v14 dst_sel:DWORD dst_unused:UNUSED_PAD src0_sel:BYTE_1 src1_sel:DWORD
	s_mul_i32 s11, s5, 0x1e40
	v_sub_u16_sdwa v9, v13, v9 dst_sel:DWORD dst_unused:UNUSED_PAD src0_sel:WORD_1 src1_sel:DWORD
	s_mul_hi_i32 s7, s5, 0x1e40
	s_waitcnt lgkmcnt(0)
	s_add_u32 s2, s2, s11
	v_and_b32_e32 v9, 0xff, v9
	s_addc_u32 s3, s3, s7
	v_cndmask_b32_e32 v13, v19, v9, vcc
	v_mov_b32_e32 v9, s3
	v_add_co_u32_e32 v14, vcc, s2, v18
	s_movk_i32 s2, 0x10f
	v_addc_co_u32_e32 v15, vcc, 0, v9, vcc
	v_mul_u32_u24_sdwa v9, v0, s2 dst_sel:DWORD dst_unused:UNUSED_PAD src0_sel:WORD_0 src1_sel:DWORD
	v_mov_b32_e32 v11, 0
	v_mov_b32_e32 v12, 0
	v_lshrrev_b32_e32 v20, 17, v9
	v_mov_b32_e32 v9, v11
	v_mov_b32_e32 v10, v12
	s_branch .LBB53_8
.LBB53_7:                               ;   in Loop: Header=BB53_8 Depth=1
	s_or_b64 exec, exec, s[2:3]
	s_add_i32 s5, s5, 1
	s_cmp_lt_i32 s5, s4
	s_cbranch_scc0 .LBB53_10
.LBB53_8:                               ; =>This Inner Loop Header: Depth=1
	v_add_u32_e32 v16, s5, v20
	v_cmp_gt_i32_e32 vcc, s4, v16
	s_and_saveexec_b64 s[2:3], vcc
	s_cbranch_execz .LBB53_7
; %bb.9:                                ;   in Loop: Header=BB53_8 Depth=1
	v_ashrrev_i32_e32 v17, 31, v16
	v_lshlrev_b64 v[16:17], 2, v[16:17]
	v_mov_b32_e32 v21, s1
	v_add_co_u32_e32 v16, vcc, s0, v16
	v_addc_co_u32_e32 v17, vcc, v21, v17, vcc
	global_load_dword v16, v[16:17], off
	v_mov_b32_e32 v25, s15
	global_load_dwordx4 v[21:24], v[14:15], off
	s_waitcnt vmcnt(1)
	v_subrev_u32_e32 v16, s10, v16
	v_mad_u64_u32 v[16:17], s[16:17], v16, 22, v[13:14]
	v_ashrrev_i32_e32 v17, 31, v16
	v_lshlrev_b64 v[16:17], 4, v[16:17]
	v_add_co_u32_e32 v16, vcc, s14, v16
	v_addc_co_u32_e32 v17, vcc, v25, v17, vcc
	global_load_dwordx4 v[25:28], v[16:17], off
	v_add_co_u32_e32 v14, vcc, 0x1e40, v14
	v_addc_co_u32_e32 v15, vcc, 0, v15, vcc
	s_waitcnt vmcnt(0)
	v_fma_f64 v[9:10], v[21:22], v[25:26], v[9:10]
	v_fma_f64 v[11:12], v[23:24], v[25:26], v[11:12]
	v_fma_f64 v[9:10], -v[23:24], v[27:28], v[9:10]
	v_fma_f64 v[11:12], v[21:22], v[27:28], v[11:12]
	s_branch .LBB53_7
.LBB53_10:
	s_and_b64 vcc, exec, s[12:13]
	ds_write_b128 v18, v[9:12]
	s_waitcnt lgkmcnt(0)
	s_barrier
	s_cbranch_vccz .LBB53_22
; %bb.11:
	v_cmp_gt_u16_e32 vcc, 6, v19
	s_and_saveexec_b64 s[0:1], vcc
	s_cbranch_execz .LBB53_13
; %bb.12:
	ds_read_b128 v[13:16], v18 offset:256
	ds_read_b128 v[20:23], v18
	s_waitcnt lgkmcnt(0)
	v_add_f64 v[13:14], v[13:14], v[20:21]
	v_add_f64 v[15:16], v[15:16], v[22:23]
	ds_write_b128 v18, v[13:16]
.LBB53_13:
	s_or_b64 exec, exec, s[0:1]
	v_cmp_gt_u16_e32 vcc, 8, v19
	s_waitcnt lgkmcnt(0)
	s_barrier
	s_and_saveexec_b64 s[0:1], vcc
	s_cbranch_execz .LBB53_15
; %bb.14:
	ds_read_b128 v[13:16], v18 offset:128
	ds_read_b128 v[20:23], v18
	s_waitcnt lgkmcnt(0)
	v_add_f64 v[13:14], v[13:14], v[20:21]
	v_add_f64 v[15:16], v[15:16], v[22:23]
	ds_write_b128 v18, v[13:16]
.LBB53_15:
	s_or_b64 exec, exec, s[0:1]
	v_cmp_gt_u16_e32 vcc, 4, v19
	s_waitcnt lgkmcnt(0)
	s_barrier
	;; [unrolled: 14-line block ×3, first 2 shown]
	s_and_saveexec_b64 s[0:1], vcc
	s_cbranch_execz .LBB53_19
; %bb.18:
	ds_read_b128 v[13:16], v18
	ds_read_b128 v[19:22], v18 offset:32
	s_waitcnt lgkmcnt(0)
	v_add_f64 v[13:14], v[19:20], v[13:14]
	v_add_f64 v[15:16], v[21:22], v[15:16]
	ds_write_b128 v18, v[13:16]
.LBB53_19:
	s_or_b64 exec, exec, s[0:1]
	v_mov_b32_e32 v16, v12
	v_mov_b32_e32 v14, v10
	v_cmp_gt_u32_e32 vcc, 22, v0
	v_mov_b32_e32 v15, v11
	v_mov_b32_e32 v13, v9
	s_waitcnt lgkmcnt(0)
	s_barrier
	s_and_saveexec_b64 s[0:1], vcc
	s_cbranch_execz .LBB53_21
; %bb.20:
	s_movk_i32 s2, 0x150
	v_mad_u32_u24 v17, v0, s2, v18
	ds_read_b128 v[13:16], v17
	ds_read_b128 v[19:22], v17 offset:16
	s_waitcnt lgkmcnt(0)
	v_add_f64 v[13:14], v[19:20], v[13:14]
	v_add_f64 v[15:16], v[21:22], v[15:16]
.LBB53_21:
	s_or_b64 exec, exec, s[0:1]
	s_branch .LBB53_34
.LBB53_22:
                                        ; implicit-def: $vgpr15_vgpr16
                                        ; implicit-def: $vgpr13_vgpr14
	s_cbranch_execz .LBB53_34
; %bb.23:
	s_movk_i32 s0, 0x84
	v_cmp_gt_u32_e32 vcc, s0, v0
	s_and_saveexec_b64 s[0:1], vcc
	s_cbranch_execz .LBB53_25
; %bb.24:
	ds_read_b128 v[13:16], v18 offset:5632
	ds_read_b128 v[19:22], v18
	s_waitcnt lgkmcnt(0)
	v_add_f64 v[13:14], v[13:14], v[19:20]
	v_add_f64 v[15:16], v[15:16], v[21:22]
	ds_write_b128 v18, v[13:16]
.LBB53_25:
	s_or_b64 exec, exec, s[0:1]
	s_movk_i32 s0, 0xb0
	v_cmp_gt_u32_e32 vcc, s0, v0
	s_waitcnt lgkmcnt(0)
	s_barrier
	s_and_saveexec_b64 s[0:1], vcc
	s_cbranch_execz .LBB53_27
; %bb.26:
	ds_read_b128 v[13:16], v18 offset:2816
	ds_read_b128 v[19:22], v18
	s_waitcnt lgkmcnt(0)
	v_add_f64 v[13:14], v[13:14], v[19:20]
	v_add_f64 v[15:16], v[15:16], v[21:22]
	ds_write_b128 v18, v[13:16]
.LBB53_27:
	s_or_b64 exec, exec, s[0:1]
	s_movk_i32 s0, 0x58
	v_cmp_gt_u32_e32 vcc, s0, v0
	s_waitcnt lgkmcnt(0)
	s_barrier
	s_and_saveexec_b64 s[0:1], vcc
	s_cbranch_execz .LBB53_29
; %bb.28:
	ds_read_b128 v[13:16], v18 offset:1408
	ds_read_b128 v[19:22], v18
	s_waitcnt lgkmcnt(0)
	v_add_f64 v[13:14], v[13:14], v[19:20]
	v_add_f64 v[15:16], v[15:16], v[21:22]
	ds_write_b128 v18, v[13:16]
.LBB53_29:
	s_or_b64 exec, exec, s[0:1]
	v_cmp_gt_u32_e32 vcc, 44, v0
	s_waitcnt lgkmcnt(0)
	s_barrier
	s_and_saveexec_b64 s[0:1], vcc
	s_cbranch_execz .LBB53_31
; %bb.30:
	ds_read_b128 v[13:16], v18 offset:704
	ds_read_b128 v[19:22], v18
	s_waitcnt lgkmcnt(0)
	v_add_f64 v[13:14], v[13:14], v[19:20]
	v_add_f64 v[15:16], v[15:16], v[21:22]
	ds_write_b128 v18, v[13:16]
.LBB53_31:
	s_or_b64 exec, exec, s[0:1]
	v_cmp_gt_u32_e32 vcc, 22, v0
	s_waitcnt lgkmcnt(0)
	s_and_saveexec_b64 s[0:1], vcc
	s_cbranch_execz .LBB53_33
; %bb.32:
	ds_read_b128 v[9:12], v18 offset:352
	ds_read_b128 v[13:16], v18
	s_waitcnt lgkmcnt(0)
	v_add_f64 v[9:10], v[9:10], v[13:14]
	v_add_f64 v[11:12], v[11:12], v[15:16]
.LBB53_33:
	s_or_b64 exec, exec, s[0:1]
	v_mov_b32_e32 v16, v12
	v_mov_b32_e32 v14, v10
	;; [unrolled: 1-line block ×4, first 2 shown]
.LBB53_34:
	v_cmp_gt_u32_e32 vcc, 22, v0
	s_and_b64 exec, exec, vcc
	s_cbranch_execz .LBB53_39
; %bb.35:
	v_mul_f64 v[9:10], v[15:16], -v[7:8]
	v_mul_f64 v[11:12], v[5:6], v[15:16]
	v_cmp_eq_f64_e32 vcc, 0, v[1:2]
	v_cmp_eq_f64_e64 s[0:1], 0, v[3:4]
	v_fma_f64 v[5:6], v[5:6], v[13:14], v[9:10]
	v_fma_f64 v[7:8], v[7:8], v[13:14], v[11:12]
	s_and_b64 s[0:1], vcc, s[0:1]
	s_and_saveexec_b64 s[2:3], s[0:1]
	s_xor_b64 s[0:1], exec, s[2:3]
	s_cbranch_execz .LBB53_37
; %bb.36:
	v_mad_u64_u32 v[0:1], s[2:3], s6, 22, v[0:1]
	v_mov_b32_e32 v1, 0
	v_mov_b32_e32 v2, s9
	v_lshlrev_b64 v[0:1], 4, v[0:1]
	v_add_co_u32_e32 v0, vcc, s8, v0
	v_addc_co_u32_e32 v1, vcc, v2, v1, vcc
	global_store_dwordx4 v[0:1], v[5:8], off
                                        ; implicit-def: $vgpr0
                                        ; implicit-def: $vgpr1_vgpr2
                                        ; implicit-def: $vgpr5_vgpr6
.LBB53_37:
	s_andn2_saveexec_b64 s[0:1], s[0:1]
	s_cbranch_execz .LBB53_39
; %bb.38:
	v_mad_u64_u32 v[9:10], s[0:1], s6, 22, v[0:1]
	v_mov_b32_e32 v10, 0
	v_mov_b32_e32 v0, s9
	v_lshlrev_b64 v[9:10], 4, v[9:10]
	v_add_co_u32_e32 v13, vcc, s8, v9
	v_addc_co_u32_e32 v14, vcc, v0, v10, vcc
	global_load_dwordx4 v[9:12], v[13:14], off
	s_waitcnt vmcnt(0)
	v_fma_f64 v[5:6], v[1:2], v[9:10], v[5:6]
	v_fma_f64 v[7:8], v[3:4], v[9:10], v[7:8]
	v_fma_f64 v[3:4], -v[3:4], v[11:12], v[5:6]
	v_fma_f64 v[5:6], v[1:2], v[11:12], v[7:8]
	global_store_dwordx4 v[13:14], v[3:6], off
.LBB53_39:
	s_endpgm
	.section	.rodata,"a",@progbits
	.p2align	6, 0x0
	.amdhsa_kernel _ZN9rocsparseL20bsrxmvn_17_32_kernelILj22E21rocsparse_complex_numIdEiiS2_S2_S2_EEvT2_20rocsparse_direction_NS_24const_host_device_scalarIT0_EES3_PKS3_PKT1_SC_S9_PKT3_PKT4_S7_PT5_21rocsparse_index_base_b
		.amdhsa_group_segment_fixed_size 7744
		.amdhsa_private_segment_fixed_size 0
		.amdhsa_kernarg_size 112
		.amdhsa_user_sgpr_count 6
		.amdhsa_user_sgpr_private_segment_buffer 1
		.amdhsa_user_sgpr_dispatch_ptr 0
		.amdhsa_user_sgpr_queue_ptr 0
		.amdhsa_user_sgpr_kernarg_segment_ptr 1
		.amdhsa_user_sgpr_dispatch_id 0
		.amdhsa_user_sgpr_flat_scratch_init 0
		.amdhsa_user_sgpr_private_segment_size 0
		.amdhsa_uses_dynamic_stack 0
		.amdhsa_system_sgpr_private_segment_wavefront_offset 0
		.amdhsa_system_sgpr_workgroup_id_x 1
		.amdhsa_system_sgpr_workgroup_id_y 0
		.amdhsa_system_sgpr_workgroup_id_z 0
		.amdhsa_system_sgpr_workgroup_info 0
		.amdhsa_system_vgpr_workitem_id 0
		.amdhsa_next_free_vgpr 29
		.amdhsa_next_free_sgpr 18
		.amdhsa_reserve_vcc 1
		.amdhsa_reserve_flat_scratch 0
		.amdhsa_float_round_mode_32 0
		.amdhsa_float_round_mode_16_64 0
		.amdhsa_float_denorm_mode_32 3
		.amdhsa_float_denorm_mode_16_64 3
		.amdhsa_dx10_clamp 1
		.amdhsa_ieee_mode 1
		.amdhsa_fp16_overflow 0
		.amdhsa_exception_fp_ieee_invalid_op 0
		.amdhsa_exception_fp_denorm_src 0
		.amdhsa_exception_fp_ieee_div_zero 0
		.amdhsa_exception_fp_ieee_overflow 0
		.amdhsa_exception_fp_ieee_underflow 0
		.amdhsa_exception_fp_ieee_inexact 0
		.amdhsa_exception_int_div_zero 0
	.end_amdhsa_kernel
	.section	.text._ZN9rocsparseL20bsrxmvn_17_32_kernelILj22E21rocsparse_complex_numIdEiiS2_S2_S2_EEvT2_20rocsparse_direction_NS_24const_host_device_scalarIT0_EES3_PKS3_PKT1_SC_S9_PKT3_PKT4_S7_PT5_21rocsparse_index_base_b,"axG",@progbits,_ZN9rocsparseL20bsrxmvn_17_32_kernelILj22E21rocsparse_complex_numIdEiiS2_S2_S2_EEvT2_20rocsparse_direction_NS_24const_host_device_scalarIT0_EES3_PKS3_PKT1_SC_S9_PKT3_PKT4_S7_PT5_21rocsparse_index_base_b,comdat
.Lfunc_end53:
	.size	_ZN9rocsparseL20bsrxmvn_17_32_kernelILj22E21rocsparse_complex_numIdEiiS2_S2_S2_EEvT2_20rocsparse_direction_NS_24const_host_device_scalarIT0_EES3_PKS3_PKT1_SC_S9_PKT3_PKT4_S7_PT5_21rocsparse_index_base_b, .Lfunc_end53-_ZN9rocsparseL20bsrxmvn_17_32_kernelILj22E21rocsparse_complex_numIdEiiS2_S2_S2_EEvT2_20rocsparse_direction_NS_24const_host_device_scalarIT0_EES3_PKS3_PKT1_SC_S9_PKT3_PKT4_S7_PT5_21rocsparse_index_base_b
                                        ; -- End function
	.set _ZN9rocsparseL20bsrxmvn_17_32_kernelILj22E21rocsparse_complex_numIdEiiS2_S2_S2_EEvT2_20rocsparse_direction_NS_24const_host_device_scalarIT0_EES3_PKS3_PKT1_SC_S9_PKT3_PKT4_S7_PT5_21rocsparse_index_base_b.num_vgpr, 29
	.set _ZN9rocsparseL20bsrxmvn_17_32_kernelILj22E21rocsparse_complex_numIdEiiS2_S2_S2_EEvT2_20rocsparse_direction_NS_24const_host_device_scalarIT0_EES3_PKS3_PKT1_SC_S9_PKT3_PKT4_S7_PT5_21rocsparse_index_base_b.num_agpr, 0
	.set _ZN9rocsparseL20bsrxmvn_17_32_kernelILj22E21rocsparse_complex_numIdEiiS2_S2_S2_EEvT2_20rocsparse_direction_NS_24const_host_device_scalarIT0_EES3_PKS3_PKT1_SC_S9_PKT3_PKT4_S7_PT5_21rocsparse_index_base_b.numbered_sgpr, 18
	.set _ZN9rocsparseL20bsrxmvn_17_32_kernelILj22E21rocsparse_complex_numIdEiiS2_S2_S2_EEvT2_20rocsparse_direction_NS_24const_host_device_scalarIT0_EES3_PKS3_PKT1_SC_S9_PKT3_PKT4_S7_PT5_21rocsparse_index_base_b.num_named_barrier, 0
	.set _ZN9rocsparseL20bsrxmvn_17_32_kernelILj22E21rocsparse_complex_numIdEiiS2_S2_S2_EEvT2_20rocsparse_direction_NS_24const_host_device_scalarIT0_EES3_PKS3_PKT1_SC_S9_PKT3_PKT4_S7_PT5_21rocsparse_index_base_b.private_seg_size, 0
	.set _ZN9rocsparseL20bsrxmvn_17_32_kernelILj22E21rocsparse_complex_numIdEiiS2_S2_S2_EEvT2_20rocsparse_direction_NS_24const_host_device_scalarIT0_EES3_PKS3_PKT1_SC_S9_PKT3_PKT4_S7_PT5_21rocsparse_index_base_b.uses_vcc, 1
	.set _ZN9rocsparseL20bsrxmvn_17_32_kernelILj22E21rocsparse_complex_numIdEiiS2_S2_S2_EEvT2_20rocsparse_direction_NS_24const_host_device_scalarIT0_EES3_PKS3_PKT1_SC_S9_PKT3_PKT4_S7_PT5_21rocsparse_index_base_b.uses_flat_scratch, 0
	.set _ZN9rocsparseL20bsrxmvn_17_32_kernelILj22E21rocsparse_complex_numIdEiiS2_S2_S2_EEvT2_20rocsparse_direction_NS_24const_host_device_scalarIT0_EES3_PKS3_PKT1_SC_S9_PKT3_PKT4_S7_PT5_21rocsparse_index_base_b.has_dyn_sized_stack, 0
	.set _ZN9rocsparseL20bsrxmvn_17_32_kernelILj22E21rocsparse_complex_numIdEiiS2_S2_S2_EEvT2_20rocsparse_direction_NS_24const_host_device_scalarIT0_EES3_PKS3_PKT1_SC_S9_PKT3_PKT4_S7_PT5_21rocsparse_index_base_b.has_recursion, 0
	.set _ZN9rocsparseL20bsrxmvn_17_32_kernelILj22E21rocsparse_complex_numIdEiiS2_S2_S2_EEvT2_20rocsparse_direction_NS_24const_host_device_scalarIT0_EES3_PKS3_PKT1_SC_S9_PKT3_PKT4_S7_PT5_21rocsparse_index_base_b.has_indirect_call, 0
	.section	.AMDGPU.csdata,"",@progbits
; Kernel info:
; codeLenInByte = 1636
; TotalNumSgprs: 22
; NumVgprs: 29
; ScratchSize: 0
; MemoryBound: 0
; FloatMode: 240
; IeeeMode: 1
; LDSByteSize: 7744 bytes/workgroup (compile time only)
; SGPRBlocks: 2
; VGPRBlocks: 7
; NumSGPRsForWavesPerEU: 22
; NumVGPRsForWavesPerEU: 29
; Occupancy: 8
; WaveLimiterHint : 1
; COMPUTE_PGM_RSRC2:SCRATCH_EN: 0
; COMPUTE_PGM_RSRC2:USER_SGPR: 6
; COMPUTE_PGM_RSRC2:TRAP_HANDLER: 0
; COMPUTE_PGM_RSRC2:TGID_X_EN: 1
; COMPUTE_PGM_RSRC2:TGID_Y_EN: 0
; COMPUTE_PGM_RSRC2:TGID_Z_EN: 0
; COMPUTE_PGM_RSRC2:TIDIG_COMP_CNT: 0
	.section	.text._ZN9rocsparseL20bsrxmvn_17_32_kernelILj23E21rocsparse_complex_numIdEiiS2_S2_S2_EEvT2_20rocsparse_direction_NS_24const_host_device_scalarIT0_EES3_PKS3_PKT1_SC_S9_PKT3_PKT4_S7_PT5_21rocsparse_index_base_b,"axG",@progbits,_ZN9rocsparseL20bsrxmvn_17_32_kernelILj23E21rocsparse_complex_numIdEiiS2_S2_S2_EEvT2_20rocsparse_direction_NS_24const_host_device_scalarIT0_EES3_PKS3_PKT1_SC_S9_PKT3_PKT4_S7_PT5_21rocsparse_index_base_b,comdat
	.globl	_ZN9rocsparseL20bsrxmvn_17_32_kernelILj23E21rocsparse_complex_numIdEiiS2_S2_S2_EEvT2_20rocsparse_direction_NS_24const_host_device_scalarIT0_EES3_PKS3_PKT1_SC_S9_PKT3_PKT4_S7_PT5_21rocsparse_index_base_b ; -- Begin function _ZN9rocsparseL20bsrxmvn_17_32_kernelILj23E21rocsparse_complex_numIdEiiS2_S2_S2_EEvT2_20rocsparse_direction_NS_24const_host_device_scalarIT0_EES3_PKS3_PKT1_SC_S9_PKT3_PKT4_S7_PT5_21rocsparse_index_base_b
	.p2align	8
	.type	_ZN9rocsparseL20bsrxmvn_17_32_kernelILj23E21rocsparse_complex_numIdEiiS2_S2_S2_EEvT2_20rocsparse_direction_NS_24const_host_device_scalarIT0_EES3_PKS3_PKT1_SC_S9_PKT3_PKT4_S7_PT5_21rocsparse_index_base_b,@function
_ZN9rocsparseL20bsrxmvn_17_32_kernelILj23E21rocsparse_complex_numIdEiiS2_S2_S2_EEvT2_20rocsparse_direction_NS_24const_host_device_scalarIT0_EES3_PKS3_PKT1_SC_S9_PKT3_PKT4_S7_PT5_21rocsparse_index_base_b: ; @_ZN9rocsparseL20bsrxmvn_17_32_kernelILj23E21rocsparse_complex_numIdEiiS2_S2_S2_EEvT2_20rocsparse_direction_NS_24const_host_device_scalarIT0_EES3_PKS3_PKT1_SC_S9_PKT3_PKT4_S7_PT5_21rocsparse_index_base_b
; %bb.0:
	s_load_dwordx2 s[0:1], s[4:5], 0x8
	s_load_dwordx2 s[14:15], s[4:5], 0x68
	s_add_u32 s7, s4, 8
	s_addc_u32 s8, s5, 0
	s_add_u32 s9, s4, 0x50
	s_addc_u32 s10, s5, 0
	s_waitcnt lgkmcnt(0)
	s_bitcmp1_b32 s15, 0
	s_cselect_b32 s1, s8, s1
	s_cselect_b32 s0, s7, s0
	v_mov_b32_e32 v1, s0
	v_mov_b32_e32 v2, s1
	flat_load_dwordx4 v[5:8], v[1:2]
	s_load_dwordx2 s[2:3], s[4:5], 0x50
	s_waitcnt lgkmcnt(0)
	s_cselect_b32 s0, s10, s3
	s_cselect_b32 s1, s9, s2
	v_mov_b32_e32 v1, s1
	v_mov_b32_e32 v2, s0
	flat_load_dwordx4 v[1:4], v[1:2]
	s_waitcnt vmcnt(0)
	v_cmp_eq_f64_e32 vcc, 0, v[5:6]
	v_cmp_eq_f64_e64 s[0:1], 0, v[7:8]
	s_and_b64 s[8:9], vcc, s[0:1]
	s_mov_b64 s[0:1], -1
	s_and_saveexec_b64 s[2:3], s[8:9]
	s_cbranch_execz .LBB54_2
; %bb.1:
	s_waitcnt lgkmcnt(0)
	v_cmp_neq_f64_e32 vcc, 1.0, v[1:2]
	v_cmp_neq_f64_e64 s[0:1], 0, v[3:4]
	s_or_b64 s[0:1], vcc, s[0:1]
	s_orn2_b64 s[0:1], s[0:1], exec
.LBB54_2:
	s_or_b64 exec, exec, s[2:3]
	s_and_saveexec_b64 s[2:3], s[0:1]
	s_cbranch_execz .LBB54_39
; %bb.3:
	s_load_dwordx4 s[0:3], s[4:5], 0x20
	s_load_dwordx2 s[8:9], s[4:5], 0x30
	s_waitcnt lgkmcnt(0)
	s_cmp_eq_u64 s[0:1], 0
	s_cbranch_scc1 .LBB54_5
; %bb.4:
	s_ashr_i32 s7, s6, 31
	s_lshl_b64 s[6:7], s[6:7], 2
	s_add_u32 s0, s0, s6
	s_addc_u32 s1, s1, s7
	s_load_dword s0, s[0:1], 0x0
	s_waitcnt lgkmcnt(0)
	s_sub_i32 s6, s0, s14
.LBB54_5:
	s_load_dword s0, s[4:5], 0x4
	s_load_dwordx2 s[12:13], s[4:5], 0x60
	v_mul_u32_u24_e32 v13, 0xb22, v0
	v_mov_b32_e32 v9, 23
	v_mul_lo_u16_sdwa v9, v13, v9 dst_sel:DWORD dst_unused:UNUSED_PAD src0_sel:WORD_1 src1_sel:DWORD
	s_waitcnt lgkmcnt(0)
	s_cmp_eq_u32 s0, 1
	s_cselect_b64 vcc, -1, 0
	s_cmp_lg_u32 s0, 1
	s_cselect_b64 s[16:17], -1, 0
	s_ashr_i32 s7, s6, 31
	s_lshl_b64 s[0:1], s[6:7], 2
	s_add_u32 s2, s2, s0
	s_addc_u32 s3, s3, s1
	s_load_dword s7, s[2:3], 0x0
	s_add_u32 s2, s2, 4
	s_addc_u32 s3, s3, 0
	s_add_u32 s0, s8, s0
	s_addc_u32 s1, s9, s1
	s_cmp_eq_u64 s[8:9], 0
	s_cselect_b32 s1, s3, s1
	s_cselect_b32 s0, s2, s0
	s_load_dword s0, s[0:1], 0x0
	v_sub_u16_e32 v19, v0, v9
	v_mov_b32_e32 v11, 0
	v_mov_b32_e32 v9, 0
	;; [unrolled: 1-line block ×3, first 2 shown]
	s_waitcnt lgkmcnt(0)
	s_cmp_ge_i32 s7, s0
	v_mov_b32_e32 v10, 0
	v_lshlrev_b32_e32 v18, 4, v0
	s_cbranch_scc1 .LBB54_10
; %bb.6:
	s_load_dwordx2 s[2:3], s[4:5], 0x48
	s_load_dwordx4 s[8:11], s[4:5], 0x38
	s_sub_i32 s4, s0, s14
	s_mov_b32 s0, 0xffff
	s_movk_i32 s1, 0x211
	v_and_b32_sdwa v9, s0, v13 dst_sel:DWORD dst_unused:UNUSED_PAD src0_sel:DWORD src1_sel:WORD_1
	v_subrev_u32_e32 v10, 23, v9
	v_cmp_gt_u32_e64 s[0:1], s1, v0
	s_sub_i32 s5, s7, s14
	v_cndmask_b32_e64 v9, v10, v9, s[0:1]
	s_mul_i32 s1, s5, 0x2110
	s_mul_hi_i32 s0, s5, 0x2110
	s_waitcnt lgkmcnt(0)
	s_add_u32 s1, s10, s1
	s_addc_u32 s0, s11, s0
	v_cndmask_b32_e32 v13, v19, v9, vcc
	v_mov_b32_e32 v9, s0
	v_add_co_u32_e32 v14, vcc, s1, v18
	v_addc_co_u32_e32 v15, vcc, 0, v9, vcc
	s_movk_i32 s0, 0x210
	v_mov_b32_e32 v11, 0
	v_mov_b32_e32 v12, 0
	v_cmp_lt_u32_e32 vcc, s0, v0
	v_mov_b32_e32 v9, v11
	v_cndmask_b32_e64 v20, 0, 1, vcc
	v_mov_b32_e32 v10, v12
	s_branch .LBB54_8
.LBB54_7:                               ;   in Loop: Header=BB54_8 Depth=1
	s_or_b64 exec, exec, s[0:1]
	s_add_i32 s5, s5, 1
	s_cmp_lt_i32 s5, s4
	s_cbranch_scc0 .LBB54_10
.LBB54_8:                               ; =>This Inner Loop Header: Depth=1
	v_add_u32_e32 v16, s5, v20
	v_cmp_gt_i32_e32 vcc, s4, v16
	s_and_saveexec_b64 s[0:1], vcc
	s_cbranch_execz .LBB54_7
; %bb.9:                                ;   in Loop: Header=BB54_8 Depth=1
	v_ashrrev_i32_e32 v17, 31, v16
	v_lshlrev_b64 v[16:17], 2, v[16:17]
	v_mov_b32_e32 v21, s9
	v_add_co_u32_e32 v16, vcc, s8, v16
	v_addc_co_u32_e32 v17, vcc, v21, v17, vcc
	global_load_dword v16, v[16:17], off
	v_mov_b32_e32 v25, s3
	global_load_dwordx4 v[21:24], v[14:15], off
	s_waitcnt vmcnt(1)
	v_subrev_u32_e32 v16, s14, v16
	v_mad_u64_u32 v[16:17], s[10:11], v16, 23, v[13:14]
	v_ashrrev_i32_e32 v17, 31, v16
	v_lshlrev_b64 v[16:17], 4, v[16:17]
	v_add_co_u32_e32 v16, vcc, s2, v16
	v_addc_co_u32_e32 v17, vcc, v25, v17, vcc
	global_load_dwordx4 v[25:28], v[16:17], off
	v_add_co_u32_e32 v14, vcc, 0x2110, v14
	v_addc_co_u32_e32 v15, vcc, 0, v15, vcc
	s_waitcnt vmcnt(0)
	v_fma_f64 v[9:10], v[21:22], v[25:26], v[9:10]
	v_fma_f64 v[11:12], v[23:24], v[25:26], v[11:12]
	v_fma_f64 v[9:10], -v[23:24], v[27:28], v[9:10]
	v_fma_f64 v[11:12], v[21:22], v[27:28], v[11:12]
	s_branch .LBB54_7
.LBB54_10:
	s_and_b64 vcc, exec, s[16:17]
	ds_write_b128 v18, v[9:12]
	s_waitcnt lgkmcnt(0)
	s_barrier
	s_cbranch_vccz .LBB54_22
; %bb.11:
	v_cmp_gt_u16_e32 vcc, 7, v19
	s_and_saveexec_b64 s[0:1], vcc
	s_cbranch_execz .LBB54_13
; %bb.12:
	ds_read_b128 v[13:16], v18 offset:256
	ds_read_b128 v[20:23], v18
	s_waitcnt lgkmcnt(0)
	v_add_f64 v[13:14], v[13:14], v[20:21]
	v_add_f64 v[15:16], v[15:16], v[22:23]
	ds_write_b128 v18, v[13:16]
.LBB54_13:
	s_or_b64 exec, exec, s[0:1]
	v_cmp_gt_u16_e32 vcc, 8, v19
	s_waitcnt lgkmcnt(0)
	s_barrier
	s_and_saveexec_b64 s[0:1], vcc
	s_cbranch_execz .LBB54_15
; %bb.14:
	ds_read_b128 v[13:16], v18 offset:128
	ds_read_b128 v[20:23], v18
	s_waitcnt lgkmcnt(0)
	v_add_f64 v[13:14], v[13:14], v[20:21]
	v_add_f64 v[15:16], v[15:16], v[22:23]
	ds_write_b128 v18, v[13:16]
.LBB54_15:
	s_or_b64 exec, exec, s[0:1]
	v_cmp_gt_u16_e32 vcc, 4, v19
	s_waitcnt lgkmcnt(0)
	s_barrier
	;; [unrolled: 14-line block ×3, first 2 shown]
	s_and_saveexec_b64 s[0:1], vcc
	s_cbranch_execz .LBB54_19
; %bb.18:
	ds_read_b128 v[13:16], v18
	ds_read_b128 v[19:22], v18 offset:32
	s_waitcnt lgkmcnt(0)
	v_add_f64 v[13:14], v[19:20], v[13:14]
	v_add_f64 v[15:16], v[21:22], v[15:16]
	ds_write_b128 v18, v[13:16]
.LBB54_19:
	s_or_b64 exec, exec, s[0:1]
	v_mov_b32_e32 v16, v12
	v_mov_b32_e32 v14, v10
	v_cmp_gt_u32_e32 vcc, 23, v0
	v_mov_b32_e32 v15, v11
	v_mov_b32_e32 v13, v9
	s_waitcnt lgkmcnt(0)
	s_barrier
	s_and_saveexec_b64 s[0:1], vcc
	s_cbranch_execz .LBB54_21
; %bb.20:
	s_movk_i32 s2, 0x160
	v_mad_u32_u24 v17, v0, s2, v18
	ds_read_b128 v[13:16], v17
	ds_read_b128 v[19:22], v17 offset:16
	s_waitcnt lgkmcnt(0)
	v_add_f64 v[13:14], v[19:20], v[13:14]
	v_add_f64 v[15:16], v[21:22], v[15:16]
.LBB54_21:
	s_or_b64 exec, exec, s[0:1]
	s_branch .LBB54_34
.LBB54_22:
                                        ; implicit-def: $vgpr15_vgpr16
                                        ; implicit-def: $vgpr13_vgpr14
	s_cbranch_execz .LBB54_34
; %bb.23:
	s_movk_i32 s0, 0xa1
	v_cmp_gt_u32_e32 vcc, s0, v0
	s_and_saveexec_b64 s[0:1], vcc
	s_cbranch_execz .LBB54_25
; %bb.24:
	ds_read_b128 v[13:16], v18 offset:5888
	ds_read_b128 v[19:22], v18
	s_waitcnt lgkmcnt(0)
	v_add_f64 v[13:14], v[13:14], v[19:20]
	v_add_f64 v[15:16], v[15:16], v[21:22]
	ds_write_b128 v18, v[13:16]
.LBB54_25:
	s_or_b64 exec, exec, s[0:1]
	s_movk_i32 s0, 0xb8
	v_cmp_gt_u32_e32 vcc, s0, v0
	s_waitcnt lgkmcnt(0)
	s_barrier
	s_and_saveexec_b64 s[0:1], vcc
	s_cbranch_execz .LBB54_27
; %bb.26:
	ds_read_b128 v[13:16], v18 offset:2944
	ds_read_b128 v[19:22], v18
	s_waitcnt lgkmcnt(0)
	v_add_f64 v[13:14], v[13:14], v[19:20]
	v_add_f64 v[15:16], v[15:16], v[21:22]
	ds_write_b128 v18, v[13:16]
.LBB54_27:
	s_or_b64 exec, exec, s[0:1]
	s_movk_i32 s0, 0x5c
	v_cmp_gt_u32_e32 vcc, s0, v0
	s_waitcnt lgkmcnt(0)
	s_barrier
	s_and_saveexec_b64 s[0:1], vcc
	s_cbranch_execz .LBB54_29
; %bb.28:
	ds_read_b128 v[13:16], v18 offset:1472
	ds_read_b128 v[19:22], v18
	s_waitcnt lgkmcnt(0)
	v_add_f64 v[13:14], v[13:14], v[19:20]
	v_add_f64 v[15:16], v[15:16], v[21:22]
	ds_write_b128 v18, v[13:16]
.LBB54_29:
	s_or_b64 exec, exec, s[0:1]
	v_cmp_gt_u32_e32 vcc, 46, v0
	s_waitcnt lgkmcnt(0)
	s_barrier
	s_and_saveexec_b64 s[0:1], vcc
	s_cbranch_execz .LBB54_31
; %bb.30:
	ds_read_b128 v[13:16], v18 offset:736
	ds_read_b128 v[19:22], v18
	s_waitcnt lgkmcnt(0)
	v_add_f64 v[13:14], v[13:14], v[19:20]
	v_add_f64 v[15:16], v[15:16], v[21:22]
	ds_write_b128 v18, v[13:16]
.LBB54_31:
	s_or_b64 exec, exec, s[0:1]
	v_cmp_gt_u32_e32 vcc, 23, v0
	s_waitcnt lgkmcnt(0)
	s_and_saveexec_b64 s[0:1], vcc
	s_cbranch_execz .LBB54_33
; %bb.32:
	ds_read_b128 v[9:12], v18 offset:368
	ds_read_b128 v[13:16], v18
	s_waitcnt lgkmcnt(0)
	v_add_f64 v[9:10], v[9:10], v[13:14]
	v_add_f64 v[11:12], v[11:12], v[15:16]
.LBB54_33:
	s_or_b64 exec, exec, s[0:1]
	v_mov_b32_e32 v16, v12
	v_mov_b32_e32 v14, v10
	;; [unrolled: 1-line block ×4, first 2 shown]
.LBB54_34:
	v_cmp_gt_u32_e32 vcc, 23, v0
	s_and_b64 exec, exec, vcc
	s_cbranch_execz .LBB54_39
; %bb.35:
	v_mul_f64 v[9:10], v[15:16], -v[7:8]
	v_mul_f64 v[11:12], v[5:6], v[15:16]
	v_cmp_eq_f64_e32 vcc, 0, v[1:2]
	v_cmp_eq_f64_e64 s[0:1], 0, v[3:4]
	v_fma_f64 v[5:6], v[5:6], v[13:14], v[9:10]
	v_fma_f64 v[7:8], v[7:8], v[13:14], v[11:12]
	s_and_b64 s[0:1], vcc, s[0:1]
	s_and_saveexec_b64 s[2:3], s[0:1]
	s_xor_b64 s[0:1], exec, s[2:3]
	s_cbranch_execz .LBB54_37
; %bb.36:
	v_mad_u64_u32 v[0:1], s[2:3], s6, 23, v[0:1]
	v_mov_b32_e32 v1, 0
	v_mov_b32_e32 v2, s13
	v_lshlrev_b64 v[0:1], 4, v[0:1]
	v_add_co_u32_e32 v0, vcc, s12, v0
	v_addc_co_u32_e32 v1, vcc, v2, v1, vcc
	global_store_dwordx4 v[0:1], v[5:8], off
                                        ; implicit-def: $vgpr0
                                        ; implicit-def: $vgpr1_vgpr2
                                        ; implicit-def: $vgpr5_vgpr6
.LBB54_37:
	s_andn2_saveexec_b64 s[0:1], s[0:1]
	s_cbranch_execz .LBB54_39
; %bb.38:
	v_mad_u64_u32 v[9:10], s[0:1], s6, 23, v[0:1]
	v_mov_b32_e32 v10, 0
	v_mov_b32_e32 v0, s13
	v_lshlrev_b64 v[9:10], 4, v[9:10]
	v_add_co_u32_e32 v13, vcc, s12, v9
	v_addc_co_u32_e32 v14, vcc, v0, v10, vcc
	global_load_dwordx4 v[9:12], v[13:14], off
	s_waitcnt vmcnt(0)
	v_fma_f64 v[5:6], v[1:2], v[9:10], v[5:6]
	v_fma_f64 v[7:8], v[3:4], v[9:10], v[7:8]
	v_fma_f64 v[3:4], -v[3:4], v[11:12], v[5:6]
	v_fma_f64 v[5:6], v[1:2], v[11:12], v[7:8]
	global_store_dwordx4 v[13:14], v[3:6], off
.LBB54_39:
	s_endpgm
	.section	.rodata,"a",@progbits
	.p2align	6, 0x0
	.amdhsa_kernel _ZN9rocsparseL20bsrxmvn_17_32_kernelILj23E21rocsparse_complex_numIdEiiS2_S2_S2_EEvT2_20rocsparse_direction_NS_24const_host_device_scalarIT0_EES3_PKS3_PKT1_SC_S9_PKT3_PKT4_S7_PT5_21rocsparse_index_base_b
		.amdhsa_group_segment_fixed_size 8464
		.amdhsa_private_segment_fixed_size 0
		.amdhsa_kernarg_size 112
		.amdhsa_user_sgpr_count 6
		.amdhsa_user_sgpr_private_segment_buffer 1
		.amdhsa_user_sgpr_dispatch_ptr 0
		.amdhsa_user_sgpr_queue_ptr 0
		.amdhsa_user_sgpr_kernarg_segment_ptr 1
		.amdhsa_user_sgpr_dispatch_id 0
		.amdhsa_user_sgpr_flat_scratch_init 0
		.amdhsa_user_sgpr_private_segment_size 0
		.amdhsa_uses_dynamic_stack 0
		.amdhsa_system_sgpr_private_segment_wavefront_offset 0
		.amdhsa_system_sgpr_workgroup_id_x 1
		.amdhsa_system_sgpr_workgroup_id_y 0
		.amdhsa_system_sgpr_workgroup_id_z 0
		.amdhsa_system_sgpr_workgroup_info 0
		.amdhsa_system_vgpr_workitem_id 0
		.amdhsa_next_free_vgpr 29
		.amdhsa_next_free_sgpr 61
		.amdhsa_reserve_vcc 1
		.amdhsa_reserve_flat_scratch 0
		.amdhsa_float_round_mode_32 0
		.amdhsa_float_round_mode_16_64 0
		.amdhsa_float_denorm_mode_32 3
		.amdhsa_float_denorm_mode_16_64 3
		.amdhsa_dx10_clamp 1
		.amdhsa_ieee_mode 1
		.amdhsa_fp16_overflow 0
		.amdhsa_exception_fp_ieee_invalid_op 0
		.amdhsa_exception_fp_denorm_src 0
		.amdhsa_exception_fp_ieee_div_zero 0
		.amdhsa_exception_fp_ieee_overflow 0
		.amdhsa_exception_fp_ieee_underflow 0
		.amdhsa_exception_fp_ieee_inexact 0
		.amdhsa_exception_int_div_zero 0
	.end_amdhsa_kernel
	.section	.text._ZN9rocsparseL20bsrxmvn_17_32_kernelILj23E21rocsparse_complex_numIdEiiS2_S2_S2_EEvT2_20rocsparse_direction_NS_24const_host_device_scalarIT0_EES3_PKS3_PKT1_SC_S9_PKT3_PKT4_S7_PT5_21rocsparse_index_base_b,"axG",@progbits,_ZN9rocsparseL20bsrxmvn_17_32_kernelILj23E21rocsparse_complex_numIdEiiS2_S2_S2_EEvT2_20rocsparse_direction_NS_24const_host_device_scalarIT0_EES3_PKS3_PKT1_SC_S9_PKT3_PKT4_S7_PT5_21rocsparse_index_base_b,comdat
.Lfunc_end54:
	.size	_ZN9rocsparseL20bsrxmvn_17_32_kernelILj23E21rocsparse_complex_numIdEiiS2_S2_S2_EEvT2_20rocsparse_direction_NS_24const_host_device_scalarIT0_EES3_PKS3_PKT1_SC_S9_PKT3_PKT4_S7_PT5_21rocsparse_index_base_b, .Lfunc_end54-_ZN9rocsparseL20bsrxmvn_17_32_kernelILj23E21rocsparse_complex_numIdEiiS2_S2_S2_EEvT2_20rocsparse_direction_NS_24const_host_device_scalarIT0_EES3_PKS3_PKT1_SC_S9_PKT3_PKT4_S7_PT5_21rocsparse_index_base_b
                                        ; -- End function
	.set _ZN9rocsparseL20bsrxmvn_17_32_kernelILj23E21rocsparse_complex_numIdEiiS2_S2_S2_EEvT2_20rocsparse_direction_NS_24const_host_device_scalarIT0_EES3_PKS3_PKT1_SC_S9_PKT3_PKT4_S7_PT5_21rocsparse_index_base_b.num_vgpr, 29
	.set _ZN9rocsparseL20bsrxmvn_17_32_kernelILj23E21rocsparse_complex_numIdEiiS2_S2_S2_EEvT2_20rocsparse_direction_NS_24const_host_device_scalarIT0_EES3_PKS3_PKT1_SC_S9_PKT3_PKT4_S7_PT5_21rocsparse_index_base_b.num_agpr, 0
	.set _ZN9rocsparseL20bsrxmvn_17_32_kernelILj23E21rocsparse_complex_numIdEiiS2_S2_S2_EEvT2_20rocsparse_direction_NS_24const_host_device_scalarIT0_EES3_PKS3_PKT1_SC_S9_PKT3_PKT4_S7_PT5_21rocsparse_index_base_b.numbered_sgpr, 18
	.set _ZN9rocsparseL20bsrxmvn_17_32_kernelILj23E21rocsparse_complex_numIdEiiS2_S2_S2_EEvT2_20rocsparse_direction_NS_24const_host_device_scalarIT0_EES3_PKS3_PKT1_SC_S9_PKT3_PKT4_S7_PT5_21rocsparse_index_base_b.num_named_barrier, 0
	.set _ZN9rocsparseL20bsrxmvn_17_32_kernelILj23E21rocsparse_complex_numIdEiiS2_S2_S2_EEvT2_20rocsparse_direction_NS_24const_host_device_scalarIT0_EES3_PKS3_PKT1_SC_S9_PKT3_PKT4_S7_PT5_21rocsparse_index_base_b.private_seg_size, 0
	.set _ZN9rocsparseL20bsrxmvn_17_32_kernelILj23E21rocsparse_complex_numIdEiiS2_S2_S2_EEvT2_20rocsparse_direction_NS_24const_host_device_scalarIT0_EES3_PKS3_PKT1_SC_S9_PKT3_PKT4_S7_PT5_21rocsparse_index_base_b.uses_vcc, 1
	.set _ZN9rocsparseL20bsrxmvn_17_32_kernelILj23E21rocsparse_complex_numIdEiiS2_S2_S2_EEvT2_20rocsparse_direction_NS_24const_host_device_scalarIT0_EES3_PKS3_PKT1_SC_S9_PKT3_PKT4_S7_PT5_21rocsparse_index_base_b.uses_flat_scratch, 0
	.set _ZN9rocsparseL20bsrxmvn_17_32_kernelILj23E21rocsparse_complex_numIdEiiS2_S2_S2_EEvT2_20rocsparse_direction_NS_24const_host_device_scalarIT0_EES3_PKS3_PKT1_SC_S9_PKT3_PKT4_S7_PT5_21rocsparse_index_base_b.has_dyn_sized_stack, 0
	.set _ZN9rocsparseL20bsrxmvn_17_32_kernelILj23E21rocsparse_complex_numIdEiiS2_S2_S2_EEvT2_20rocsparse_direction_NS_24const_host_device_scalarIT0_EES3_PKS3_PKT1_SC_S9_PKT3_PKT4_S7_PT5_21rocsparse_index_base_b.has_recursion, 0
	.set _ZN9rocsparseL20bsrxmvn_17_32_kernelILj23E21rocsparse_complex_numIdEiiS2_S2_S2_EEvT2_20rocsparse_direction_NS_24const_host_device_scalarIT0_EES3_PKS3_PKT1_SC_S9_PKT3_PKT4_S7_PT5_21rocsparse_index_base_b.has_indirect_call, 0
	.section	.AMDGPU.csdata,"",@progbits
; Kernel info:
; codeLenInByte = 1640
; TotalNumSgprs: 22
; NumVgprs: 29
; ScratchSize: 0
; MemoryBound: 0
; FloatMode: 240
; IeeeMode: 1
; LDSByteSize: 8464 bytes/workgroup (compile time only)
; SGPRBlocks: 8
; VGPRBlocks: 7
; NumSGPRsForWavesPerEU: 65
; NumVGPRsForWavesPerEU: 29
; Occupancy: 8
; WaveLimiterHint : 1
; COMPUTE_PGM_RSRC2:SCRATCH_EN: 0
; COMPUTE_PGM_RSRC2:USER_SGPR: 6
; COMPUTE_PGM_RSRC2:TRAP_HANDLER: 0
; COMPUTE_PGM_RSRC2:TGID_X_EN: 1
; COMPUTE_PGM_RSRC2:TGID_Y_EN: 0
; COMPUTE_PGM_RSRC2:TGID_Z_EN: 0
; COMPUTE_PGM_RSRC2:TIDIG_COMP_CNT: 0
	.section	.text._ZN9rocsparseL20bsrxmvn_17_32_kernelILj24E21rocsparse_complex_numIdEiiS2_S2_S2_EEvT2_20rocsparse_direction_NS_24const_host_device_scalarIT0_EES3_PKS3_PKT1_SC_S9_PKT3_PKT4_S7_PT5_21rocsparse_index_base_b,"axG",@progbits,_ZN9rocsparseL20bsrxmvn_17_32_kernelILj24E21rocsparse_complex_numIdEiiS2_S2_S2_EEvT2_20rocsparse_direction_NS_24const_host_device_scalarIT0_EES3_PKS3_PKT1_SC_S9_PKT3_PKT4_S7_PT5_21rocsparse_index_base_b,comdat
	.globl	_ZN9rocsparseL20bsrxmvn_17_32_kernelILj24E21rocsparse_complex_numIdEiiS2_S2_S2_EEvT2_20rocsparse_direction_NS_24const_host_device_scalarIT0_EES3_PKS3_PKT1_SC_S9_PKT3_PKT4_S7_PT5_21rocsparse_index_base_b ; -- Begin function _ZN9rocsparseL20bsrxmvn_17_32_kernelILj24E21rocsparse_complex_numIdEiiS2_S2_S2_EEvT2_20rocsparse_direction_NS_24const_host_device_scalarIT0_EES3_PKS3_PKT1_SC_S9_PKT3_PKT4_S7_PT5_21rocsparse_index_base_b
	.p2align	8
	.type	_ZN9rocsparseL20bsrxmvn_17_32_kernelILj24E21rocsparse_complex_numIdEiiS2_S2_S2_EEvT2_20rocsparse_direction_NS_24const_host_device_scalarIT0_EES3_PKS3_PKT1_SC_S9_PKT3_PKT4_S7_PT5_21rocsparse_index_base_b,@function
_ZN9rocsparseL20bsrxmvn_17_32_kernelILj24E21rocsparse_complex_numIdEiiS2_S2_S2_EEvT2_20rocsparse_direction_NS_24const_host_device_scalarIT0_EES3_PKS3_PKT1_SC_S9_PKT3_PKT4_S7_PT5_21rocsparse_index_base_b: ; @_ZN9rocsparseL20bsrxmvn_17_32_kernelILj24E21rocsparse_complex_numIdEiiS2_S2_S2_EEvT2_20rocsparse_direction_NS_24const_host_device_scalarIT0_EES3_PKS3_PKT1_SC_S9_PKT3_PKT4_S7_PT5_21rocsparse_index_base_b
; %bb.0:
	s_load_dwordx2 s[0:1], s[4:5], 0x8
	s_load_dwordx2 s[14:15], s[4:5], 0x68
	s_add_u32 s7, s4, 8
	s_addc_u32 s8, s5, 0
	s_add_u32 s9, s4, 0x50
	s_addc_u32 s10, s5, 0
	s_waitcnt lgkmcnt(0)
	s_bitcmp1_b32 s15, 0
	s_cselect_b32 s1, s8, s1
	s_cselect_b32 s0, s7, s0
	v_mov_b32_e32 v1, s0
	v_mov_b32_e32 v2, s1
	flat_load_dwordx4 v[5:8], v[1:2]
	s_load_dwordx2 s[2:3], s[4:5], 0x50
	s_waitcnt lgkmcnt(0)
	s_cselect_b32 s0, s10, s3
	s_cselect_b32 s1, s9, s2
	v_mov_b32_e32 v1, s1
	v_mov_b32_e32 v2, s0
	flat_load_dwordx4 v[1:4], v[1:2]
	s_waitcnt vmcnt(0)
	v_cmp_eq_f64_e32 vcc, 0, v[5:6]
	v_cmp_eq_f64_e64 s[0:1], 0, v[7:8]
	s_and_b64 s[8:9], vcc, s[0:1]
	s_mov_b64 s[0:1], -1
	s_and_saveexec_b64 s[2:3], s[8:9]
	s_cbranch_execz .LBB55_2
; %bb.1:
	s_waitcnt lgkmcnt(0)
	v_cmp_neq_f64_e32 vcc, 1.0, v[1:2]
	v_cmp_neq_f64_e64 s[0:1], 0, v[3:4]
	s_or_b64 s[0:1], vcc, s[0:1]
	s_orn2_b64 s[0:1], s[0:1], exec
.LBB55_2:
	s_or_b64 exec, exec, s[2:3]
	s_and_saveexec_b64 s[2:3], s[0:1]
	s_cbranch_execz .LBB55_39
; %bb.3:
	s_load_dwordx4 s[0:3], s[4:5], 0x20
	s_load_dwordx2 s[8:9], s[4:5], 0x30
	s_waitcnt lgkmcnt(0)
	s_cmp_eq_u64 s[0:1], 0
	s_cbranch_scc1 .LBB55_5
; %bb.4:
	s_ashr_i32 s7, s6, 31
	s_lshl_b64 s[6:7], s[6:7], 2
	s_add_u32 s0, s0, s6
	s_addc_u32 s1, s1, s7
	s_load_dword s0, s[0:1], 0x0
	s_waitcnt lgkmcnt(0)
	s_sub_i32 s6, s0, s14
.LBB55_5:
	s_load_dword s0, s[4:5], 0x4
	s_load_dwordx2 s[12:13], s[4:5], 0x60
	v_mul_u32_u24_e32 v13, 0xaab, v0
	v_mov_b32_e32 v9, 24
	v_mul_lo_u16_sdwa v9, v13, v9 dst_sel:DWORD dst_unused:UNUSED_PAD src0_sel:WORD_1 src1_sel:DWORD
	s_waitcnt lgkmcnt(0)
	s_cmp_eq_u32 s0, 1
	s_cselect_b64 vcc, -1, 0
	s_cmp_lg_u32 s0, 1
	s_cselect_b64 s[16:17], -1, 0
	s_ashr_i32 s7, s6, 31
	s_lshl_b64 s[0:1], s[6:7], 2
	s_add_u32 s2, s2, s0
	s_addc_u32 s3, s3, s1
	s_load_dword s7, s[2:3], 0x0
	s_add_u32 s2, s2, 4
	s_addc_u32 s3, s3, 0
	s_add_u32 s0, s8, s0
	s_addc_u32 s1, s9, s1
	s_cmp_eq_u64 s[8:9], 0
	s_cselect_b32 s1, s3, s1
	s_cselect_b32 s0, s2, s0
	s_load_dword s0, s[0:1], 0x0
	v_sub_u16_e32 v19, v0, v9
	v_mov_b32_e32 v11, 0
	v_mov_b32_e32 v9, 0
	;; [unrolled: 1-line block ×3, first 2 shown]
	s_waitcnt lgkmcnt(0)
	s_cmp_ge_i32 s7, s0
	v_mov_b32_e32 v10, 0
	v_lshlrev_b32_e32 v18, 4, v0
	s_cbranch_scc1 .LBB55_10
; %bb.6:
	s_load_dwordx2 s[2:3], s[4:5], 0x48
	s_load_dwordx4 s[8:11], s[4:5], 0x38
	s_sub_i32 s4, s0, s14
	s_mov_b32 s0, 0xffff
	s_movk_i32 s1, 0x240
	v_and_b32_sdwa v9, s0, v13 dst_sel:DWORD dst_unused:UNUSED_PAD src0_sel:DWORD src1_sel:WORD_1
	v_subrev_u32_e32 v10, 24, v9
	v_cmp_gt_u32_e64 s[0:1], s1, v0
	s_sub_i32 s5, s7, s14
	v_cndmask_b32_e64 v9, v10, v9, s[0:1]
	s_mul_i32 s1, s5, 0x2400
	s_mul_hi_i32 s0, s5, 0x2400
	s_waitcnt lgkmcnt(0)
	s_add_u32 s1, s10, s1
	s_addc_u32 s0, s11, s0
	v_cndmask_b32_e32 v13, v19, v9, vcc
	v_mov_b32_e32 v9, s0
	v_add_co_u32_e32 v14, vcc, s1, v18
	v_addc_co_u32_e32 v15, vcc, 0, v9, vcc
	s_movk_i32 s0, 0x23f
	v_mov_b32_e32 v11, 0
	v_mov_b32_e32 v12, 0
	v_cmp_lt_u32_e32 vcc, s0, v0
	v_mov_b32_e32 v9, v11
	v_cndmask_b32_e64 v20, 0, 1, vcc
	v_mov_b32_e32 v10, v12
	s_branch .LBB55_8
.LBB55_7:                               ;   in Loop: Header=BB55_8 Depth=1
	s_or_b64 exec, exec, s[0:1]
	s_add_i32 s5, s5, 1
	s_cmp_lt_i32 s5, s4
	s_cbranch_scc0 .LBB55_10
.LBB55_8:                               ; =>This Inner Loop Header: Depth=1
	v_add_u32_e32 v16, s5, v20
	v_cmp_gt_i32_e32 vcc, s4, v16
	s_and_saveexec_b64 s[0:1], vcc
	s_cbranch_execz .LBB55_7
; %bb.9:                                ;   in Loop: Header=BB55_8 Depth=1
	v_ashrrev_i32_e32 v17, 31, v16
	v_lshlrev_b64 v[16:17], 2, v[16:17]
	v_mov_b32_e32 v21, s9
	v_add_co_u32_e32 v16, vcc, s8, v16
	v_addc_co_u32_e32 v17, vcc, v21, v17, vcc
	global_load_dword v16, v[16:17], off
	v_mov_b32_e32 v25, s3
	global_load_dwordx4 v[21:24], v[14:15], off
	s_waitcnt vmcnt(1)
	v_subrev_u32_e32 v16, s14, v16
	v_mad_u64_u32 v[16:17], s[10:11], v16, 24, v[13:14]
	v_ashrrev_i32_e32 v17, 31, v16
	v_lshlrev_b64 v[16:17], 4, v[16:17]
	v_add_co_u32_e32 v16, vcc, s2, v16
	v_addc_co_u32_e32 v17, vcc, v25, v17, vcc
	global_load_dwordx4 v[25:28], v[16:17], off
	v_add_co_u32_e32 v14, vcc, 0x2400, v14
	v_addc_co_u32_e32 v15, vcc, 0, v15, vcc
	s_waitcnt vmcnt(0)
	v_fma_f64 v[9:10], v[21:22], v[25:26], v[9:10]
	v_fma_f64 v[11:12], v[23:24], v[25:26], v[11:12]
	v_fma_f64 v[9:10], -v[23:24], v[27:28], v[9:10]
	v_fma_f64 v[11:12], v[21:22], v[27:28], v[11:12]
	s_branch .LBB55_7
.LBB55_10:
	s_and_b64 vcc, exec, s[16:17]
	ds_write_b128 v18, v[9:12]
	s_waitcnt lgkmcnt(0)
	s_barrier
	s_cbranch_vccz .LBB55_22
; %bb.11:
	v_cmp_gt_u16_e32 vcc, 8, v19
	s_and_saveexec_b64 s[0:1], vcc
	s_cbranch_execz .LBB55_13
; %bb.12:
	ds_read_b128 v[13:16], v18 offset:256
	ds_read_b128 v[20:23], v18
	s_waitcnt lgkmcnt(0)
	v_add_f64 v[13:14], v[13:14], v[20:21]
	v_add_f64 v[15:16], v[15:16], v[22:23]
	ds_write_b128 v18, v[13:16]
.LBB55_13:
	s_or_b64 exec, exec, s[0:1]
	s_waitcnt lgkmcnt(0)
	s_barrier
	s_and_saveexec_b64 s[0:1], vcc
	s_cbranch_execz .LBB55_15
; %bb.14:
	ds_read_b128 v[13:16], v18 offset:128
	ds_read_b128 v[20:23], v18
	s_waitcnt lgkmcnt(0)
	v_add_f64 v[13:14], v[13:14], v[20:21]
	v_add_f64 v[15:16], v[15:16], v[22:23]
	ds_write_b128 v18, v[13:16]
.LBB55_15:
	s_or_b64 exec, exec, s[0:1]
	v_cmp_gt_u16_e32 vcc, 4, v19
	s_waitcnt lgkmcnt(0)
	s_barrier
	s_and_saveexec_b64 s[0:1], vcc
	s_cbranch_execz .LBB55_17
; %bb.16:
	ds_read_b128 v[13:16], v18 offset:64
	ds_read_b128 v[20:23], v18
	s_waitcnt lgkmcnt(0)
	v_add_f64 v[13:14], v[13:14], v[20:21]
	v_add_f64 v[15:16], v[15:16], v[22:23]
	ds_write_b128 v18, v[13:16]
.LBB55_17:
	s_or_b64 exec, exec, s[0:1]
	v_cmp_gt_u16_e32 vcc, 2, v19
	s_waitcnt lgkmcnt(0)
	s_barrier
	s_and_saveexec_b64 s[0:1], vcc
	s_cbranch_execz .LBB55_19
; %bb.18:
	ds_read_b128 v[13:16], v18
	ds_read_b128 v[19:22], v18 offset:32
	s_waitcnt lgkmcnt(0)
	v_add_f64 v[13:14], v[19:20], v[13:14]
	v_add_f64 v[15:16], v[21:22], v[15:16]
	ds_write_b128 v18, v[13:16]
.LBB55_19:
	s_or_b64 exec, exec, s[0:1]
	v_mov_b32_e32 v16, v12
	v_mov_b32_e32 v14, v10
	v_cmp_gt_u32_e32 vcc, 24, v0
	v_mov_b32_e32 v15, v11
	v_mov_b32_e32 v13, v9
	s_waitcnt lgkmcnt(0)
	s_barrier
	s_and_saveexec_b64 s[0:1], vcc
	s_cbranch_execz .LBB55_21
; %bb.20:
	s_movk_i32 s2, 0x170
	v_mad_u32_u24 v17, v0, s2, v18
	ds_read_b128 v[13:16], v17
	ds_read_b128 v[19:22], v17 offset:16
	s_waitcnt lgkmcnt(0)
	v_add_f64 v[13:14], v[19:20], v[13:14]
	v_add_f64 v[15:16], v[21:22], v[15:16]
.LBB55_21:
	s_or_b64 exec, exec, s[0:1]
	s_branch .LBB55_34
.LBB55_22:
                                        ; implicit-def: $vgpr15_vgpr16
                                        ; implicit-def: $vgpr13_vgpr14
	s_cbranch_execz .LBB55_34
; %bb.23:
	s_movk_i32 s0, 0xc0
	v_cmp_gt_u32_e32 vcc, s0, v0
	s_and_saveexec_b64 s[0:1], vcc
	s_cbranch_execz .LBB55_25
; %bb.24:
	ds_read_b128 v[13:16], v18 offset:6144
	ds_read_b128 v[19:22], v18
	s_waitcnt lgkmcnt(0)
	v_add_f64 v[13:14], v[13:14], v[19:20]
	v_add_f64 v[15:16], v[15:16], v[21:22]
	ds_write_b128 v18, v[13:16]
.LBB55_25:
	s_or_b64 exec, exec, s[0:1]
	s_waitcnt lgkmcnt(0)
	s_barrier
	s_and_saveexec_b64 s[0:1], vcc
	s_cbranch_execz .LBB55_27
; %bb.26:
	ds_read_b128 v[13:16], v18 offset:3072
	ds_read_b128 v[19:22], v18
	s_waitcnt lgkmcnt(0)
	v_add_f64 v[13:14], v[13:14], v[19:20]
	v_add_f64 v[15:16], v[15:16], v[21:22]
	ds_write_b128 v18, v[13:16]
.LBB55_27:
	s_or_b64 exec, exec, s[0:1]
	s_movk_i32 s0, 0x60
	v_cmp_gt_u32_e32 vcc, s0, v0
	s_waitcnt lgkmcnt(0)
	s_barrier
	s_and_saveexec_b64 s[0:1], vcc
	s_cbranch_execz .LBB55_29
; %bb.28:
	ds_read_b128 v[13:16], v18 offset:1536
	ds_read_b128 v[19:22], v18
	s_waitcnt lgkmcnt(0)
	v_add_f64 v[13:14], v[13:14], v[19:20]
	v_add_f64 v[15:16], v[15:16], v[21:22]
	ds_write_b128 v18, v[13:16]
.LBB55_29:
	s_or_b64 exec, exec, s[0:1]
	v_cmp_gt_u32_e32 vcc, 48, v0
	s_waitcnt lgkmcnt(0)
	s_barrier
	s_and_saveexec_b64 s[0:1], vcc
	s_cbranch_execz .LBB55_31
; %bb.30:
	ds_read_b128 v[13:16], v18 offset:768
	ds_read_b128 v[19:22], v18
	s_waitcnt lgkmcnt(0)
	v_add_f64 v[13:14], v[13:14], v[19:20]
	v_add_f64 v[15:16], v[15:16], v[21:22]
	ds_write_b128 v18, v[13:16]
.LBB55_31:
	s_or_b64 exec, exec, s[0:1]
	v_cmp_gt_u32_e32 vcc, 24, v0
	s_waitcnt lgkmcnt(0)
	s_and_saveexec_b64 s[0:1], vcc
	s_cbranch_execz .LBB55_33
; %bb.32:
	ds_read_b128 v[9:12], v18 offset:384
	ds_read_b128 v[13:16], v18
	s_waitcnt lgkmcnt(0)
	v_add_f64 v[9:10], v[9:10], v[13:14]
	v_add_f64 v[11:12], v[11:12], v[15:16]
.LBB55_33:
	s_or_b64 exec, exec, s[0:1]
	v_mov_b32_e32 v16, v12
	v_mov_b32_e32 v14, v10
	;; [unrolled: 1-line block ×4, first 2 shown]
.LBB55_34:
	v_cmp_gt_u32_e32 vcc, 24, v0
	s_and_b64 exec, exec, vcc
	s_cbranch_execz .LBB55_39
; %bb.35:
	v_mul_f64 v[9:10], v[15:16], -v[7:8]
	v_mul_f64 v[11:12], v[5:6], v[15:16]
	v_cmp_eq_f64_e32 vcc, 0, v[1:2]
	v_cmp_eq_f64_e64 s[0:1], 0, v[3:4]
	v_fma_f64 v[5:6], v[5:6], v[13:14], v[9:10]
	v_fma_f64 v[7:8], v[7:8], v[13:14], v[11:12]
	s_and_b64 s[0:1], vcc, s[0:1]
	s_and_saveexec_b64 s[2:3], s[0:1]
	s_xor_b64 s[0:1], exec, s[2:3]
	s_cbranch_execz .LBB55_37
; %bb.36:
	v_mad_u64_u32 v[0:1], s[2:3], s6, 24, v[0:1]
	v_mov_b32_e32 v1, 0
	v_mov_b32_e32 v2, s13
	v_lshlrev_b64 v[0:1], 4, v[0:1]
	v_add_co_u32_e32 v0, vcc, s12, v0
	v_addc_co_u32_e32 v1, vcc, v2, v1, vcc
	global_store_dwordx4 v[0:1], v[5:8], off
                                        ; implicit-def: $vgpr0
                                        ; implicit-def: $vgpr1_vgpr2
                                        ; implicit-def: $vgpr5_vgpr6
.LBB55_37:
	s_andn2_saveexec_b64 s[0:1], s[0:1]
	s_cbranch_execz .LBB55_39
; %bb.38:
	v_mad_u64_u32 v[9:10], s[0:1], s6, 24, v[0:1]
	v_mov_b32_e32 v10, 0
	v_mov_b32_e32 v0, s13
	v_lshlrev_b64 v[9:10], 4, v[9:10]
	v_add_co_u32_e32 v13, vcc, s12, v9
	v_addc_co_u32_e32 v14, vcc, v0, v10, vcc
	global_load_dwordx4 v[9:12], v[13:14], off
	s_waitcnt vmcnt(0)
	v_fma_f64 v[5:6], v[1:2], v[9:10], v[5:6]
	v_fma_f64 v[7:8], v[3:4], v[9:10], v[7:8]
	v_fma_f64 v[3:4], -v[3:4], v[11:12], v[5:6]
	v_fma_f64 v[5:6], v[1:2], v[11:12], v[7:8]
	global_store_dwordx4 v[13:14], v[3:6], off
.LBB55_39:
	s_endpgm
	.section	.rodata,"a",@progbits
	.p2align	6, 0x0
	.amdhsa_kernel _ZN9rocsparseL20bsrxmvn_17_32_kernelILj24E21rocsparse_complex_numIdEiiS2_S2_S2_EEvT2_20rocsparse_direction_NS_24const_host_device_scalarIT0_EES3_PKS3_PKT1_SC_S9_PKT3_PKT4_S7_PT5_21rocsparse_index_base_b
		.amdhsa_group_segment_fixed_size 9216
		.amdhsa_private_segment_fixed_size 0
		.amdhsa_kernarg_size 112
		.amdhsa_user_sgpr_count 6
		.amdhsa_user_sgpr_private_segment_buffer 1
		.amdhsa_user_sgpr_dispatch_ptr 0
		.amdhsa_user_sgpr_queue_ptr 0
		.amdhsa_user_sgpr_kernarg_segment_ptr 1
		.amdhsa_user_sgpr_dispatch_id 0
		.amdhsa_user_sgpr_flat_scratch_init 0
		.amdhsa_user_sgpr_private_segment_size 0
		.amdhsa_uses_dynamic_stack 0
		.amdhsa_system_sgpr_private_segment_wavefront_offset 0
		.amdhsa_system_sgpr_workgroup_id_x 1
		.amdhsa_system_sgpr_workgroup_id_y 0
		.amdhsa_system_sgpr_workgroup_id_z 0
		.amdhsa_system_sgpr_workgroup_info 0
		.amdhsa_system_vgpr_workitem_id 0
		.amdhsa_next_free_vgpr 29
		.amdhsa_next_free_sgpr 61
		.amdhsa_reserve_vcc 1
		.amdhsa_reserve_flat_scratch 0
		.amdhsa_float_round_mode_32 0
		.amdhsa_float_round_mode_16_64 0
		.amdhsa_float_denorm_mode_32 3
		.amdhsa_float_denorm_mode_16_64 3
		.amdhsa_dx10_clamp 1
		.amdhsa_ieee_mode 1
		.amdhsa_fp16_overflow 0
		.amdhsa_exception_fp_ieee_invalid_op 0
		.amdhsa_exception_fp_denorm_src 0
		.amdhsa_exception_fp_ieee_div_zero 0
		.amdhsa_exception_fp_ieee_overflow 0
		.amdhsa_exception_fp_ieee_underflow 0
		.amdhsa_exception_fp_ieee_inexact 0
		.amdhsa_exception_int_div_zero 0
	.end_amdhsa_kernel
	.section	.text._ZN9rocsparseL20bsrxmvn_17_32_kernelILj24E21rocsparse_complex_numIdEiiS2_S2_S2_EEvT2_20rocsparse_direction_NS_24const_host_device_scalarIT0_EES3_PKS3_PKT1_SC_S9_PKT3_PKT4_S7_PT5_21rocsparse_index_base_b,"axG",@progbits,_ZN9rocsparseL20bsrxmvn_17_32_kernelILj24E21rocsparse_complex_numIdEiiS2_S2_S2_EEvT2_20rocsparse_direction_NS_24const_host_device_scalarIT0_EES3_PKS3_PKT1_SC_S9_PKT3_PKT4_S7_PT5_21rocsparse_index_base_b,comdat
.Lfunc_end55:
	.size	_ZN9rocsparseL20bsrxmvn_17_32_kernelILj24E21rocsparse_complex_numIdEiiS2_S2_S2_EEvT2_20rocsparse_direction_NS_24const_host_device_scalarIT0_EES3_PKS3_PKT1_SC_S9_PKT3_PKT4_S7_PT5_21rocsparse_index_base_b, .Lfunc_end55-_ZN9rocsparseL20bsrxmvn_17_32_kernelILj24E21rocsparse_complex_numIdEiiS2_S2_S2_EEvT2_20rocsparse_direction_NS_24const_host_device_scalarIT0_EES3_PKS3_PKT1_SC_S9_PKT3_PKT4_S7_PT5_21rocsparse_index_base_b
                                        ; -- End function
	.set _ZN9rocsparseL20bsrxmvn_17_32_kernelILj24E21rocsparse_complex_numIdEiiS2_S2_S2_EEvT2_20rocsparse_direction_NS_24const_host_device_scalarIT0_EES3_PKS3_PKT1_SC_S9_PKT3_PKT4_S7_PT5_21rocsparse_index_base_b.num_vgpr, 29
	.set _ZN9rocsparseL20bsrxmvn_17_32_kernelILj24E21rocsparse_complex_numIdEiiS2_S2_S2_EEvT2_20rocsparse_direction_NS_24const_host_device_scalarIT0_EES3_PKS3_PKT1_SC_S9_PKT3_PKT4_S7_PT5_21rocsparse_index_base_b.num_agpr, 0
	.set _ZN9rocsparseL20bsrxmvn_17_32_kernelILj24E21rocsparse_complex_numIdEiiS2_S2_S2_EEvT2_20rocsparse_direction_NS_24const_host_device_scalarIT0_EES3_PKS3_PKT1_SC_S9_PKT3_PKT4_S7_PT5_21rocsparse_index_base_b.numbered_sgpr, 18
	.set _ZN9rocsparseL20bsrxmvn_17_32_kernelILj24E21rocsparse_complex_numIdEiiS2_S2_S2_EEvT2_20rocsparse_direction_NS_24const_host_device_scalarIT0_EES3_PKS3_PKT1_SC_S9_PKT3_PKT4_S7_PT5_21rocsparse_index_base_b.num_named_barrier, 0
	.set _ZN9rocsparseL20bsrxmvn_17_32_kernelILj24E21rocsparse_complex_numIdEiiS2_S2_S2_EEvT2_20rocsparse_direction_NS_24const_host_device_scalarIT0_EES3_PKS3_PKT1_SC_S9_PKT3_PKT4_S7_PT5_21rocsparse_index_base_b.private_seg_size, 0
	.set _ZN9rocsparseL20bsrxmvn_17_32_kernelILj24E21rocsparse_complex_numIdEiiS2_S2_S2_EEvT2_20rocsparse_direction_NS_24const_host_device_scalarIT0_EES3_PKS3_PKT1_SC_S9_PKT3_PKT4_S7_PT5_21rocsparse_index_base_b.uses_vcc, 1
	.set _ZN9rocsparseL20bsrxmvn_17_32_kernelILj24E21rocsparse_complex_numIdEiiS2_S2_S2_EEvT2_20rocsparse_direction_NS_24const_host_device_scalarIT0_EES3_PKS3_PKT1_SC_S9_PKT3_PKT4_S7_PT5_21rocsparse_index_base_b.uses_flat_scratch, 0
	.set _ZN9rocsparseL20bsrxmvn_17_32_kernelILj24E21rocsparse_complex_numIdEiiS2_S2_S2_EEvT2_20rocsparse_direction_NS_24const_host_device_scalarIT0_EES3_PKS3_PKT1_SC_S9_PKT3_PKT4_S7_PT5_21rocsparse_index_base_b.has_dyn_sized_stack, 0
	.set _ZN9rocsparseL20bsrxmvn_17_32_kernelILj24E21rocsparse_complex_numIdEiiS2_S2_S2_EEvT2_20rocsparse_direction_NS_24const_host_device_scalarIT0_EES3_PKS3_PKT1_SC_S9_PKT3_PKT4_S7_PT5_21rocsparse_index_base_b.has_recursion, 0
	.set _ZN9rocsparseL20bsrxmvn_17_32_kernelILj24E21rocsparse_complex_numIdEiiS2_S2_S2_EEvT2_20rocsparse_direction_NS_24const_host_device_scalarIT0_EES3_PKS3_PKT1_SC_S9_PKT3_PKT4_S7_PT5_21rocsparse_index_base_b.has_indirect_call, 0
	.section	.AMDGPU.csdata,"",@progbits
; Kernel info:
; codeLenInByte = 1628
; TotalNumSgprs: 22
; NumVgprs: 29
; ScratchSize: 0
; MemoryBound: 0
; FloatMode: 240
; IeeeMode: 1
; LDSByteSize: 9216 bytes/workgroup (compile time only)
; SGPRBlocks: 8
; VGPRBlocks: 7
; NumSGPRsForWavesPerEU: 65
; NumVGPRsForWavesPerEU: 29
; Occupancy: 8
; WaveLimiterHint : 1
; COMPUTE_PGM_RSRC2:SCRATCH_EN: 0
; COMPUTE_PGM_RSRC2:USER_SGPR: 6
; COMPUTE_PGM_RSRC2:TRAP_HANDLER: 0
; COMPUTE_PGM_RSRC2:TGID_X_EN: 1
; COMPUTE_PGM_RSRC2:TGID_Y_EN: 0
; COMPUTE_PGM_RSRC2:TGID_Z_EN: 0
; COMPUTE_PGM_RSRC2:TIDIG_COMP_CNT: 0
	.section	.text._ZN9rocsparseL20bsrxmvn_17_32_kernelILj25E21rocsparse_complex_numIdEiiS2_S2_S2_EEvT2_20rocsparse_direction_NS_24const_host_device_scalarIT0_EES3_PKS3_PKT1_SC_S9_PKT3_PKT4_S7_PT5_21rocsparse_index_base_b,"axG",@progbits,_ZN9rocsparseL20bsrxmvn_17_32_kernelILj25E21rocsparse_complex_numIdEiiS2_S2_S2_EEvT2_20rocsparse_direction_NS_24const_host_device_scalarIT0_EES3_PKS3_PKT1_SC_S9_PKT3_PKT4_S7_PT5_21rocsparse_index_base_b,comdat
	.globl	_ZN9rocsparseL20bsrxmvn_17_32_kernelILj25E21rocsparse_complex_numIdEiiS2_S2_S2_EEvT2_20rocsparse_direction_NS_24const_host_device_scalarIT0_EES3_PKS3_PKT1_SC_S9_PKT3_PKT4_S7_PT5_21rocsparse_index_base_b ; -- Begin function _ZN9rocsparseL20bsrxmvn_17_32_kernelILj25E21rocsparse_complex_numIdEiiS2_S2_S2_EEvT2_20rocsparse_direction_NS_24const_host_device_scalarIT0_EES3_PKS3_PKT1_SC_S9_PKT3_PKT4_S7_PT5_21rocsparse_index_base_b
	.p2align	8
	.type	_ZN9rocsparseL20bsrxmvn_17_32_kernelILj25E21rocsparse_complex_numIdEiiS2_S2_S2_EEvT2_20rocsparse_direction_NS_24const_host_device_scalarIT0_EES3_PKS3_PKT1_SC_S9_PKT3_PKT4_S7_PT5_21rocsparse_index_base_b,@function
_ZN9rocsparseL20bsrxmvn_17_32_kernelILj25E21rocsparse_complex_numIdEiiS2_S2_S2_EEvT2_20rocsparse_direction_NS_24const_host_device_scalarIT0_EES3_PKS3_PKT1_SC_S9_PKT3_PKT4_S7_PT5_21rocsparse_index_base_b: ; @_ZN9rocsparseL20bsrxmvn_17_32_kernelILj25E21rocsparse_complex_numIdEiiS2_S2_S2_EEvT2_20rocsparse_direction_NS_24const_host_device_scalarIT0_EES3_PKS3_PKT1_SC_S9_PKT3_PKT4_S7_PT5_21rocsparse_index_base_b
; %bb.0:
	s_load_dwordx2 s[0:1], s[4:5], 0x8
	s_load_dwordx2 s[14:15], s[4:5], 0x68
	s_add_u32 s7, s4, 8
	s_addc_u32 s8, s5, 0
	s_add_u32 s9, s4, 0x50
	s_addc_u32 s10, s5, 0
	s_waitcnt lgkmcnt(0)
	s_bitcmp1_b32 s15, 0
	s_cselect_b32 s1, s8, s1
	s_cselect_b32 s0, s7, s0
	v_mov_b32_e32 v1, s0
	v_mov_b32_e32 v2, s1
	flat_load_dwordx4 v[5:8], v[1:2]
	s_load_dwordx2 s[2:3], s[4:5], 0x50
	s_waitcnt lgkmcnt(0)
	s_cselect_b32 s0, s10, s3
	s_cselect_b32 s1, s9, s2
	v_mov_b32_e32 v1, s1
	v_mov_b32_e32 v2, s0
	flat_load_dwordx4 v[1:4], v[1:2]
	s_waitcnt vmcnt(0)
	v_cmp_eq_f64_e32 vcc, 0, v[5:6]
	v_cmp_eq_f64_e64 s[0:1], 0, v[7:8]
	s_and_b64 s[8:9], vcc, s[0:1]
	s_mov_b64 s[0:1], -1
	s_and_saveexec_b64 s[2:3], s[8:9]
	s_cbranch_execz .LBB56_2
; %bb.1:
	s_waitcnt lgkmcnt(0)
	v_cmp_neq_f64_e32 vcc, 1.0, v[1:2]
	v_cmp_neq_f64_e64 s[0:1], 0, v[3:4]
	s_or_b64 s[0:1], vcc, s[0:1]
	s_orn2_b64 s[0:1], s[0:1], exec
.LBB56_2:
	s_or_b64 exec, exec, s[2:3]
	s_and_saveexec_b64 s[2:3], s[0:1]
	s_cbranch_execz .LBB56_39
; %bb.3:
	s_load_dwordx4 s[0:3], s[4:5], 0x20
	s_load_dwordx2 s[8:9], s[4:5], 0x30
	s_waitcnt lgkmcnt(0)
	s_cmp_eq_u64 s[0:1], 0
	s_cbranch_scc1 .LBB56_5
; %bb.4:
	s_ashr_i32 s7, s6, 31
	s_lshl_b64 s[6:7], s[6:7], 2
	s_add_u32 s0, s0, s6
	s_addc_u32 s1, s1, s7
	s_load_dword s0, s[0:1], 0x0
	s_waitcnt lgkmcnt(0)
	s_sub_i32 s6, s0, s14
.LBB56_5:
	s_load_dword s0, s[4:5], 0x4
	s_load_dwordx2 s[12:13], s[4:5], 0x60
	v_mul_u32_u24_e32 v13, 0xa3e, v0
	v_mov_b32_e32 v9, 25
	v_mul_lo_u16_sdwa v9, v13, v9 dst_sel:DWORD dst_unused:UNUSED_PAD src0_sel:WORD_1 src1_sel:DWORD
	s_waitcnt lgkmcnt(0)
	s_cmp_eq_u32 s0, 1
	s_cselect_b64 vcc, -1, 0
	s_cmp_lg_u32 s0, 1
	s_cselect_b64 s[16:17], -1, 0
	s_ashr_i32 s7, s6, 31
	s_lshl_b64 s[0:1], s[6:7], 2
	s_add_u32 s2, s2, s0
	s_addc_u32 s3, s3, s1
	s_load_dword s7, s[2:3], 0x0
	s_add_u32 s2, s2, 4
	s_addc_u32 s3, s3, 0
	s_add_u32 s0, s8, s0
	s_addc_u32 s1, s9, s1
	s_cmp_eq_u64 s[8:9], 0
	s_cselect_b32 s1, s3, s1
	s_cselect_b32 s0, s2, s0
	s_load_dword s0, s[0:1], 0x0
	v_sub_u16_e32 v19, v0, v9
	v_mov_b32_e32 v11, 0
	v_mov_b32_e32 v9, 0
	;; [unrolled: 1-line block ×3, first 2 shown]
	s_waitcnt lgkmcnt(0)
	s_cmp_ge_i32 s7, s0
	v_mov_b32_e32 v10, 0
	v_lshlrev_b32_e32 v18, 4, v0
	s_cbranch_scc1 .LBB56_10
; %bb.6:
	s_load_dwordx2 s[2:3], s[4:5], 0x48
	s_load_dwordx4 s[8:11], s[4:5], 0x38
	s_sub_i32 s4, s0, s14
	s_mov_b32 s0, 0xffff
	s_movk_i32 s1, 0x271
	v_and_b32_sdwa v9, s0, v13 dst_sel:DWORD dst_unused:UNUSED_PAD src0_sel:DWORD src1_sel:WORD_1
	v_subrev_u32_e32 v10, 25, v9
	v_cmp_gt_u32_e64 s[0:1], s1, v0
	s_sub_i32 s5, s7, s14
	v_cndmask_b32_e64 v9, v10, v9, s[0:1]
	s_mul_i32 s1, s5, 0x2710
	s_mul_hi_i32 s0, s5, 0x2710
	s_waitcnt lgkmcnt(0)
	s_add_u32 s1, s10, s1
	s_addc_u32 s0, s11, s0
	v_cndmask_b32_e32 v13, v19, v9, vcc
	v_mov_b32_e32 v9, s0
	v_add_co_u32_e32 v14, vcc, s1, v18
	v_addc_co_u32_e32 v15, vcc, 0, v9, vcc
	s_movk_i32 s0, 0x270
	v_mov_b32_e32 v11, 0
	v_mov_b32_e32 v12, 0
	v_cmp_lt_u32_e32 vcc, s0, v0
	v_mov_b32_e32 v9, v11
	v_cndmask_b32_e64 v20, 0, 1, vcc
	v_mov_b32_e32 v10, v12
	s_branch .LBB56_8
.LBB56_7:                               ;   in Loop: Header=BB56_8 Depth=1
	s_or_b64 exec, exec, s[0:1]
	s_add_i32 s5, s5, 1
	s_cmp_lt_i32 s5, s4
	s_cbranch_scc0 .LBB56_10
.LBB56_8:                               ; =>This Inner Loop Header: Depth=1
	v_add_u32_e32 v16, s5, v20
	v_cmp_gt_i32_e32 vcc, s4, v16
	s_and_saveexec_b64 s[0:1], vcc
	s_cbranch_execz .LBB56_7
; %bb.9:                                ;   in Loop: Header=BB56_8 Depth=1
	v_ashrrev_i32_e32 v17, 31, v16
	v_lshlrev_b64 v[16:17], 2, v[16:17]
	v_mov_b32_e32 v21, s9
	v_add_co_u32_e32 v16, vcc, s8, v16
	v_addc_co_u32_e32 v17, vcc, v21, v17, vcc
	global_load_dword v16, v[16:17], off
	v_mov_b32_e32 v25, s3
	global_load_dwordx4 v[21:24], v[14:15], off
	s_waitcnt vmcnt(1)
	v_subrev_u32_e32 v16, s14, v16
	v_mad_u64_u32 v[16:17], s[10:11], v16, 25, v[13:14]
	v_ashrrev_i32_e32 v17, 31, v16
	v_lshlrev_b64 v[16:17], 4, v[16:17]
	v_add_co_u32_e32 v16, vcc, s2, v16
	v_addc_co_u32_e32 v17, vcc, v25, v17, vcc
	global_load_dwordx4 v[25:28], v[16:17], off
	v_add_co_u32_e32 v14, vcc, 0x2710, v14
	v_addc_co_u32_e32 v15, vcc, 0, v15, vcc
	s_waitcnt vmcnt(0)
	v_fma_f64 v[9:10], v[21:22], v[25:26], v[9:10]
	v_fma_f64 v[11:12], v[23:24], v[25:26], v[11:12]
	v_fma_f64 v[9:10], -v[23:24], v[27:28], v[9:10]
	v_fma_f64 v[11:12], v[21:22], v[27:28], v[11:12]
	s_branch .LBB56_7
.LBB56_10:
	s_and_b64 vcc, exec, s[16:17]
	ds_write_b128 v18, v[9:12]
	s_waitcnt lgkmcnt(0)
	s_barrier
	s_cbranch_vccz .LBB56_22
; %bb.11:
	v_cmp_gt_u16_e32 vcc, 9, v19
	s_and_saveexec_b64 s[0:1], vcc
	s_cbranch_execz .LBB56_13
; %bb.12:
	ds_read_b128 v[13:16], v18 offset:256
	ds_read_b128 v[20:23], v18
	s_waitcnt lgkmcnt(0)
	v_add_f64 v[13:14], v[13:14], v[20:21]
	v_add_f64 v[15:16], v[15:16], v[22:23]
	ds_write_b128 v18, v[13:16]
.LBB56_13:
	s_or_b64 exec, exec, s[0:1]
	v_cmp_gt_u16_e32 vcc, 8, v19
	s_waitcnt lgkmcnt(0)
	s_barrier
	s_and_saveexec_b64 s[0:1], vcc
	s_cbranch_execz .LBB56_15
; %bb.14:
	ds_read_b128 v[13:16], v18 offset:128
	ds_read_b128 v[20:23], v18
	s_waitcnt lgkmcnt(0)
	v_add_f64 v[13:14], v[13:14], v[20:21]
	v_add_f64 v[15:16], v[15:16], v[22:23]
	ds_write_b128 v18, v[13:16]
.LBB56_15:
	s_or_b64 exec, exec, s[0:1]
	v_cmp_gt_u16_e32 vcc, 4, v19
	s_waitcnt lgkmcnt(0)
	s_barrier
	;; [unrolled: 14-line block ×3, first 2 shown]
	s_and_saveexec_b64 s[0:1], vcc
	s_cbranch_execz .LBB56_19
; %bb.18:
	ds_read_b128 v[13:16], v18
	ds_read_b128 v[19:22], v18 offset:32
	s_waitcnt lgkmcnt(0)
	v_add_f64 v[13:14], v[19:20], v[13:14]
	v_add_f64 v[15:16], v[21:22], v[15:16]
	ds_write_b128 v18, v[13:16]
.LBB56_19:
	s_or_b64 exec, exec, s[0:1]
	v_mov_b32_e32 v16, v12
	v_mov_b32_e32 v14, v10
	v_cmp_gt_u32_e32 vcc, 25, v0
	v_mov_b32_e32 v15, v11
	v_mov_b32_e32 v13, v9
	s_waitcnt lgkmcnt(0)
	s_barrier
	s_and_saveexec_b64 s[0:1], vcc
	s_cbranch_execz .LBB56_21
; %bb.20:
	s_movk_i32 s2, 0x180
	v_mad_u32_u24 v17, v0, s2, v18
	ds_read_b128 v[13:16], v17
	ds_read_b128 v[19:22], v17 offset:16
	s_waitcnt lgkmcnt(0)
	v_add_f64 v[13:14], v[19:20], v[13:14]
	v_add_f64 v[15:16], v[21:22], v[15:16]
.LBB56_21:
	s_or_b64 exec, exec, s[0:1]
	s_branch .LBB56_34
.LBB56_22:
                                        ; implicit-def: $vgpr15_vgpr16
                                        ; implicit-def: $vgpr13_vgpr14
	s_cbranch_execz .LBB56_34
; %bb.23:
	s_movk_i32 s0, 0xe1
	v_cmp_gt_u32_e32 vcc, s0, v0
	s_and_saveexec_b64 s[0:1], vcc
	s_cbranch_execz .LBB56_25
; %bb.24:
	ds_read_b128 v[13:16], v18 offset:6400
	ds_read_b128 v[19:22], v18
	s_waitcnt lgkmcnt(0)
	v_add_f64 v[13:14], v[13:14], v[19:20]
	v_add_f64 v[15:16], v[15:16], v[21:22]
	ds_write_b128 v18, v[13:16]
.LBB56_25:
	s_or_b64 exec, exec, s[0:1]
	s_movk_i32 s0, 0xc8
	v_cmp_gt_u32_e32 vcc, s0, v0
	s_waitcnt lgkmcnt(0)
	s_barrier
	s_and_saveexec_b64 s[0:1], vcc
	s_cbranch_execz .LBB56_27
; %bb.26:
	ds_read_b128 v[13:16], v18 offset:3200
	ds_read_b128 v[19:22], v18
	s_waitcnt lgkmcnt(0)
	v_add_f64 v[13:14], v[13:14], v[19:20]
	v_add_f64 v[15:16], v[15:16], v[21:22]
	ds_write_b128 v18, v[13:16]
.LBB56_27:
	s_or_b64 exec, exec, s[0:1]
	s_movk_i32 s0, 0x64
	v_cmp_gt_u32_e32 vcc, s0, v0
	s_waitcnt lgkmcnt(0)
	s_barrier
	s_and_saveexec_b64 s[0:1], vcc
	s_cbranch_execz .LBB56_29
; %bb.28:
	ds_read_b128 v[13:16], v18 offset:1600
	ds_read_b128 v[19:22], v18
	s_waitcnt lgkmcnt(0)
	v_add_f64 v[13:14], v[13:14], v[19:20]
	v_add_f64 v[15:16], v[15:16], v[21:22]
	ds_write_b128 v18, v[13:16]
.LBB56_29:
	s_or_b64 exec, exec, s[0:1]
	v_cmp_gt_u32_e32 vcc, 50, v0
	s_waitcnt lgkmcnt(0)
	s_barrier
	s_and_saveexec_b64 s[0:1], vcc
	s_cbranch_execz .LBB56_31
; %bb.30:
	ds_read_b128 v[13:16], v18 offset:800
	ds_read_b128 v[19:22], v18
	s_waitcnt lgkmcnt(0)
	v_add_f64 v[13:14], v[13:14], v[19:20]
	v_add_f64 v[15:16], v[15:16], v[21:22]
	ds_write_b128 v18, v[13:16]
.LBB56_31:
	s_or_b64 exec, exec, s[0:1]
	v_cmp_gt_u32_e32 vcc, 25, v0
	s_waitcnt lgkmcnt(0)
	s_and_saveexec_b64 s[0:1], vcc
	s_cbranch_execz .LBB56_33
; %bb.32:
	ds_read_b128 v[9:12], v18 offset:400
	ds_read_b128 v[13:16], v18
	s_waitcnt lgkmcnt(0)
	v_add_f64 v[9:10], v[9:10], v[13:14]
	v_add_f64 v[11:12], v[11:12], v[15:16]
.LBB56_33:
	s_or_b64 exec, exec, s[0:1]
	v_mov_b32_e32 v16, v12
	v_mov_b32_e32 v14, v10
	;; [unrolled: 1-line block ×4, first 2 shown]
.LBB56_34:
	v_cmp_gt_u32_e32 vcc, 25, v0
	s_and_b64 exec, exec, vcc
	s_cbranch_execz .LBB56_39
; %bb.35:
	v_mul_f64 v[9:10], v[15:16], -v[7:8]
	v_mul_f64 v[11:12], v[5:6], v[15:16]
	v_cmp_eq_f64_e32 vcc, 0, v[1:2]
	v_cmp_eq_f64_e64 s[0:1], 0, v[3:4]
	v_fma_f64 v[5:6], v[5:6], v[13:14], v[9:10]
	v_fma_f64 v[7:8], v[7:8], v[13:14], v[11:12]
	s_and_b64 s[0:1], vcc, s[0:1]
	s_and_saveexec_b64 s[2:3], s[0:1]
	s_xor_b64 s[0:1], exec, s[2:3]
	s_cbranch_execz .LBB56_37
; %bb.36:
	v_mad_u64_u32 v[0:1], s[2:3], s6, 25, v[0:1]
	v_mov_b32_e32 v1, 0
	v_mov_b32_e32 v2, s13
	v_lshlrev_b64 v[0:1], 4, v[0:1]
	v_add_co_u32_e32 v0, vcc, s12, v0
	v_addc_co_u32_e32 v1, vcc, v2, v1, vcc
	global_store_dwordx4 v[0:1], v[5:8], off
                                        ; implicit-def: $vgpr0
                                        ; implicit-def: $vgpr1_vgpr2
                                        ; implicit-def: $vgpr5_vgpr6
.LBB56_37:
	s_andn2_saveexec_b64 s[0:1], s[0:1]
	s_cbranch_execz .LBB56_39
; %bb.38:
	v_mad_u64_u32 v[9:10], s[0:1], s6, 25, v[0:1]
	v_mov_b32_e32 v10, 0
	v_mov_b32_e32 v0, s13
	v_lshlrev_b64 v[9:10], 4, v[9:10]
	v_add_co_u32_e32 v13, vcc, s12, v9
	v_addc_co_u32_e32 v14, vcc, v0, v10, vcc
	global_load_dwordx4 v[9:12], v[13:14], off
	s_waitcnt vmcnt(0)
	v_fma_f64 v[5:6], v[1:2], v[9:10], v[5:6]
	v_fma_f64 v[7:8], v[3:4], v[9:10], v[7:8]
	v_fma_f64 v[3:4], -v[3:4], v[11:12], v[5:6]
	v_fma_f64 v[5:6], v[1:2], v[11:12], v[7:8]
	global_store_dwordx4 v[13:14], v[3:6], off
.LBB56_39:
	s_endpgm
	.section	.rodata,"a",@progbits
	.p2align	6, 0x0
	.amdhsa_kernel _ZN9rocsparseL20bsrxmvn_17_32_kernelILj25E21rocsparse_complex_numIdEiiS2_S2_S2_EEvT2_20rocsparse_direction_NS_24const_host_device_scalarIT0_EES3_PKS3_PKT1_SC_S9_PKT3_PKT4_S7_PT5_21rocsparse_index_base_b
		.amdhsa_group_segment_fixed_size 10000
		.amdhsa_private_segment_fixed_size 0
		.amdhsa_kernarg_size 112
		.amdhsa_user_sgpr_count 6
		.amdhsa_user_sgpr_private_segment_buffer 1
		.amdhsa_user_sgpr_dispatch_ptr 0
		.amdhsa_user_sgpr_queue_ptr 0
		.amdhsa_user_sgpr_kernarg_segment_ptr 1
		.amdhsa_user_sgpr_dispatch_id 0
		.amdhsa_user_sgpr_flat_scratch_init 0
		.amdhsa_user_sgpr_private_segment_size 0
		.amdhsa_uses_dynamic_stack 0
		.amdhsa_system_sgpr_private_segment_wavefront_offset 0
		.amdhsa_system_sgpr_workgroup_id_x 1
		.amdhsa_system_sgpr_workgroup_id_y 0
		.amdhsa_system_sgpr_workgroup_id_z 0
		.amdhsa_system_sgpr_workgroup_info 0
		.amdhsa_system_vgpr_workitem_id 0
		.amdhsa_next_free_vgpr 29
		.amdhsa_next_free_sgpr 18
		.amdhsa_reserve_vcc 1
		.amdhsa_reserve_flat_scratch 0
		.amdhsa_float_round_mode_32 0
		.amdhsa_float_round_mode_16_64 0
		.amdhsa_float_denorm_mode_32 3
		.amdhsa_float_denorm_mode_16_64 3
		.amdhsa_dx10_clamp 1
		.amdhsa_ieee_mode 1
		.amdhsa_fp16_overflow 0
		.amdhsa_exception_fp_ieee_invalid_op 0
		.amdhsa_exception_fp_denorm_src 0
		.amdhsa_exception_fp_ieee_div_zero 0
		.amdhsa_exception_fp_ieee_overflow 0
		.amdhsa_exception_fp_ieee_underflow 0
		.amdhsa_exception_fp_ieee_inexact 0
		.amdhsa_exception_int_div_zero 0
	.end_amdhsa_kernel
	.section	.text._ZN9rocsparseL20bsrxmvn_17_32_kernelILj25E21rocsparse_complex_numIdEiiS2_S2_S2_EEvT2_20rocsparse_direction_NS_24const_host_device_scalarIT0_EES3_PKS3_PKT1_SC_S9_PKT3_PKT4_S7_PT5_21rocsparse_index_base_b,"axG",@progbits,_ZN9rocsparseL20bsrxmvn_17_32_kernelILj25E21rocsparse_complex_numIdEiiS2_S2_S2_EEvT2_20rocsparse_direction_NS_24const_host_device_scalarIT0_EES3_PKS3_PKT1_SC_S9_PKT3_PKT4_S7_PT5_21rocsparse_index_base_b,comdat
.Lfunc_end56:
	.size	_ZN9rocsparseL20bsrxmvn_17_32_kernelILj25E21rocsparse_complex_numIdEiiS2_S2_S2_EEvT2_20rocsparse_direction_NS_24const_host_device_scalarIT0_EES3_PKS3_PKT1_SC_S9_PKT3_PKT4_S7_PT5_21rocsparse_index_base_b, .Lfunc_end56-_ZN9rocsparseL20bsrxmvn_17_32_kernelILj25E21rocsparse_complex_numIdEiiS2_S2_S2_EEvT2_20rocsparse_direction_NS_24const_host_device_scalarIT0_EES3_PKS3_PKT1_SC_S9_PKT3_PKT4_S7_PT5_21rocsparse_index_base_b
                                        ; -- End function
	.set _ZN9rocsparseL20bsrxmvn_17_32_kernelILj25E21rocsparse_complex_numIdEiiS2_S2_S2_EEvT2_20rocsparse_direction_NS_24const_host_device_scalarIT0_EES3_PKS3_PKT1_SC_S9_PKT3_PKT4_S7_PT5_21rocsparse_index_base_b.num_vgpr, 29
	.set _ZN9rocsparseL20bsrxmvn_17_32_kernelILj25E21rocsparse_complex_numIdEiiS2_S2_S2_EEvT2_20rocsparse_direction_NS_24const_host_device_scalarIT0_EES3_PKS3_PKT1_SC_S9_PKT3_PKT4_S7_PT5_21rocsparse_index_base_b.num_agpr, 0
	.set _ZN9rocsparseL20bsrxmvn_17_32_kernelILj25E21rocsparse_complex_numIdEiiS2_S2_S2_EEvT2_20rocsparse_direction_NS_24const_host_device_scalarIT0_EES3_PKS3_PKT1_SC_S9_PKT3_PKT4_S7_PT5_21rocsparse_index_base_b.numbered_sgpr, 18
	.set _ZN9rocsparseL20bsrxmvn_17_32_kernelILj25E21rocsparse_complex_numIdEiiS2_S2_S2_EEvT2_20rocsparse_direction_NS_24const_host_device_scalarIT0_EES3_PKS3_PKT1_SC_S9_PKT3_PKT4_S7_PT5_21rocsparse_index_base_b.num_named_barrier, 0
	.set _ZN9rocsparseL20bsrxmvn_17_32_kernelILj25E21rocsparse_complex_numIdEiiS2_S2_S2_EEvT2_20rocsparse_direction_NS_24const_host_device_scalarIT0_EES3_PKS3_PKT1_SC_S9_PKT3_PKT4_S7_PT5_21rocsparse_index_base_b.private_seg_size, 0
	.set _ZN9rocsparseL20bsrxmvn_17_32_kernelILj25E21rocsparse_complex_numIdEiiS2_S2_S2_EEvT2_20rocsparse_direction_NS_24const_host_device_scalarIT0_EES3_PKS3_PKT1_SC_S9_PKT3_PKT4_S7_PT5_21rocsparse_index_base_b.uses_vcc, 1
	.set _ZN9rocsparseL20bsrxmvn_17_32_kernelILj25E21rocsparse_complex_numIdEiiS2_S2_S2_EEvT2_20rocsparse_direction_NS_24const_host_device_scalarIT0_EES3_PKS3_PKT1_SC_S9_PKT3_PKT4_S7_PT5_21rocsparse_index_base_b.uses_flat_scratch, 0
	.set _ZN9rocsparseL20bsrxmvn_17_32_kernelILj25E21rocsparse_complex_numIdEiiS2_S2_S2_EEvT2_20rocsparse_direction_NS_24const_host_device_scalarIT0_EES3_PKS3_PKT1_SC_S9_PKT3_PKT4_S7_PT5_21rocsparse_index_base_b.has_dyn_sized_stack, 0
	.set _ZN9rocsparseL20bsrxmvn_17_32_kernelILj25E21rocsparse_complex_numIdEiiS2_S2_S2_EEvT2_20rocsparse_direction_NS_24const_host_device_scalarIT0_EES3_PKS3_PKT1_SC_S9_PKT3_PKT4_S7_PT5_21rocsparse_index_base_b.has_recursion, 0
	.set _ZN9rocsparseL20bsrxmvn_17_32_kernelILj25E21rocsparse_complex_numIdEiiS2_S2_S2_EEvT2_20rocsparse_direction_NS_24const_host_device_scalarIT0_EES3_PKS3_PKT1_SC_S9_PKT3_PKT4_S7_PT5_21rocsparse_index_base_b.has_indirect_call, 0
	.section	.AMDGPU.csdata,"",@progbits
; Kernel info:
; codeLenInByte = 1640
; TotalNumSgprs: 22
; NumVgprs: 29
; ScratchSize: 0
; MemoryBound: 0
; FloatMode: 240
; IeeeMode: 1
; LDSByteSize: 10000 bytes/workgroup (compile time only)
; SGPRBlocks: 2
; VGPRBlocks: 7
; NumSGPRsForWavesPerEU: 22
; NumVGPRsForWavesPerEU: 29
; Occupancy: 8
; WaveLimiterHint : 1
; COMPUTE_PGM_RSRC2:SCRATCH_EN: 0
; COMPUTE_PGM_RSRC2:USER_SGPR: 6
; COMPUTE_PGM_RSRC2:TRAP_HANDLER: 0
; COMPUTE_PGM_RSRC2:TGID_X_EN: 1
; COMPUTE_PGM_RSRC2:TGID_Y_EN: 0
; COMPUTE_PGM_RSRC2:TGID_Z_EN: 0
; COMPUTE_PGM_RSRC2:TIDIG_COMP_CNT: 0
	.section	.text._ZN9rocsparseL20bsrxmvn_17_32_kernelILj26E21rocsparse_complex_numIdEiiS2_S2_S2_EEvT2_20rocsparse_direction_NS_24const_host_device_scalarIT0_EES3_PKS3_PKT1_SC_S9_PKT3_PKT4_S7_PT5_21rocsparse_index_base_b,"axG",@progbits,_ZN9rocsparseL20bsrxmvn_17_32_kernelILj26E21rocsparse_complex_numIdEiiS2_S2_S2_EEvT2_20rocsparse_direction_NS_24const_host_device_scalarIT0_EES3_PKS3_PKT1_SC_S9_PKT3_PKT4_S7_PT5_21rocsparse_index_base_b,comdat
	.globl	_ZN9rocsparseL20bsrxmvn_17_32_kernelILj26E21rocsparse_complex_numIdEiiS2_S2_S2_EEvT2_20rocsparse_direction_NS_24const_host_device_scalarIT0_EES3_PKS3_PKT1_SC_S9_PKT3_PKT4_S7_PT5_21rocsparse_index_base_b ; -- Begin function _ZN9rocsparseL20bsrxmvn_17_32_kernelILj26E21rocsparse_complex_numIdEiiS2_S2_S2_EEvT2_20rocsparse_direction_NS_24const_host_device_scalarIT0_EES3_PKS3_PKT1_SC_S9_PKT3_PKT4_S7_PT5_21rocsparse_index_base_b
	.p2align	8
	.type	_ZN9rocsparseL20bsrxmvn_17_32_kernelILj26E21rocsparse_complex_numIdEiiS2_S2_S2_EEvT2_20rocsparse_direction_NS_24const_host_device_scalarIT0_EES3_PKS3_PKT1_SC_S9_PKT3_PKT4_S7_PT5_21rocsparse_index_base_b,@function
_ZN9rocsparseL20bsrxmvn_17_32_kernelILj26E21rocsparse_complex_numIdEiiS2_S2_S2_EEvT2_20rocsparse_direction_NS_24const_host_device_scalarIT0_EES3_PKS3_PKT1_SC_S9_PKT3_PKT4_S7_PT5_21rocsparse_index_base_b: ; @_ZN9rocsparseL20bsrxmvn_17_32_kernelILj26E21rocsparse_complex_numIdEiiS2_S2_S2_EEvT2_20rocsparse_direction_NS_24const_host_device_scalarIT0_EES3_PKS3_PKT1_SC_S9_PKT3_PKT4_S7_PT5_21rocsparse_index_base_b
; %bb.0:
	s_load_dwordx2 s[0:1], s[4:5], 0x8
	s_load_dwordx2 s[14:15], s[4:5], 0x68
	s_add_u32 s7, s4, 8
	s_addc_u32 s8, s5, 0
	s_add_u32 s9, s4, 0x50
	s_addc_u32 s10, s5, 0
	s_waitcnt lgkmcnt(0)
	s_bitcmp1_b32 s15, 0
	s_cselect_b32 s1, s8, s1
	s_cselect_b32 s0, s7, s0
	v_mov_b32_e32 v1, s0
	v_mov_b32_e32 v2, s1
	flat_load_dwordx4 v[5:8], v[1:2]
	s_load_dwordx2 s[2:3], s[4:5], 0x50
	s_waitcnt lgkmcnt(0)
	s_cselect_b32 s0, s10, s3
	s_cselect_b32 s1, s9, s2
	v_mov_b32_e32 v1, s1
	v_mov_b32_e32 v2, s0
	flat_load_dwordx4 v[1:4], v[1:2]
	s_waitcnt vmcnt(0)
	v_cmp_eq_f64_e32 vcc, 0, v[5:6]
	v_cmp_eq_f64_e64 s[0:1], 0, v[7:8]
	s_and_b64 s[8:9], vcc, s[0:1]
	s_mov_b64 s[0:1], -1
	s_and_saveexec_b64 s[2:3], s[8:9]
	s_cbranch_execz .LBB57_2
; %bb.1:
	s_waitcnt lgkmcnt(0)
	v_cmp_neq_f64_e32 vcc, 1.0, v[1:2]
	v_cmp_neq_f64_e64 s[0:1], 0, v[3:4]
	s_or_b64 s[0:1], vcc, s[0:1]
	s_orn2_b64 s[0:1], s[0:1], exec
.LBB57_2:
	s_or_b64 exec, exec, s[2:3]
	s_and_saveexec_b64 s[2:3], s[0:1]
	s_cbranch_execz .LBB57_39
; %bb.3:
	s_load_dwordx4 s[0:3], s[4:5], 0x20
	s_load_dwordx2 s[8:9], s[4:5], 0x30
	s_waitcnt lgkmcnt(0)
	s_cmp_eq_u64 s[0:1], 0
	s_cbranch_scc1 .LBB57_5
; %bb.4:
	s_ashr_i32 s7, s6, 31
	s_lshl_b64 s[6:7], s[6:7], 2
	s_add_u32 s0, s0, s6
	s_addc_u32 s1, s1, s7
	s_load_dword s0, s[0:1], 0x0
	s_waitcnt lgkmcnt(0)
	s_sub_i32 s6, s0, s14
.LBB57_5:
	s_load_dword s0, s[4:5], 0x4
	s_load_dwordx2 s[12:13], s[4:5], 0x60
	v_mul_u32_u24_e32 v13, 0x9d9, v0
	v_mov_b32_e32 v9, 26
	v_mul_lo_u16_sdwa v9, v13, v9 dst_sel:DWORD dst_unused:UNUSED_PAD src0_sel:WORD_1 src1_sel:DWORD
	s_waitcnt lgkmcnt(0)
	s_cmp_eq_u32 s0, 1
	s_cselect_b64 vcc, -1, 0
	s_cmp_lg_u32 s0, 1
	s_cselect_b64 s[16:17], -1, 0
	s_ashr_i32 s7, s6, 31
	s_lshl_b64 s[0:1], s[6:7], 2
	s_add_u32 s2, s2, s0
	s_addc_u32 s3, s3, s1
	s_load_dword s7, s[2:3], 0x0
	s_add_u32 s2, s2, 4
	s_addc_u32 s3, s3, 0
	s_add_u32 s0, s8, s0
	s_addc_u32 s1, s9, s1
	s_cmp_eq_u64 s[8:9], 0
	s_cselect_b32 s1, s3, s1
	s_cselect_b32 s0, s2, s0
	s_load_dword s0, s[0:1], 0x0
	v_sub_u16_e32 v19, v0, v9
	v_mov_b32_e32 v11, 0
	v_mov_b32_e32 v9, 0
	;; [unrolled: 1-line block ×3, first 2 shown]
	s_waitcnt lgkmcnt(0)
	s_cmp_ge_i32 s7, s0
	v_mov_b32_e32 v10, 0
	v_lshlrev_b32_e32 v18, 4, v0
	s_cbranch_scc1 .LBB57_10
; %bb.6:
	s_load_dwordx2 s[2:3], s[4:5], 0x48
	s_load_dwordx4 s[8:11], s[4:5], 0x38
	s_sub_i32 s4, s0, s14
	s_mov_b32 s0, 0xffff
	s_movk_i32 s1, 0x2a4
	v_and_b32_sdwa v9, s0, v13 dst_sel:DWORD dst_unused:UNUSED_PAD src0_sel:DWORD src1_sel:WORD_1
	v_subrev_u32_e32 v10, 26, v9
	v_cmp_gt_u32_e64 s[0:1], s1, v0
	s_sub_i32 s5, s7, s14
	v_cndmask_b32_e64 v9, v10, v9, s[0:1]
	s_mul_i32 s1, s5, 0x2a40
	s_mul_hi_i32 s0, s5, 0x2a40
	s_waitcnt lgkmcnt(0)
	s_add_u32 s1, s10, s1
	s_addc_u32 s0, s11, s0
	v_cndmask_b32_e32 v13, v19, v9, vcc
	v_mov_b32_e32 v9, s0
	v_add_co_u32_e32 v14, vcc, s1, v18
	v_addc_co_u32_e32 v15, vcc, 0, v9, vcc
	s_movk_i32 s0, 0x2a3
	v_mov_b32_e32 v11, 0
	v_mov_b32_e32 v12, 0
	v_cmp_lt_u32_e32 vcc, s0, v0
	v_mov_b32_e32 v9, v11
	v_cndmask_b32_e64 v20, 0, 1, vcc
	v_mov_b32_e32 v10, v12
	s_branch .LBB57_8
.LBB57_7:                               ;   in Loop: Header=BB57_8 Depth=1
	s_or_b64 exec, exec, s[0:1]
	s_add_i32 s5, s5, 1
	s_cmp_lt_i32 s5, s4
	s_cbranch_scc0 .LBB57_10
.LBB57_8:                               ; =>This Inner Loop Header: Depth=1
	v_add_u32_e32 v16, s5, v20
	v_cmp_gt_i32_e32 vcc, s4, v16
	s_and_saveexec_b64 s[0:1], vcc
	s_cbranch_execz .LBB57_7
; %bb.9:                                ;   in Loop: Header=BB57_8 Depth=1
	v_ashrrev_i32_e32 v17, 31, v16
	v_lshlrev_b64 v[16:17], 2, v[16:17]
	v_mov_b32_e32 v21, s9
	v_add_co_u32_e32 v16, vcc, s8, v16
	v_addc_co_u32_e32 v17, vcc, v21, v17, vcc
	global_load_dword v16, v[16:17], off
	v_mov_b32_e32 v25, s3
	global_load_dwordx4 v[21:24], v[14:15], off
	s_waitcnt vmcnt(1)
	v_subrev_u32_e32 v16, s14, v16
	v_mad_u64_u32 v[16:17], s[10:11], v16, 26, v[13:14]
	v_ashrrev_i32_e32 v17, 31, v16
	v_lshlrev_b64 v[16:17], 4, v[16:17]
	v_add_co_u32_e32 v16, vcc, s2, v16
	v_addc_co_u32_e32 v17, vcc, v25, v17, vcc
	global_load_dwordx4 v[25:28], v[16:17], off
	v_add_co_u32_e32 v14, vcc, 0x2a40, v14
	v_addc_co_u32_e32 v15, vcc, 0, v15, vcc
	s_waitcnt vmcnt(0)
	v_fma_f64 v[9:10], v[21:22], v[25:26], v[9:10]
	v_fma_f64 v[11:12], v[23:24], v[25:26], v[11:12]
	v_fma_f64 v[9:10], -v[23:24], v[27:28], v[9:10]
	v_fma_f64 v[11:12], v[21:22], v[27:28], v[11:12]
	s_branch .LBB57_7
.LBB57_10:
	s_and_b64 vcc, exec, s[16:17]
	ds_write_b128 v18, v[9:12]
	s_waitcnt lgkmcnt(0)
	s_barrier
	s_cbranch_vccz .LBB57_22
; %bb.11:
	v_cmp_gt_u16_e32 vcc, 10, v19
	s_and_saveexec_b64 s[0:1], vcc
	s_cbranch_execz .LBB57_13
; %bb.12:
	ds_read_b128 v[13:16], v18 offset:256
	ds_read_b128 v[20:23], v18
	s_waitcnt lgkmcnt(0)
	v_add_f64 v[13:14], v[13:14], v[20:21]
	v_add_f64 v[15:16], v[15:16], v[22:23]
	ds_write_b128 v18, v[13:16]
.LBB57_13:
	s_or_b64 exec, exec, s[0:1]
	v_cmp_gt_u16_e32 vcc, 8, v19
	s_waitcnt lgkmcnt(0)
	s_barrier
	s_and_saveexec_b64 s[0:1], vcc
	s_cbranch_execz .LBB57_15
; %bb.14:
	ds_read_b128 v[13:16], v18 offset:128
	ds_read_b128 v[20:23], v18
	s_waitcnt lgkmcnt(0)
	v_add_f64 v[13:14], v[13:14], v[20:21]
	v_add_f64 v[15:16], v[15:16], v[22:23]
	ds_write_b128 v18, v[13:16]
.LBB57_15:
	s_or_b64 exec, exec, s[0:1]
	v_cmp_gt_u16_e32 vcc, 4, v19
	s_waitcnt lgkmcnt(0)
	s_barrier
	;; [unrolled: 14-line block ×3, first 2 shown]
	s_and_saveexec_b64 s[0:1], vcc
	s_cbranch_execz .LBB57_19
; %bb.18:
	ds_read_b128 v[13:16], v18
	ds_read_b128 v[19:22], v18 offset:32
	s_waitcnt lgkmcnt(0)
	v_add_f64 v[13:14], v[19:20], v[13:14]
	v_add_f64 v[15:16], v[21:22], v[15:16]
	ds_write_b128 v18, v[13:16]
.LBB57_19:
	s_or_b64 exec, exec, s[0:1]
	v_mov_b32_e32 v16, v12
	v_mov_b32_e32 v14, v10
	v_cmp_gt_u32_e32 vcc, 26, v0
	v_mov_b32_e32 v15, v11
	v_mov_b32_e32 v13, v9
	s_waitcnt lgkmcnt(0)
	s_barrier
	s_and_saveexec_b64 s[0:1], vcc
	s_cbranch_execz .LBB57_21
; %bb.20:
	s_movk_i32 s2, 0x190
	v_mad_u32_u24 v17, v0, s2, v18
	ds_read_b128 v[13:16], v17
	ds_read_b128 v[19:22], v17 offset:16
	s_waitcnt lgkmcnt(0)
	v_add_f64 v[13:14], v[19:20], v[13:14]
	v_add_f64 v[15:16], v[21:22], v[15:16]
.LBB57_21:
	s_or_b64 exec, exec, s[0:1]
	s_branch .LBB57_34
.LBB57_22:
                                        ; implicit-def: $vgpr15_vgpr16
                                        ; implicit-def: $vgpr13_vgpr14
	s_cbranch_execz .LBB57_34
; %bb.23:
	s_movk_i32 s0, 0x104
	v_cmp_gt_u32_e32 vcc, s0, v0
	s_and_saveexec_b64 s[0:1], vcc
	s_cbranch_execz .LBB57_25
; %bb.24:
	ds_read_b128 v[13:16], v18 offset:6656
	ds_read_b128 v[19:22], v18
	s_waitcnt lgkmcnt(0)
	v_add_f64 v[13:14], v[13:14], v[19:20]
	v_add_f64 v[15:16], v[15:16], v[21:22]
	ds_write_b128 v18, v[13:16]
.LBB57_25:
	s_or_b64 exec, exec, s[0:1]
	s_movk_i32 s0, 0xd0
	v_cmp_gt_u32_e32 vcc, s0, v0
	s_waitcnt lgkmcnt(0)
	s_barrier
	s_and_saveexec_b64 s[0:1], vcc
	s_cbranch_execz .LBB57_27
; %bb.26:
	ds_read_b128 v[13:16], v18 offset:3328
	ds_read_b128 v[19:22], v18
	s_waitcnt lgkmcnt(0)
	v_add_f64 v[13:14], v[13:14], v[19:20]
	v_add_f64 v[15:16], v[15:16], v[21:22]
	ds_write_b128 v18, v[13:16]
.LBB57_27:
	s_or_b64 exec, exec, s[0:1]
	s_movk_i32 s0, 0x68
	v_cmp_gt_u32_e32 vcc, s0, v0
	s_waitcnt lgkmcnt(0)
	s_barrier
	s_and_saveexec_b64 s[0:1], vcc
	s_cbranch_execz .LBB57_29
; %bb.28:
	ds_read_b128 v[13:16], v18 offset:1664
	ds_read_b128 v[19:22], v18
	s_waitcnt lgkmcnt(0)
	v_add_f64 v[13:14], v[13:14], v[19:20]
	v_add_f64 v[15:16], v[15:16], v[21:22]
	ds_write_b128 v18, v[13:16]
.LBB57_29:
	s_or_b64 exec, exec, s[0:1]
	v_cmp_gt_u32_e32 vcc, 52, v0
	s_waitcnt lgkmcnt(0)
	s_barrier
	s_and_saveexec_b64 s[0:1], vcc
	s_cbranch_execz .LBB57_31
; %bb.30:
	ds_read_b128 v[13:16], v18 offset:832
	ds_read_b128 v[19:22], v18
	s_waitcnt lgkmcnt(0)
	v_add_f64 v[13:14], v[13:14], v[19:20]
	v_add_f64 v[15:16], v[15:16], v[21:22]
	ds_write_b128 v18, v[13:16]
.LBB57_31:
	s_or_b64 exec, exec, s[0:1]
	v_cmp_gt_u32_e32 vcc, 26, v0
	s_waitcnt lgkmcnt(0)
	s_and_saveexec_b64 s[0:1], vcc
	s_cbranch_execz .LBB57_33
; %bb.32:
	ds_read_b128 v[9:12], v18 offset:416
	ds_read_b128 v[13:16], v18
	s_waitcnt lgkmcnt(0)
	v_add_f64 v[9:10], v[9:10], v[13:14]
	v_add_f64 v[11:12], v[11:12], v[15:16]
.LBB57_33:
	s_or_b64 exec, exec, s[0:1]
	v_mov_b32_e32 v16, v12
	v_mov_b32_e32 v14, v10
	;; [unrolled: 1-line block ×4, first 2 shown]
.LBB57_34:
	v_cmp_gt_u32_e32 vcc, 26, v0
	s_and_b64 exec, exec, vcc
	s_cbranch_execz .LBB57_39
; %bb.35:
	v_mul_f64 v[9:10], v[15:16], -v[7:8]
	v_mul_f64 v[11:12], v[5:6], v[15:16]
	v_cmp_eq_f64_e32 vcc, 0, v[1:2]
	v_cmp_eq_f64_e64 s[0:1], 0, v[3:4]
	v_fma_f64 v[5:6], v[5:6], v[13:14], v[9:10]
	v_fma_f64 v[7:8], v[7:8], v[13:14], v[11:12]
	s_and_b64 s[0:1], vcc, s[0:1]
	s_and_saveexec_b64 s[2:3], s[0:1]
	s_xor_b64 s[0:1], exec, s[2:3]
	s_cbranch_execz .LBB57_37
; %bb.36:
	v_mad_u64_u32 v[0:1], s[2:3], s6, 26, v[0:1]
	v_mov_b32_e32 v1, 0
	v_mov_b32_e32 v2, s13
	v_lshlrev_b64 v[0:1], 4, v[0:1]
	v_add_co_u32_e32 v0, vcc, s12, v0
	v_addc_co_u32_e32 v1, vcc, v2, v1, vcc
	global_store_dwordx4 v[0:1], v[5:8], off
                                        ; implicit-def: $vgpr0
                                        ; implicit-def: $vgpr1_vgpr2
                                        ; implicit-def: $vgpr5_vgpr6
.LBB57_37:
	s_andn2_saveexec_b64 s[0:1], s[0:1]
	s_cbranch_execz .LBB57_39
; %bb.38:
	v_mad_u64_u32 v[9:10], s[0:1], s6, 26, v[0:1]
	v_mov_b32_e32 v10, 0
	v_mov_b32_e32 v0, s13
	v_lshlrev_b64 v[9:10], 4, v[9:10]
	v_add_co_u32_e32 v13, vcc, s12, v9
	v_addc_co_u32_e32 v14, vcc, v0, v10, vcc
	global_load_dwordx4 v[9:12], v[13:14], off
	s_waitcnt vmcnt(0)
	v_fma_f64 v[5:6], v[1:2], v[9:10], v[5:6]
	v_fma_f64 v[7:8], v[3:4], v[9:10], v[7:8]
	v_fma_f64 v[3:4], -v[3:4], v[11:12], v[5:6]
	v_fma_f64 v[5:6], v[1:2], v[11:12], v[7:8]
	global_store_dwordx4 v[13:14], v[3:6], off
.LBB57_39:
	s_endpgm
	.section	.rodata,"a",@progbits
	.p2align	6, 0x0
	.amdhsa_kernel _ZN9rocsparseL20bsrxmvn_17_32_kernelILj26E21rocsparse_complex_numIdEiiS2_S2_S2_EEvT2_20rocsparse_direction_NS_24const_host_device_scalarIT0_EES3_PKS3_PKT1_SC_S9_PKT3_PKT4_S7_PT5_21rocsparse_index_base_b
		.amdhsa_group_segment_fixed_size 10816
		.amdhsa_private_segment_fixed_size 0
		.amdhsa_kernarg_size 112
		.amdhsa_user_sgpr_count 6
		.amdhsa_user_sgpr_private_segment_buffer 1
		.amdhsa_user_sgpr_dispatch_ptr 0
		.amdhsa_user_sgpr_queue_ptr 0
		.amdhsa_user_sgpr_kernarg_segment_ptr 1
		.amdhsa_user_sgpr_dispatch_id 0
		.amdhsa_user_sgpr_flat_scratch_init 0
		.amdhsa_user_sgpr_private_segment_size 0
		.amdhsa_uses_dynamic_stack 0
		.amdhsa_system_sgpr_private_segment_wavefront_offset 0
		.amdhsa_system_sgpr_workgroup_id_x 1
		.amdhsa_system_sgpr_workgroup_id_y 0
		.amdhsa_system_sgpr_workgroup_id_z 0
		.amdhsa_system_sgpr_workgroup_info 0
		.amdhsa_system_vgpr_workitem_id 0
		.amdhsa_next_free_vgpr 29
		.amdhsa_next_free_sgpr 61
		.amdhsa_reserve_vcc 1
		.amdhsa_reserve_flat_scratch 0
		.amdhsa_float_round_mode_32 0
		.amdhsa_float_round_mode_16_64 0
		.amdhsa_float_denorm_mode_32 3
		.amdhsa_float_denorm_mode_16_64 3
		.amdhsa_dx10_clamp 1
		.amdhsa_ieee_mode 1
		.amdhsa_fp16_overflow 0
		.amdhsa_exception_fp_ieee_invalid_op 0
		.amdhsa_exception_fp_denorm_src 0
		.amdhsa_exception_fp_ieee_div_zero 0
		.amdhsa_exception_fp_ieee_overflow 0
		.amdhsa_exception_fp_ieee_underflow 0
		.amdhsa_exception_fp_ieee_inexact 0
		.amdhsa_exception_int_div_zero 0
	.end_amdhsa_kernel
	.section	.text._ZN9rocsparseL20bsrxmvn_17_32_kernelILj26E21rocsparse_complex_numIdEiiS2_S2_S2_EEvT2_20rocsparse_direction_NS_24const_host_device_scalarIT0_EES3_PKS3_PKT1_SC_S9_PKT3_PKT4_S7_PT5_21rocsparse_index_base_b,"axG",@progbits,_ZN9rocsparseL20bsrxmvn_17_32_kernelILj26E21rocsparse_complex_numIdEiiS2_S2_S2_EEvT2_20rocsparse_direction_NS_24const_host_device_scalarIT0_EES3_PKS3_PKT1_SC_S9_PKT3_PKT4_S7_PT5_21rocsparse_index_base_b,comdat
.Lfunc_end57:
	.size	_ZN9rocsparseL20bsrxmvn_17_32_kernelILj26E21rocsparse_complex_numIdEiiS2_S2_S2_EEvT2_20rocsparse_direction_NS_24const_host_device_scalarIT0_EES3_PKS3_PKT1_SC_S9_PKT3_PKT4_S7_PT5_21rocsparse_index_base_b, .Lfunc_end57-_ZN9rocsparseL20bsrxmvn_17_32_kernelILj26E21rocsparse_complex_numIdEiiS2_S2_S2_EEvT2_20rocsparse_direction_NS_24const_host_device_scalarIT0_EES3_PKS3_PKT1_SC_S9_PKT3_PKT4_S7_PT5_21rocsparse_index_base_b
                                        ; -- End function
	.set _ZN9rocsparseL20bsrxmvn_17_32_kernelILj26E21rocsparse_complex_numIdEiiS2_S2_S2_EEvT2_20rocsparse_direction_NS_24const_host_device_scalarIT0_EES3_PKS3_PKT1_SC_S9_PKT3_PKT4_S7_PT5_21rocsparse_index_base_b.num_vgpr, 29
	.set _ZN9rocsparseL20bsrxmvn_17_32_kernelILj26E21rocsparse_complex_numIdEiiS2_S2_S2_EEvT2_20rocsparse_direction_NS_24const_host_device_scalarIT0_EES3_PKS3_PKT1_SC_S9_PKT3_PKT4_S7_PT5_21rocsparse_index_base_b.num_agpr, 0
	.set _ZN9rocsparseL20bsrxmvn_17_32_kernelILj26E21rocsparse_complex_numIdEiiS2_S2_S2_EEvT2_20rocsparse_direction_NS_24const_host_device_scalarIT0_EES3_PKS3_PKT1_SC_S9_PKT3_PKT4_S7_PT5_21rocsparse_index_base_b.numbered_sgpr, 18
	.set _ZN9rocsparseL20bsrxmvn_17_32_kernelILj26E21rocsparse_complex_numIdEiiS2_S2_S2_EEvT2_20rocsparse_direction_NS_24const_host_device_scalarIT0_EES3_PKS3_PKT1_SC_S9_PKT3_PKT4_S7_PT5_21rocsparse_index_base_b.num_named_barrier, 0
	.set _ZN9rocsparseL20bsrxmvn_17_32_kernelILj26E21rocsparse_complex_numIdEiiS2_S2_S2_EEvT2_20rocsparse_direction_NS_24const_host_device_scalarIT0_EES3_PKS3_PKT1_SC_S9_PKT3_PKT4_S7_PT5_21rocsparse_index_base_b.private_seg_size, 0
	.set _ZN9rocsparseL20bsrxmvn_17_32_kernelILj26E21rocsparse_complex_numIdEiiS2_S2_S2_EEvT2_20rocsparse_direction_NS_24const_host_device_scalarIT0_EES3_PKS3_PKT1_SC_S9_PKT3_PKT4_S7_PT5_21rocsparse_index_base_b.uses_vcc, 1
	.set _ZN9rocsparseL20bsrxmvn_17_32_kernelILj26E21rocsparse_complex_numIdEiiS2_S2_S2_EEvT2_20rocsparse_direction_NS_24const_host_device_scalarIT0_EES3_PKS3_PKT1_SC_S9_PKT3_PKT4_S7_PT5_21rocsparse_index_base_b.uses_flat_scratch, 0
	.set _ZN9rocsparseL20bsrxmvn_17_32_kernelILj26E21rocsparse_complex_numIdEiiS2_S2_S2_EEvT2_20rocsparse_direction_NS_24const_host_device_scalarIT0_EES3_PKS3_PKT1_SC_S9_PKT3_PKT4_S7_PT5_21rocsparse_index_base_b.has_dyn_sized_stack, 0
	.set _ZN9rocsparseL20bsrxmvn_17_32_kernelILj26E21rocsparse_complex_numIdEiiS2_S2_S2_EEvT2_20rocsparse_direction_NS_24const_host_device_scalarIT0_EES3_PKS3_PKT1_SC_S9_PKT3_PKT4_S7_PT5_21rocsparse_index_base_b.has_recursion, 0
	.set _ZN9rocsparseL20bsrxmvn_17_32_kernelILj26E21rocsparse_complex_numIdEiiS2_S2_S2_EEvT2_20rocsparse_direction_NS_24const_host_device_scalarIT0_EES3_PKS3_PKT1_SC_S9_PKT3_PKT4_S7_PT5_21rocsparse_index_base_b.has_indirect_call, 0
	.section	.AMDGPU.csdata,"",@progbits
; Kernel info:
; codeLenInByte = 1640
; TotalNumSgprs: 22
; NumVgprs: 29
; ScratchSize: 0
; MemoryBound: 0
; FloatMode: 240
; IeeeMode: 1
; LDSByteSize: 10816 bytes/workgroup (compile time only)
; SGPRBlocks: 8
; VGPRBlocks: 7
; NumSGPRsForWavesPerEU: 65
; NumVGPRsForWavesPerEU: 29
; Occupancy: 8
; WaveLimiterHint : 1
; COMPUTE_PGM_RSRC2:SCRATCH_EN: 0
; COMPUTE_PGM_RSRC2:USER_SGPR: 6
; COMPUTE_PGM_RSRC2:TRAP_HANDLER: 0
; COMPUTE_PGM_RSRC2:TGID_X_EN: 1
; COMPUTE_PGM_RSRC2:TGID_Y_EN: 0
; COMPUTE_PGM_RSRC2:TGID_Z_EN: 0
; COMPUTE_PGM_RSRC2:TIDIG_COMP_CNT: 0
	.section	.text._ZN9rocsparseL20bsrxmvn_17_32_kernelILj27E21rocsparse_complex_numIdEiiS2_S2_S2_EEvT2_20rocsparse_direction_NS_24const_host_device_scalarIT0_EES3_PKS3_PKT1_SC_S9_PKT3_PKT4_S7_PT5_21rocsparse_index_base_b,"axG",@progbits,_ZN9rocsparseL20bsrxmvn_17_32_kernelILj27E21rocsparse_complex_numIdEiiS2_S2_S2_EEvT2_20rocsparse_direction_NS_24const_host_device_scalarIT0_EES3_PKS3_PKT1_SC_S9_PKT3_PKT4_S7_PT5_21rocsparse_index_base_b,comdat
	.globl	_ZN9rocsparseL20bsrxmvn_17_32_kernelILj27E21rocsparse_complex_numIdEiiS2_S2_S2_EEvT2_20rocsparse_direction_NS_24const_host_device_scalarIT0_EES3_PKS3_PKT1_SC_S9_PKT3_PKT4_S7_PT5_21rocsparse_index_base_b ; -- Begin function _ZN9rocsparseL20bsrxmvn_17_32_kernelILj27E21rocsparse_complex_numIdEiiS2_S2_S2_EEvT2_20rocsparse_direction_NS_24const_host_device_scalarIT0_EES3_PKS3_PKT1_SC_S9_PKT3_PKT4_S7_PT5_21rocsparse_index_base_b
	.p2align	8
	.type	_ZN9rocsparseL20bsrxmvn_17_32_kernelILj27E21rocsparse_complex_numIdEiiS2_S2_S2_EEvT2_20rocsparse_direction_NS_24const_host_device_scalarIT0_EES3_PKS3_PKT1_SC_S9_PKT3_PKT4_S7_PT5_21rocsparse_index_base_b,@function
_ZN9rocsparseL20bsrxmvn_17_32_kernelILj27E21rocsparse_complex_numIdEiiS2_S2_S2_EEvT2_20rocsparse_direction_NS_24const_host_device_scalarIT0_EES3_PKS3_PKT1_SC_S9_PKT3_PKT4_S7_PT5_21rocsparse_index_base_b: ; @_ZN9rocsparseL20bsrxmvn_17_32_kernelILj27E21rocsparse_complex_numIdEiiS2_S2_S2_EEvT2_20rocsparse_direction_NS_24const_host_device_scalarIT0_EES3_PKS3_PKT1_SC_S9_PKT3_PKT4_S7_PT5_21rocsparse_index_base_b
; %bb.0:
	s_load_dwordx2 s[0:1], s[4:5], 0x8
	s_load_dwordx2 s[14:15], s[4:5], 0x68
	s_add_u32 s7, s4, 8
	s_addc_u32 s8, s5, 0
	s_add_u32 s9, s4, 0x50
	s_addc_u32 s10, s5, 0
	s_waitcnt lgkmcnt(0)
	s_bitcmp1_b32 s15, 0
	s_cselect_b32 s1, s8, s1
	s_cselect_b32 s0, s7, s0
	v_mov_b32_e32 v1, s0
	v_mov_b32_e32 v2, s1
	flat_load_dwordx4 v[5:8], v[1:2]
	s_load_dwordx2 s[2:3], s[4:5], 0x50
	s_waitcnt lgkmcnt(0)
	s_cselect_b32 s0, s10, s3
	s_cselect_b32 s1, s9, s2
	v_mov_b32_e32 v1, s1
	v_mov_b32_e32 v2, s0
	flat_load_dwordx4 v[1:4], v[1:2]
	s_waitcnt vmcnt(0)
	v_cmp_eq_f64_e32 vcc, 0, v[5:6]
	v_cmp_eq_f64_e64 s[0:1], 0, v[7:8]
	s_and_b64 s[8:9], vcc, s[0:1]
	s_mov_b64 s[0:1], -1
	s_and_saveexec_b64 s[2:3], s[8:9]
	s_cbranch_execz .LBB58_2
; %bb.1:
	s_waitcnt lgkmcnt(0)
	v_cmp_neq_f64_e32 vcc, 1.0, v[1:2]
	v_cmp_neq_f64_e64 s[0:1], 0, v[3:4]
	s_or_b64 s[0:1], vcc, s[0:1]
	s_orn2_b64 s[0:1], s[0:1], exec
.LBB58_2:
	s_or_b64 exec, exec, s[2:3]
	s_and_saveexec_b64 s[2:3], s[0:1]
	s_cbranch_execz .LBB58_39
; %bb.3:
	s_load_dwordx4 s[0:3], s[4:5], 0x20
	s_load_dwordx2 s[8:9], s[4:5], 0x30
	s_waitcnt lgkmcnt(0)
	s_cmp_eq_u64 s[0:1], 0
	s_cbranch_scc1 .LBB58_5
; %bb.4:
	s_ashr_i32 s7, s6, 31
	s_lshl_b64 s[6:7], s[6:7], 2
	s_add_u32 s0, s0, s6
	s_addc_u32 s1, s1, s7
	s_load_dword s0, s[0:1], 0x0
	s_waitcnt lgkmcnt(0)
	s_sub_i32 s6, s0, s14
.LBB58_5:
	s_load_dword s0, s[4:5], 0x4
	s_load_dwordx2 s[12:13], s[4:5], 0x60
	v_mul_u32_u24_e32 v13, 0x97c, v0
	v_mov_b32_e32 v9, 27
	v_mul_lo_u16_sdwa v9, v13, v9 dst_sel:DWORD dst_unused:UNUSED_PAD src0_sel:WORD_1 src1_sel:DWORD
	s_waitcnt lgkmcnt(0)
	s_cmp_eq_u32 s0, 1
	s_cselect_b64 vcc, -1, 0
	s_cmp_lg_u32 s0, 1
	s_cselect_b64 s[16:17], -1, 0
	s_ashr_i32 s7, s6, 31
	s_lshl_b64 s[0:1], s[6:7], 2
	s_add_u32 s2, s2, s0
	s_addc_u32 s3, s3, s1
	s_load_dword s7, s[2:3], 0x0
	s_add_u32 s2, s2, 4
	s_addc_u32 s3, s3, 0
	s_add_u32 s0, s8, s0
	s_addc_u32 s1, s9, s1
	s_cmp_eq_u64 s[8:9], 0
	s_cselect_b32 s1, s3, s1
	s_cselect_b32 s0, s2, s0
	s_load_dword s0, s[0:1], 0x0
	v_sub_u16_e32 v19, v0, v9
	v_mov_b32_e32 v11, 0
	v_mov_b32_e32 v9, 0
	;; [unrolled: 1-line block ×3, first 2 shown]
	s_waitcnt lgkmcnt(0)
	s_cmp_ge_i32 s7, s0
	v_mov_b32_e32 v10, 0
	v_lshlrev_b32_e32 v18, 4, v0
	s_cbranch_scc1 .LBB58_10
; %bb.6:
	s_load_dwordx2 s[2:3], s[4:5], 0x48
	s_load_dwordx4 s[8:11], s[4:5], 0x38
	s_sub_i32 s4, s0, s14
	s_mov_b32 s0, 0xffff
	s_movk_i32 s1, 0x2d9
	v_and_b32_sdwa v9, s0, v13 dst_sel:DWORD dst_unused:UNUSED_PAD src0_sel:DWORD src1_sel:WORD_1
	v_subrev_u32_e32 v10, 27, v9
	v_cmp_gt_u32_e64 s[0:1], s1, v0
	s_sub_i32 s5, s7, s14
	v_cndmask_b32_e64 v9, v10, v9, s[0:1]
	s_mul_i32 s1, s5, 0x2d90
	s_mul_hi_i32 s0, s5, 0x2d90
	s_waitcnt lgkmcnt(0)
	s_add_u32 s1, s10, s1
	s_addc_u32 s0, s11, s0
	v_cndmask_b32_e32 v13, v19, v9, vcc
	v_mov_b32_e32 v9, s0
	v_add_co_u32_e32 v14, vcc, s1, v18
	v_addc_co_u32_e32 v15, vcc, 0, v9, vcc
	s_movk_i32 s0, 0x2d8
	v_mov_b32_e32 v11, 0
	v_mov_b32_e32 v12, 0
	v_cmp_lt_u32_e32 vcc, s0, v0
	v_mov_b32_e32 v9, v11
	v_cndmask_b32_e64 v20, 0, 1, vcc
	v_mov_b32_e32 v10, v12
	s_branch .LBB58_8
.LBB58_7:                               ;   in Loop: Header=BB58_8 Depth=1
	s_or_b64 exec, exec, s[0:1]
	s_add_i32 s5, s5, 1
	s_cmp_lt_i32 s5, s4
	s_cbranch_scc0 .LBB58_10
.LBB58_8:                               ; =>This Inner Loop Header: Depth=1
	v_add_u32_e32 v16, s5, v20
	v_cmp_gt_i32_e32 vcc, s4, v16
	s_and_saveexec_b64 s[0:1], vcc
	s_cbranch_execz .LBB58_7
; %bb.9:                                ;   in Loop: Header=BB58_8 Depth=1
	v_ashrrev_i32_e32 v17, 31, v16
	v_lshlrev_b64 v[16:17], 2, v[16:17]
	v_mov_b32_e32 v21, s9
	v_add_co_u32_e32 v16, vcc, s8, v16
	v_addc_co_u32_e32 v17, vcc, v21, v17, vcc
	global_load_dword v16, v[16:17], off
	v_mov_b32_e32 v25, s3
	global_load_dwordx4 v[21:24], v[14:15], off
	s_waitcnt vmcnt(1)
	v_subrev_u32_e32 v16, s14, v16
	v_mad_u64_u32 v[16:17], s[10:11], v16, 27, v[13:14]
	v_ashrrev_i32_e32 v17, 31, v16
	v_lshlrev_b64 v[16:17], 4, v[16:17]
	v_add_co_u32_e32 v16, vcc, s2, v16
	v_addc_co_u32_e32 v17, vcc, v25, v17, vcc
	global_load_dwordx4 v[25:28], v[16:17], off
	v_add_co_u32_e32 v14, vcc, 0x2d90, v14
	v_addc_co_u32_e32 v15, vcc, 0, v15, vcc
	s_waitcnt vmcnt(0)
	v_fma_f64 v[9:10], v[21:22], v[25:26], v[9:10]
	v_fma_f64 v[11:12], v[23:24], v[25:26], v[11:12]
	v_fma_f64 v[9:10], -v[23:24], v[27:28], v[9:10]
	v_fma_f64 v[11:12], v[21:22], v[27:28], v[11:12]
	s_branch .LBB58_7
.LBB58_10:
	s_and_b64 vcc, exec, s[16:17]
	ds_write_b128 v18, v[9:12]
	s_waitcnt lgkmcnt(0)
	s_barrier
	s_cbranch_vccz .LBB58_22
; %bb.11:
	v_cmp_gt_u16_e32 vcc, 11, v19
	s_and_saveexec_b64 s[0:1], vcc
	s_cbranch_execz .LBB58_13
; %bb.12:
	ds_read_b128 v[13:16], v18 offset:256
	ds_read_b128 v[20:23], v18
	s_waitcnt lgkmcnt(0)
	v_add_f64 v[13:14], v[13:14], v[20:21]
	v_add_f64 v[15:16], v[15:16], v[22:23]
	ds_write_b128 v18, v[13:16]
.LBB58_13:
	s_or_b64 exec, exec, s[0:1]
	v_cmp_gt_u16_e32 vcc, 8, v19
	s_waitcnt lgkmcnt(0)
	s_barrier
	s_and_saveexec_b64 s[0:1], vcc
	s_cbranch_execz .LBB58_15
; %bb.14:
	ds_read_b128 v[13:16], v18 offset:128
	ds_read_b128 v[20:23], v18
	s_waitcnt lgkmcnt(0)
	v_add_f64 v[13:14], v[13:14], v[20:21]
	v_add_f64 v[15:16], v[15:16], v[22:23]
	ds_write_b128 v18, v[13:16]
.LBB58_15:
	s_or_b64 exec, exec, s[0:1]
	v_cmp_gt_u16_e32 vcc, 4, v19
	s_waitcnt lgkmcnt(0)
	s_barrier
	;; [unrolled: 14-line block ×3, first 2 shown]
	s_and_saveexec_b64 s[0:1], vcc
	s_cbranch_execz .LBB58_19
; %bb.18:
	ds_read_b128 v[13:16], v18
	ds_read_b128 v[19:22], v18 offset:32
	s_waitcnt lgkmcnt(0)
	v_add_f64 v[13:14], v[19:20], v[13:14]
	v_add_f64 v[15:16], v[21:22], v[15:16]
	ds_write_b128 v18, v[13:16]
.LBB58_19:
	s_or_b64 exec, exec, s[0:1]
	v_mov_b32_e32 v16, v12
	v_mov_b32_e32 v14, v10
	v_cmp_gt_u32_e32 vcc, 27, v0
	v_mov_b32_e32 v15, v11
	v_mov_b32_e32 v13, v9
	s_waitcnt lgkmcnt(0)
	s_barrier
	s_and_saveexec_b64 s[0:1], vcc
	s_cbranch_execz .LBB58_21
; %bb.20:
	s_movk_i32 s2, 0x1a0
	v_mad_u32_u24 v17, v0, s2, v18
	ds_read_b128 v[13:16], v17
	ds_read_b128 v[19:22], v17 offset:16
	s_waitcnt lgkmcnt(0)
	v_add_f64 v[13:14], v[19:20], v[13:14]
	v_add_f64 v[15:16], v[21:22], v[15:16]
.LBB58_21:
	s_or_b64 exec, exec, s[0:1]
	s_branch .LBB58_34
.LBB58_22:
                                        ; implicit-def: $vgpr15_vgpr16
                                        ; implicit-def: $vgpr13_vgpr14
	s_cbranch_execz .LBB58_34
; %bb.23:
	s_movk_i32 s0, 0x129
	v_cmp_gt_u32_e32 vcc, s0, v0
	s_and_saveexec_b64 s[0:1], vcc
	s_cbranch_execz .LBB58_25
; %bb.24:
	ds_read_b128 v[13:16], v18 offset:6912
	ds_read_b128 v[19:22], v18
	s_waitcnt lgkmcnt(0)
	v_add_f64 v[13:14], v[13:14], v[19:20]
	v_add_f64 v[15:16], v[15:16], v[21:22]
	ds_write_b128 v18, v[13:16]
.LBB58_25:
	s_or_b64 exec, exec, s[0:1]
	s_movk_i32 s0, 0xd8
	v_cmp_gt_u32_e32 vcc, s0, v0
	s_waitcnt lgkmcnt(0)
	s_barrier
	s_and_saveexec_b64 s[0:1], vcc
	s_cbranch_execz .LBB58_27
; %bb.26:
	ds_read_b128 v[13:16], v18 offset:3456
	ds_read_b128 v[19:22], v18
	s_waitcnt lgkmcnt(0)
	v_add_f64 v[13:14], v[13:14], v[19:20]
	v_add_f64 v[15:16], v[15:16], v[21:22]
	ds_write_b128 v18, v[13:16]
.LBB58_27:
	s_or_b64 exec, exec, s[0:1]
	s_movk_i32 s0, 0x6c
	v_cmp_gt_u32_e32 vcc, s0, v0
	s_waitcnt lgkmcnt(0)
	s_barrier
	s_and_saveexec_b64 s[0:1], vcc
	s_cbranch_execz .LBB58_29
; %bb.28:
	ds_read_b128 v[13:16], v18 offset:1728
	ds_read_b128 v[19:22], v18
	s_waitcnt lgkmcnt(0)
	v_add_f64 v[13:14], v[13:14], v[19:20]
	v_add_f64 v[15:16], v[15:16], v[21:22]
	ds_write_b128 v18, v[13:16]
.LBB58_29:
	s_or_b64 exec, exec, s[0:1]
	v_cmp_gt_u32_e32 vcc, 54, v0
	s_waitcnt lgkmcnt(0)
	s_barrier
	s_and_saveexec_b64 s[0:1], vcc
	s_cbranch_execz .LBB58_31
; %bb.30:
	ds_read_b128 v[13:16], v18 offset:864
	ds_read_b128 v[19:22], v18
	s_waitcnt lgkmcnt(0)
	v_add_f64 v[13:14], v[13:14], v[19:20]
	v_add_f64 v[15:16], v[15:16], v[21:22]
	ds_write_b128 v18, v[13:16]
.LBB58_31:
	s_or_b64 exec, exec, s[0:1]
	v_cmp_gt_u32_e32 vcc, 27, v0
	s_waitcnt lgkmcnt(0)
	s_and_saveexec_b64 s[0:1], vcc
	s_cbranch_execz .LBB58_33
; %bb.32:
	ds_read_b128 v[9:12], v18 offset:432
	ds_read_b128 v[13:16], v18
	s_waitcnt lgkmcnt(0)
	v_add_f64 v[9:10], v[9:10], v[13:14]
	v_add_f64 v[11:12], v[11:12], v[15:16]
.LBB58_33:
	s_or_b64 exec, exec, s[0:1]
	v_mov_b32_e32 v16, v12
	v_mov_b32_e32 v14, v10
	;; [unrolled: 1-line block ×4, first 2 shown]
.LBB58_34:
	v_cmp_gt_u32_e32 vcc, 27, v0
	s_and_b64 exec, exec, vcc
	s_cbranch_execz .LBB58_39
; %bb.35:
	v_mul_f64 v[9:10], v[15:16], -v[7:8]
	v_mul_f64 v[11:12], v[5:6], v[15:16]
	v_cmp_eq_f64_e32 vcc, 0, v[1:2]
	v_cmp_eq_f64_e64 s[0:1], 0, v[3:4]
	v_fma_f64 v[5:6], v[5:6], v[13:14], v[9:10]
	v_fma_f64 v[7:8], v[7:8], v[13:14], v[11:12]
	s_and_b64 s[0:1], vcc, s[0:1]
	s_and_saveexec_b64 s[2:3], s[0:1]
	s_xor_b64 s[0:1], exec, s[2:3]
	s_cbranch_execz .LBB58_37
; %bb.36:
	v_mad_u64_u32 v[0:1], s[2:3], s6, 27, v[0:1]
	v_mov_b32_e32 v1, 0
	v_mov_b32_e32 v2, s13
	v_lshlrev_b64 v[0:1], 4, v[0:1]
	v_add_co_u32_e32 v0, vcc, s12, v0
	v_addc_co_u32_e32 v1, vcc, v2, v1, vcc
	global_store_dwordx4 v[0:1], v[5:8], off
                                        ; implicit-def: $vgpr0
                                        ; implicit-def: $vgpr1_vgpr2
                                        ; implicit-def: $vgpr5_vgpr6
.LBB58_37:
	s_andn2_saveexec_b64 s[0:1], s[0:1]
	s_cbranch_execz .LBB58_39
; %bb.38:
	v_mad_u64_u32 v[9:10], s[0:1], s6, 27, v[0:1]
	v_mov_b32_e32 v10, 0
	v_mov_b32_e32 v0, s13
	v_lshlrev_b64 v[9:10], 4, v[9:10]
	v_add_co_u32_e32 v13, vcc, s12, v9
	v_addc_co_u32_e32 v14, vcc, v0, v10, vcc
	global_load_dwordx4 v[9:12], v[13:14], off
	s_waitcnt vmcnt(0)
	v_fma_f64 v[5:6], v[1:2], v[9:10], v[5:6]
	v_fma_f64 v[7:8], v[3:4], v[9:10], v[7:8]
	v_fma_f64 v[3:4], -v[3:4], v[11:12], v[5:6]
	v_fma_f64 v[5:6], v[1:2], v[11:12], v[7:8]
	global_store_dwordx4 v[13:14], v[3:6], off
.LBB58_39:
	s_endpgm
	.section	.rodata,"a",@progbits
	.p2align	6, 0x0
	.amdhsa_kernel _ZN9rocsparseL20bsrxmvn_17_32_kernelILj27E21rocsparse_complex_numIdEiiS2_S2_S2_EEvT2_20rocsparse_direction_NS_24const_host_device_scalarIT0_EES3_PKS3_PKT1_SC_S9_PKT3_PKT4_S7_PT5_21rocsparse_index_base_b
		.amdhsa_group_segment_fixed_size 11664
		.amdhsa_private_segment_fixed_size 0
		.amdhsa_kernarg_size 112
		.amdhsa_user_sgpr_count 6
		.amdhsa_user_sgpr_private_segment_buffer 1
		.amdhsa_user_sgpr_dispatch_ptr 0
		.amdhsa_user_sgpr_queue_ptr 0
		.amdhsa_user_sgpr_kernarg_segment_ptr 1
		.amdhsa_user_sgpr_dispatch_id 0
		.amdhsa_user_sgpr_flat_scratch_init 0
		.amdhsa_user_sgpr_private_segment_size 0
		.amdhsa_uses_dynamic_stack 0
		.amdhsa_system_sgpr_private_segment_wavefront_offset 0
		.amdhsa_system_sgpr_workgroup_id_x 1
		.amdhsa_system_sgpr_workgroup_id_y 0
		.amdhsa_system_sgpr_workgroup_id_z 0
		.amdhsa_system_sgpr_workgroup_info 0
		.amdhsa_system_vgpr_workitem_id 0
		.amdhsa_next_free_vgpr 29
		.amdhsa_next_free_sgpr 61
		.amdhsa_reserve_vcc 1
		.amdhsa_reserve_flat_scratch 0
		.amdhsa_float_round_mode_32 0
		.amdhsa_float_round_mode_16_64 0
		.amdhsa_float_denorm_mode_32 3
		.amdhsa_float_denorm_mode_16_64 3
		.amdhsa_dx10_clamp 1
		.amdhsa_ieee_mode 1
		.amdhsa_fp16_overflow 0
		.amdhsa_exception_fp_ieee_invalid_op 0
		.amdhsa_exception_fp_denorm_src 0
		.amdhsa_exception_fp_ieee_div_zero 0
		.amdhsa_exception_fp_ieee_overflow 0
		.amdhsa_exception_fp_ieee_underflow 0
		.amdhsa_exception_fp_ieee_inexact 0
		.amdhsa_exception_int_div_zero 0
	.end_amdhsa_kernel
	.section	.text._ZN9rocsparseL20bsrxmvn_17_32_kernelILj27E21rocsparse_complex_numIdEiiS2_S2_S2_EEvT2_20rocsparse_direction_NS_24const_host_device_scalarIT0_EES3_PKS3_PKT1_SC_S9_PKT3_PKT4_S7_PT5_21rocsparse_index_base_b,"axG",@progbits,_ZN9rocsparseL20bsrxmvn_17_32_kernelILj27E21rocsparse_complex_numIdEiiS2_S2_S2_EEvT2_20rocsparse_direction_NS_24const_host_device_scalarIT0_EES3_PKS3_PKT1_SC_S9_PKT3_PKT4_S7_PT5_21rocsparse_index_base_b,comdat
.Lfunc_end58:
	.size	_ZN9rocsparseL20bsrxmvn_17_32_kernelILj27E21rocsparse_complex_numIdEiiS2_S2_S2_EEvT2_20rocsparse_direction_NS_24const_host_device_scalarIT0_EES3_PKS3_PKT1_SC_S9_PKT3_PKT4_S7_PT5_21rocsparse_index_base_b, .Lfunc_end58-_ZN9rocsparseL20bsrxmvn_17_32_kernelILj27E21rocsparse_complex_numIdEiiS2_S2_S2_EEvT2_20rocsparse_direction_NS_24const_host_device_scalarIT0_EES3_PKS3_PKT1_SC_S9_PKT3_PKT4_S7_PT5_21rocsparse_index_base_b
                                        ; -- End function
	.set _ZN9rocsparseL20bsrxmvn_17_32_kernelILj27E21rocsparse_complex_numIdEiiS2_S2_S2_EEvT2_20rocsparse_direction_NS_24const_host_device_scalarIT0_EES3_PKS3_PKT1_SC_S9_PKT3_PKT4_S7_PT5_21rocsparse_index_base_b.num_vgpr, 29
	.set _ZN9rocsparseL20bsrxmvn_17_32_kernelILj27E21rocsparse_complex_numIdEiiS2_S2_S2_EEvT2_20rocsparse_direction_NS_24const_host_device_scalarIT0_EES3_PKS3_PKT1_SC_S9_PKT3_PKT4_S7_PT5_21rocsparse_index_base_b.num_agpr, 0
	.set _ZN9rocsparseL20bsrxmvn_17_32_kernelILj27E21rocsparse_complex_numIdEiiS2_S2_S2_EEvT2_20rocsparse_direction_NS_24const_host_device_scalarIT0_EES3_PKS3_PKT1_SC_S9_PKT3_PKT4_S7_PT5_21rocsparse_index_base_b.numbered_sgpr, 18
	.set _ZN9rocsparseL20bsrxmvn_17_32_kernelILj27E21rocsparse_complex_numIdEiiS2_S2_S2_EEvT2_20rocsparse_direction_NS_24const_host_device_scalarIT0_EES3_PKS3_PKT1_SC_S9_PKT3_PKT4_S7_PT5_21rocsparse_index_base_b.num_named_barrier, 0
	.set _ZN9rocsparseL20bsrxmvn_17_32_kernelILj27E21rocsparse_complex_numIdEiiS2_S2_S2_EEvT2_20rocsparse_direction_NS_24const_host_device_scalarIT0_EES3_PKS3_PKT1_SC_S9_PKT3_PKT4_S7_PT5_21rocsparse_index_base_b.private_seg_size, 0
	.set _ZN9rocsparseL20bsrxmvn_17_32_kernelILj27E21rocsparse_complex_numIdEiiS2_S2_S2_EEvT2_20rocsparse_direction_NS_24const_host_device_scalarIT0_EES3_PKS3_PKT1_SC_S9_PKT3_PKT4_S7_PT5_21rocsparse_index_base_b.uses_vcc, 1
	.set _ZN9rocsparseL20bsrxmvn_17_32_kernelILj27E21rocsparse_complex_numIdEiiS2_S2_S2_EEvT2_20rocsparse_direction_NS_24const_host_device_scalarIT0_EES3_PKS3_PKT1_SC_S9_PKT3_PKT4_S7_PT5_21rocsparse_index_base_b.uses_flat_scratch, 0
	.set _ZN9rocsparseL20bsrxmvn_17_32_kernelILj27E21rocsparse_complex_numIdEiiS2_S2_S2_EEvT2_20rocsparse_direction_NS_24const_host_device_scalarIT0_EES3_PKS3_PKT1_SC_S9_PKT3_PKT4_S7_PT5_21rocsparse_index_base_b.has_dyn_sized_stack, 0
	.set _ZN9rocsparseL20bsrxmvn_17_32_kernelILj27E21rocsparse_complex_numIdEiiS2_S2_S2_EEvT2_20rocsparse_direction_NS_24const_host_device_scalarIT0_EES3_PKS3_PKT1_SC_S9_PKT3_PKT4_S7_PT5_21rocsparse_index_base_b.has_recursion, 0
	.set _ZN9rocsparseL20bsrxmvn_17_32_kernelILj27E21rocsparse_complex_numIdEiiS2_S2_S2_EEvT2_20rocsparse_direction_NS_24const_host_device_scalarIT0_EES3_PKS3_PKT1_SC_S9_PKT3_PKT4_S7_PT5_21rocsparse_index_base_b.has_indirect_call, 0
	.section	.AMDGPU.csdata,"",@progbits
; Kernel info:
; codeLenInByte = 1640
; TotalNumSgprs: 22
; NumVgprs: 29
; ScratchSize: 0
; MemoryBound: 0
; FloatMode: 240
; IeeeMode: 1
; LDSByteSize: 11664 bytes/workgroup (compile time only)
; SGPRBlocks: 8
; VGPRBlocks: 7
; NumSGPRsForWavesPerEU: 65
; NumVGPRsForWavesPerEU: 29
; Occupancy: 8
; WaveLimiterHint : 1
; COMPUTE_PGM_RSRC2:SCRATCH_EN: 0
; COMPUTE_PGM_RSRC2:USER_SGPR: 6
; COMPUTE_PGM_RSRC2:TRAP_HANDLER: 0
; COMPUTE_PGM_RSRC2:TGID_X_EN: 1
; COMPUTE_PGM_RSRC2:TGID_Y_EN: 0
; COMPUTE_PGM_RSRC2:TGID_Z_EN: 0
; COMPUTE_PGM_RSRC2:TIDIG_COMP_CNT: 0
	.section	.text._ZN9rocsparseL20bsrxmvn_17_32_kernelILj28E21rocsparse_complex_numIdEiiS2_S2_S2_EEvT2_20rocsparse_direction_NS_24const_host_device_scalarIT0_EES3_PKS3_PKT1_SC_S9_PKT3_PKT4_S7_PT5_21rocsparse_index_base_b,"axG",@progbits,_ZN9rocsparseL20bsrxmvn_17_32_kernelILj28E21rocsparse_complex_numIdEiiS2_S2_S2_EEvT2_20rocsparse_direction_NS_24const_host_device_scalarIT0_EES3_PKS3_PKT1_SC_S9_PKT3_PKT4_S7_PT5_21rocsparse_index_base_b,comdat
	.globl	_ZN9rocsparseL20bsrxmvn_17_32_kernelILj28E21rocsparse_complex_numIdEiiS2_S2_S2_EEvT2_20rocsparse_direction_NS_24const_host_device_scalarIT0_EES3_PKS3_PKT1_SC_S9_PKT3_PKT4_S7_PT5_21rocsparse_index_base_b ; -- Begin function _ZN9rocsparseL20bsrxmvn_17_32_kernelILj28E21rocsparse_complex_numIdEiiS2_S2_S2_EEvT2_20rocsparse_direction_NS_24const_host_device_scalarIT0_EES3_PKS3_PKT1_SC_S9_PKT3_PKT4_S7_PT5_21rocsparse_index_base_b
	.p2align	8
	.type	_ZN9rocsparseL20bsrxmvn_17_32_kernelILj28E21rocsparse_complex_numIdEiiS2_S2_S2_EEvT2_20rocsparse_direction_NS_24const_host_device_scalarIT0_EES3_PKS3_PKT1_SC_S9_PKT3_PKT4_S7_PT5_21rocsparse_index_base_b,@function
_ZN9rocsparseL20bsrxmvn_17_32_kernelILj28E21rocsparse_complex_numIdEiiS2_S2_S2_EEvT2_20rocsparse_direction_NS_24const_host_device_scalarIT0_EES3_PKS3_PKT1_SC_S9_PKT3_PKT4_S7_PT5_21rocsparse_index_base_b: ; @_ZN9rocsparseL20bsrxmvn_17_32_kernelILj28E21rocsparse_complex_numIdEiiS2_S2_S2_EEvT2_20rocsparse_direction_NS_24const_host_device_scalarIT0_EES3_PKS3_PKT1_SC_S9_PKT3_PKT4_S7_PT5_21rocsparse_index_base_b
; %bb.0:
	s_load_dwordx2 s[0:1], s[4:5], 0x8
	s_load_dwordx2 s[14:15], s[4:5], 0x68
	s_add_u32 s7, s4, 8
	s_addc_u32 s8, s5, 0
	s_add_u32 s9, s4, 0x50
	s_addc_u32 s10, s5, 0
	s_waitcnt lgkmcnt(0)
	s_bitcmp1_b32 s15, 0
	s_cselect_b32 s1, s8, s1
	s_cselect_b32 s0, s7, s0
	v_mov_b32_e32 v1, s0
	v_mov_b32_e32 v2, s1
	flat_load_dwordx4 v[5:8], v[1:2]
	s_load_dwordx2 s[2:3], s[4:5], 0x50
	s_waitcnt lgkmcnt(0)
	s_cselect_b32 s0, s10, s3
	s_cselect_b32 s1, s9, s2
	v_mov_b32_e32 v1, s1
	v_mov_b32_e32 v2, s0
	flat_load_dwordx4 v[1:4], v[1:2]
	s_waitcnt vmcnt(0)
	v_cmp_eq_f64_e32 vcc, 0, v[5:6]
	v_cmp_eq_f64_e64 s[0:1], 0, v[7:8]
	s_and_b64 s[8:9], vcc, s[0:1]
	s_mov_b64 s[0:1], -1
	s_and_saveexec_b64 s[2:3], s[8:9]
	s_cbranch_execz .LBB59_2
; %bb.1:
	s_waitcnt lgkmcnt(0)
	v_cmp_neq_f64_e32 vcc, 1.0, v[1:2]
	v_cmp_neq_f64_e64 s[0:1], 0, v[3:4]
	s_or_b64 s[0:1], vcc, s[0:1]
	s_orn2_b64 s[0:1], s[0:1], exec
.LBB59_2:
	s_or_b64 exec, exec, s[2:3]
	s_and_saveexec_b64 s[2:3], s[0:1]
	s_cbranch_execz .LBB59_39
; %bb.3:
	s_load_dwordx4 s[0:3], s[4:5], 0x20
	s_load_dwordx2 s[8:9], s[4:5], 0x30
	s_waitcnt lgkmcnt(0)
	s_cmp_eq_u64 s[0:1], 0
	s_cbranch_scc1 .LBB59_5
; %bb.4:
	s_ashr_i32 s7, s6, 31
	s_lshl_b64 s[6:7], s[6:7], 2
	s_add_u32 s0, s0, s6
	s_addc_u32 s1, s1, s7
	s_load_dword s0, s[0:1], 0x0
	s_waitcnt lgkmcnt(0)
	s_sub_i32 s6, s0, s14
.LBB59_5:
	s_load_dword s0, s[4:5], 0x4
	s_load_dwordx2 s[12:13], s[4:5], 0x60
	v_mul_u32_u24_e32 v13, 0x925, v0
	v_mov_b32_e32 v9, 28
	v_mul_lo_u16_sdwa v9, v13, v9 dst_sel:DWORD dst_unused:UNUSED_PAD src0_sel:WORD_1 src1_sel:DWORD
	s_waitcnt lgkmcnt(0)
	s_cmp_eq_u32 s0, 1
	s_cselect_b64 vcc, -1, 0
	s_cmp_lg_u32 s0, 1
	s_cselect_b64 s[16:17], -1, 0
	s_ashr_i32 s7, s6, 31
	s_lshl_b64 s[0:1], s[6:7], 2
	s_add_u32 s2, s2, s0
	s_addc_u32 s3, s3, s1
	s_load_dword s7, s[2:3], 0x0
	s_add_u32 s2, s2, 4
	s_addc_u32 s3, s3, 0
	s_add_u32 s0, s8, s0
	s_addc_u32 s1, s9, s1
	s_cmp_eq_u64 s[8:9], 0
	s_cselect_b32 s1, s3, s1
	s_cselect_b32 s0, s2, s0
	s_load_dword s0, s[0:1], 0x0
	v_sub_u16_e32 v19, v0, v9
	v_mov_b32_e32 v11, 0
	v_mov_b32_e32 v9, 0
	;; [unrolled: 1-line block ×3, first 2 shown]
	s_waitcnt lgkmcnt(0)
	s_cmp_ge_i32 s7, s0
	v_mov_b32_e32 v10, 0
	v_lshlrev_b32_e32 v18, 4, v0
	s_cbranch_scc1 .LBB59_10
; %bb.6:
	s_load_dwordx2 s[2:3], s[4:5], 0x48
	s_load_dwordx4 s[8:11], s[4:5], 0x38
	s_sub_i32 s4, s0, s14
	s_mov_b32 s0, 0xffff
	s_movk_i32 s1, 0x310
	v_and_b32_sdwa v9, s0, v13 dst_sel:DWORD dst_unused:UNUSED_PAD src0_sel:DWORD src1_sel:WORD_1
	v_subrev_u32_e32 v10, 28, v9
	v_cmp_gt_u32_e64 s[0:1], s1, v0
	s_sub_i32 s5, s7, s14
	v_cndmask_b32_e64 v9, v10, v9, s[0:1]
	s_mul_i32 s1, s5, 0x3100
	s_mul_hi_i32 s0, s5, 0x3100
	s_waitcnt lgkmcnt(0)
	s_add_u32 s1, s10, s1
	s_addc_u32 s0, s11, s0
	v_cndmask_b32_e32 v13, v19, v9, vcc
	v_mov_b32_e32 v9, s0
	v_add_co_u32_e32 v14, vcc, s1, v18
	v_addc_co_u32_e32 v15, vcc, 0, v9, vcc
	s_movk_i32 s0, 0x30f
	v_mov_b32_e32 v11, 0
	v_mov_b32_e32 v12, 0
	v_cmp_lt_u32_e32 vcc, s0, v0
	v_mov_b32_e32 v9, v11
	v_cndmask_b32_e64 v20, 0, 1, vcc
	v_mov_b32_e32 v10, v12
	s_branch .LBB59_8
.LBB59_7:                               ;   in Loop: Header=BB59_8 Depth=1
	s_or_b64 exec, exec, s[0:1]
	s_add_i32 s5, s5, 1
	s_cmp_lt_i32 s5, s4
	s_cbranch_scc0 .LBB59_10
.LBB59_8:                               ; =>This Inner Loop Header: Depth=1
	v_add_u32_e32 v16, s5, v20
	v_cmp_gt_i32_e32 vcc, s4, v16
	s_and_saveexec_b64 s[0:1], vcc
	s_cbranch_execz .LBB59_7
; %bb.9:                                ;   in Loop: Header=BB59_8 Depth=1
	v_ashrrev_i32_e32 v17, 31, v16
	v_lshlrev_b64 v[16:17], 2, v[16:17]
	v_mov_b32_e32 v21, s9
	v_add_co_u32_e32 v16, vcc, s8, v16
	v_addc_co_u32_e32 v17, vcc, v21, v17, vcc
	global_load_dword v16, v[16:17], off
	v_mov_b32_e32 v25, s3
	global_load_dwordx4 v[21:24], v[14:15], off
	s_waitcnt vmcnt(1)
	v_subrev_u32_e32 v16, s14, v16
	v_mad_u64_u32 v[16:17], s[10:11], v16, 28, v[13:14]
	v_ashrrev_i32_e32 v17, 31, v16
	v_lshlrev_b64 v[16:17], 4, v[16:17]
	v_add_co_u32_e32 v16, vcc, s2, v16
	v_addc_co_u32_e32 v17, vcc, v25, v17, vcc
	global_load_dwordx4 v[25:28], v[16:17], off
	v_add_co_u32_e32 v14, vcc, 0x3100, v14
	v_addc_co_u32_e32 v15, vcc, 0, v15, vcc
	s_waitcnt vmcnt(0)
	v_fma_f64 v[9:10], v[21:22], v[25:26], v[9:10]
	v_fma_f64 v[11:12], v[23:24], v[25:26], v[11:12]
	v_fma_f64 v[9:10], -v[23:24], v[27:28], v[9:10]
	v_fma_f64 v[11:12], v[21:22], v[27:28], v[11:12]
	s_branch .LBB59_7
.LBB59_10:
	s_and_b64 vcc, exec, s[16:17]
	ds_write_b128 v18, v[9:12]
	s_waitcnt lgkmcnt(0)
	s_barrier
	s_cbranch_vccz .LBB59_22
; %bb.11:
	v_cmp_gt_u16_e32 vcc, 12, v19
	s_and_saveexec_b64 s[0:1], vcc
	s_cbranch_execz .LBB59_13
; %bb.12:
	ds_read_b128 v[13:16], v18 offset:256
	ds_read_b128 v[20:23], v18
	s_waitcnt lgkmcnt(0)
	v_add_f64 v[13:14], v[13:14], v[20:21]
	v_add_f64 v[15:16], v[15:16], v[22:23]
	ds_write_b128 v18, v[13:16]
.LBB59_13:
	s_or_b64 exec, exec, s[0:1]
	v_cmp_gt_u16_e32 vcc, 8, v19
	s_waitcnt lgkmcnt(0)
	s_barrier
	s_and_saveexec_b64 s[0:1], vcc
	s_cbranch_execz .LBB59_15
; %bb.14:
	ds_read_b128 v[13:16], v18 offset:128
	ds_read_b128 v[20:23], v18
	s_waitcnt lgkmcnt(0)
	v_add_f64 v[13:14], v[13:14], v[20:21]
	v_add_f64 v[15:16], v[15:16], v[22:23]
	ds_write_b128 v18, v[13:16]
.LBB59_15:
	s_or_b64 exec, exec, s[0:1]
	v_cmp_gt_u16_e32 vcc, 4, v19
	s_waitcnt lgkmcnt(0)
	s_barrier
	;; [unrolled: 14-line block ×3, first 2 shown]
	s_and_saveexec_b64 s[0:1], vcc
	s_cbranch_execz .LBB59_19
; %bb.18:
	ds_read_b128 v[13:16], v18
	ds_read_b128 v[19:22], v18 offset:32
	s_waitcnt lgkmcnt(0)
	v_add_f64 v[13:14], v[19:20], v[13:14]
	v_add_f64 v[15:16], v[21:22], v[15:16]
	ds_write_b128 v18, v[13:16]
.LBB59_19:
	s_or_b64 exec, exec, s[0:1]
	v_mov_b32_e32 v16, v12
	v_mov_b32_e32 v14, v10
	v_cmp_gt_u32_e32 vcc, 28, v0
	v_mov_b32_e32 v15, v11
	v_mov_b32_e32 v13, v9
	s_waitcnt lgkmcnt(0)
	s_barrier
	s_and_saveexec_b64 s[0:1], vcc
	s_cbranch_execz .LBB59_21
; %bb.20:
	s_movk_i32 s2, 0x1b0
	v_mad_u32_u24 v17, v0, s2, v18
	ds_read_b128 v[13:16], v17
	ds_read_b128 v[19:22], v17 offset:16
	s_waitcnt lgkmcnt(0)
	v_add_f64 v[13:14], v[19:20], v[13:14]
	v_add_f64 v[15:16], v[21:22], v[15:16]
.LBB59_21:
	s_or_b64 exec, exec, s[0:1]
	s_branch .LBB59_34
.LBB59_22:
                                        ; implicit-def: $vgpr15_vgpr16
                                        ; implicit-def: $vgpr13_vgpr14
	s_cbranch_execz .LBB59_34
; %bb.23:
	s_movk_i32 s0, 0x150
	v_cmp_gt_u32_e32 vcc, s0, v0
	s_and_saveexec_b64 s[0:1], vcc
	s_cbranch_execz .LBB59_25
; %bb.24:
	ds_read_b128 v[13:16], v18 offset:7168
	ds_read_b128 v[19:22], v18
	s_waitcnt lgkmcnt(0)
	v_add_f64 v[13:14], v[13:14], v[19:20]
	v_add_f64 v[15:16], v[15:16], v[21:22]
	ds_write_b128 v18, v[13:16]
.LBB59_25:
	s_or_b64 exec, exec, s[0:1]
	s_movk_i32 s0, 0xe0
	v_cmp_gt_u32_e32 vcc, s0, v0
	s_waitcnt lgkmcnt(0)
	s_barrier
	s_and_saveexec_b64 s[0:1], vcc
	s_cbranch_execz .LBB59_27
; %bb.26:
	ds_read_b128 v[13:16], v18 offset:3584
	ds_read_b128 v[19:22], v18
	s_waitcnt lgkmcnt(0)
	v_add_f64 v[13:14], v[13:14], v[19:20]
	v_add_f64 v[15:16], v[15:16], v[21:22]
	ds_write_b128 v18, v[13:16]
.LBB59_27:
	s_or_b64 exec, exec, s[0:1]
	s_movk_i32 s0, 0x70
	v_cmp_gt_u32_e32 vcc, s0, v0
	s_waitcnt lgkmcnt(0)
	s_barrier
	s_and_saveexec_b64 s[0:1], vcc
	s_cbranch_execz .LBB59_29
; %bb.28:
	ds_read_b128 v[13:16], v18 offset:1792
	ds_read_b128 v[19:22], v18
	s_waitcnt lgkmcnt(0)
	v_add_f64 v[13:14], v[13:14], v[19:20]
	v_add_f64 v[15:16], v[15:16], v[21:22]
	ds_write_b128 v18, v[13:16]
.LBB59_29:
	s_or_b64 exec, exec, s[0:1]
	v_cmp_gt_u32_e32 vcc, 56, v0
	s_waitcnt lgkmcnt(0)
	s_barrier
	s_and_saveexec_b64 s[0:1], vcc
	s_cbranch_execz .LBB59_31
; %bb.30:
	ds_read_b128 v[13:16], v18 offset:896
	ds_read_b128 v[19:22], v18
	s_waitcnt lgkmcnt(0)
	v_add_f64 v[13:14], v[13:14], v[19:20]
	v_add_f64 v[15:16], v[15:16], v[21:22]
	ds_write_b128 v18, v[13:16]
.LBB59_31:
	s_or_b64 exec, exec, s[0:1]
	v_cmp_gt_u32_e32 vcc, 28, v0
	s_waitcnt lgkmcnt(0)
	s_and_saveexec_b64 s[0:1], vcc
	s_cbranch_execz .LBB59_33
; %bb.32:
	ds_read_b128 v[9:12], v18 offset:448
	ds_read_b128 v[13:16], v18
	s_waitcnt lgkmcnt(0)
	v_add_f64 v[9:10], v[9:10], v[13:14]
	v_add_f64 v[11:12], v[11:12], v[15:16]
.LBB59_33:
	s_or_b64 exec, exec, s[0:1]
	v_mov_b32_e32 v16, v12
	v_mov_b32_e32 v14, v10
	;; [unrolled: 1-line block ×4, first 2 shown]
.LBB59_34:
	v_cmp_gt_u32_e32 vcc, 28, v0
	s_and_b64 exec, exec, vcc
	s_cbranch_execz .LBB59_39
; %bb.35:
	v_mul_f64 v[9:10], v[15:16], -v[7:8]
	v_mul_f64 v[11:12], v[5:6], v[15:16]
	v_cmp_eq_f64_e32 vcc, 0, v[1:2]
	v_cmp_eq_f64_e64 s[0:1], 0, v[3:4]
	v_fma_f64 v[5:6], v[5:6], v[13:14], v[9:10]
	v_fma_f64 v[7:8], v[7:8], v[13:14], v[11:12]
	s_and_b64 s[0:1], vcc, s[0:1]
	s_and_saveexec_b64 s[2:3], s[0:1]
	s_xor_b64 s[0:1], exec, s[2:3]
	s_cbranch_execz .LBB59_37
; %bb.36:
	v_mad_u64_u32 v[0:1], s[2:3], s6, 28, v[0:1]
	v_mov_b32_e32 v1, 0
	v_mov_b32_e32 v2, s13
	v_lshlrev_b64 v[0:1], 4, v[0:1]
	v_add_co_u32_e32 v0, vcc, s12, v0
	v_addc_co_u32_e32 v1, vcc, v2, v1, vcc
	global_store_dwordx4 v[0:1], v[5:8], off
                                        ; implicit-def: $vgpr0
                                        ; implicit-def: $vgpr1_vgpr2
                                        ; implicit-def: $vgpr5_vgpr6
.LBB59_37:
	s_andn2_saveexec_b64 s[0:1], s[0:1]
	s_cbranch_execz .LBB59_39
; %bb.38:
	v_mad_u64_u32 v[9:10], s[0:1], s6, 28, v[0:1]
	v_mov_b32_e32 v10, 0
	v_mov_b32_e32 v0, s13
	v_lshlrev_b64 v[9:10], 4, v[9:10]
	v_add_co_u32_e32 v13, vcc, s12, v9
	v_addc_co_u32_e32 v14, vcc, v0, v10, vcc
	global_load_dwordx4 v[9:12], v[13:14], off
	s_waitcnt vmcnt(0)
	v_fma_f64 v[5:6], v[1:2], v[9:10], v[5:6]
	v_fma_f64 v[7:8], v[3:4], v[9:10], v[7:8]
	v_fma_f64 v[3:4], -v[3:4], v[11:12], v[5:6]
	v_fma_f64 v[5:6], v[1:2], v[11:12], v[7:8]
	global_store_dwordx4 v[13:14], v[3:6], off
.LBB59_39:
	s_endpgm
	.section	.rodata,"a",@progbits
	.p2align	6, 0x0
	.amdhsa_kernel _ZN9rocsparseL20bsrxmvn_17_32_kernelILj28E21rocsparse_complex_numIdEiiS2_S2_S2_EEvT2_20rocsparse_direction_NS_24const_host_device_scalarIT0_EES3_PKS3_PKT1_SC_S9_PKT3_PKT4_S7_PT5_21rocsparse_index_base_b
		.amdhsa_group_segment_fixed_size 12544
		.amdhsa_private_segment_fixed_size 0
		.amdhsa_kernarg_size 112
		.amdhsa_user_sgpr_count 6
		.amdhsa_user_sgpr_private_segment_buffer 1
		.amdhsa_user_sgpr_dispatch_ptr 0
		.amdhsa_user_sgpr_queue_ptr 0
		.amdhsa_user_sgpr_kernarg_segment_ptr 1
		.amdhsa_user_sgpr_dispatch_id 0
		.amdhsa_user_sgpr_flat_scratch_init 0
		.amdhsa_user_sgpr_private_segment_size 0
		.amdhsa_uses_dynamic_stack 0
		.amdhsa_system_sgpr_private_segment_wavefront_offset 0
		.amdhsa_system_sgpr_workgroup_id_x 1
		.amdhsa_system_sgpr_workgroup_id_y 0
		.amdhsa_system_sgpr_workgroup_id_z 0
		.amdhsa_system_sgpr_workgroup_info 0
		.amdhsa_system_vgpr_workitem_id 0
		.amdhsa_next_free_vgpr 29
		.amdhsa_next_free_sgpr 18
		.amdhsa_reserve_vcc 1
		.amdhsa_reserve_flat_scratch 0
		.amdhsa_float_round_mode_32 0
		.amdhsa_float_round_mode_16_64 0
		.amdhsa_float_denorm_mode_32 3
		.amdhsa_float_denorm_mode_16_64 3
		.amdhsa_dx10_clamp 1
		.amdhsa_ieee_mode 1
		.amdhsa_fp16_overflow 0
		.amdhsa_exception_fp_ieee_invalid_op 0
		.amdhsa_exception_fp_denorm_src 0
		.amdhsa_exception_fp_ieee_div_zero 0
		.amdhsa_exception_fp_ieee_overflow 0
		.amdhsa_exception_fp_ieee_underflow 0
		.amdhsa_exception_fp_ieee_inexact 0
		.amdhsa_exception_int_div_zero 0
	.end_amdhsa_kernel
	.section	.text._ZN9rocsparseL20bsrxmvn_17_32_kernelILj28E21rocsparse_complex_numIdEiiS2_S2_S2_EEvT2_20rocsparse_direction_NS_24const_host_device_scalarIT0_EES3_PKS3_PKT1_SC_S9_PKT3_PKT4_S7_PT5_21rocsparse_index_base_b,"axG",@progbits,_ZN9rocsparseL20bsrxmvn_17_32_kernelILj28E21rocsparse_complex_numIdEiiS2_S2_S2_EEvT2_20rocsparse_direction_NS_24const_host_device_scalarIT0_EES3_PKS3_PKT1_SC_S9_PKT3_PKT4_S7_PT5_21rocsparse_index_base_b,comdat
.Lfunc_end59:
	.size	_ZN9rocsparseL20bsrxmvn_17_32_kernelILj28E21rocsparse_complex_numIdEiiS2_S2_S2_EEvT2_20rocsparse_direction_NS_24const_host_device_scalarIT0_EES3_PKS3_PKT1_SC_S9_PKT3_PKT4_S7_PT5_21rocsparse_index_base_b, .Lfunc_end59-_ZN9rocsparseL20bsrxmvn_17_32_kernelILj28E21rocsparse_complex_numIdEiiS2_S2_S2_EEvT2_20rocsparse_direction_NS_24const_host_device_scalarIT0_EES3_PKS3_PKT1_SC_S9_PKT3_PKT4_S7_PT5_21rocsparse_index_base_b
                                        ; -- End function
	.set _ZN9rocsparseL20bsrxmvn_17_32_kernelILj28E21rocsparse_complex_numIdEiiS2_S2_S2_EEvT2_20rocsparse_direction_NS_24const_host_device_scalarIT0_EES3_PKS3_PKT1_SC_S9_PKT3_PKT4_S7_PT5_21rocsparse_index_base_b.num_vgpr, 29
	.set _ZN9rocsparseL20bsrxmvn_17_32_kernelILj28E21rocsparse_complex_numIdEiiS2_S2_S2_EEvT2_20rocsparse_direction_NS_24const_host_device_scalarIT0_EES3_PKS3_PKT1_SC_S9_PKT3_PKT4_S7_PT5_21rocsparse_index_base_b.num_agpr, 0
	.set _ZN9rocsparseL20bsrxmvn_17_32_kernelILj28E21rocsparse_complex_numIdEiiS2_S2_S2_EEvT2_20rocsparse_direction_NS_24const_host_device_scalarIT0_EES3_PKS3_PKT1_SC_S9_PKT3_PKT4_S7_PT5_21rocsparse_index_base_b.numbered_sgpr, 18
	.set _ZN9rocsparseL20bsrxmvn_17_32_kernelILj28E21rocsparse_complex_numIdEiiS2_S2_S2_EEvT2_20rocsparse_direction_NS_24const_host_device_scalarIT0_EES3_PKS3_PKT1_SC_S9_PKT3_PKT4_S7_PT5_21rocsparse_index_base_b.num_named_barrier, 0
	.set _ZN9rocsparseL20bsrxmvn_17_32_kernelILj28E21rocsparse_complex_numIdEiiS2_S2_S2_EEvT2_20rocsparse_direction_NS_24const_host_device_scalarIT0_EES3_PKS3_PKT1_SC_S9_PKT3_PKT4_S7_PT5_21rocsparse_index_base_b.private_seg_size, 0
	.set _ZN9rocsparseL20bsrxmvn_17_32_kernelILj28E21rocsparse_complex_numIdEiiS2_S2_S2_EEvT2_20rocsparse_direction_NS_24const_host_device_scalarIT0_EES3_PKS3_PKT1_SC_S9_PKT3_PKT4_S7_PT5_21rocsparse_index_base_b.uses_vcc, 1
	.set _ZN9rocsparseL20bsrxmvn_17_32_kernelILj28E21rocsparse_complex_numIdEiiS2_S2_S2_EEvT2_20rocsparse_direction_NS_24const_host_device_scalarIT0_EES3_PKS3_PKT1_SC_S9_PKT3_PKT4_S7_PT5_21rocsparse_index_base_b.uses_flat_scratch, 0
	.set _ZN9rocsparseL20bsrxmvn_17_32_kernelILj28E21rocsparse_complex_numIdEiiS2_S2_S2_EEvT2_20rocsparse_direction_NS_24const_host_device_scalarIT0_EES3_PKS3_PKT1_SC_S9_PKT3_PKT4_S7_PT5_21rocsparse_index_base_b.has_dyn_sized_stack, 0
	.set _ZN9rocsparseL20bsrxmvn_17_32_kernelILj28E21rocsparse_complex_numIdEiiS2_S2_S2_EEvT2_20rocsparse_direction_NS_24const_host_device_scalarIT0_EES3_PKS3_PKT1_SC_S9_PKT3_PKT4_S7_PT5_21rocsparse_index_base_b.has_recursion, 0
	.set _ZN9rocsparseL20bsrxmvn_17_32_kernelILj28E21rocsparse_complex_numIdEiiS2_S2_S2_EEvT2_20rocsparse_direction_NS_24const_host_device_scalarIT0_EES3_PKS3_PKT1_SC_S9_PKT3_PKT4_S7_PT5_21rocsparse_index_base_b.has_indirect_call, 0
	.section	.AMDGPU.csdata,"",@progbits
; Kernel info:
; codeLenInByte = 1640
; TotalNumSgprs: 22
; NumVgprs: 29
; ScratchSize: 0
; MemoryBound: 0
; FloatMode: 240
; IeeeMode: 1
; LDSByteSize: 12544 bytes/workgroup (compile time only)
; SGPRBlocks: 2
; VGPRBlocks: 7
; NumSGPRsForWavesPerEU: 22
; NumVGPRsForWavesPerEU: 29
; Occupancy: 8
; WaveLimiterHint : 1
; COMPUTE_PGM_RSRC2:SCRATCH_EN: 0
; COMPUTE_PGM_RSRC2:USER_SGPR: 6
; COMPUTE_PGM_RSRC2:TRAP_HANDLER: 0
; COMPUTE_PGM_RSRC2:TGID_X_EN: 1
; COMPUTE_PGM_RSRC2:TGID_Y_EN: 0
; COMPUTE_PGM_RSRC2:TGID_Z_EN: 0
; COMPUTE_PGM_RSRC2:TIDIG_COMP_CNT: 0
	.section	.text._ZN9rocsparseL20bsrxmvn_17_32_kernelILj29E21rocsparse_complex_numIdEiiS2_S2_S2_EEvT2_20rocsparse_direction_NS_24const_host_device_scalarIT0_EES3_PKS3_PKT1_SC_S9_PKT3_PKT4_S7_PT5_21rocsparse_index_base_b,"axG",@progbits,_ZN9rocsparseL20bsrxmvn_17_32_kernelILj29E21rocsparse_complex_numIdEiiS2_S2_S2_EEvT2_20rocsparse_direction_NS_24const_host_device_scalarIT0_EES3_PKS3_PKT1_SC_S9_PKT3_PKT4_S7_PT5_21rocsparse_index_base_b,comdat
	.globl	_ZN9rocsparseL20bsrxmvn_17_32_kernelILj29E21rocsparse_complex_numIdEiiS2_S2_S2_EEvT2_20rocsparse_direction_NS_24const_host_device_scalarIT0_EES3_PKS3_PKT1_SC_S9_PKT3_PKT4_S7_PT5_21rocsparse_index_base_b ; -- Begin function _ZN9rocsparseL20bsrxmvn_17_32_kernelILj29E21rocsparse_complex_numIdEiiS2_S2_S2_EEvT2_20rocsparse_direction_NS_24const_host_device_scalarIT0_EES3_PKS3_PKT1_SC_S9_PKT3_PKT4_S7_PT5_21rocsparse_index_base_b
	.p2align	8
	.type	_ZN9rocsparseL20bsrxmvn_17_32_kernelILj29E21rocsparse_complex_numIdEiiS2_S2_S2_EEvT2_20rocsparse_direction_NS_24const_host_device_scalarIT0_EES3_PKS3_PKT1_SC_S9_PKT3_PKT4_S7_PT5_21rocsparse_index_base_b,@function
_ZN9rocsparseL20bsrxmvn_17_32_kernelILj29E21rocsparse_complex_numIdEiiS2_S2_S2_EEvT2_20rocsparse_direction_NS_24const_host_device_scalarIT0_EES3_PKS3_PKT1_SC_S9_PKT3_PKT4_S7_PT5_21rocsparse_index_base_b: ; @_ZN9rocsparseL20bsrxmvn_17_32_kernelILj29E21rocsparse_complex_numIdEiiS2_S2_S2_EEvT2_20rocsparse_direction_NS_24const_host_device_scalarIT0_EES3_PKS3_PKT1_SC_S9_PKT3_PKT4_S7_PT5_21rocsparse_index_base_b
; %bb.0:
	s_load_dwordx2 s[0:1], s[4:5], 0x8
	s_load_dwordx2 s[14:15], s[4:5], 0x68
	s_add_u32 s7, s4, 8
	s_addc_u32 s8, s5, 0
	s_add_u32 s9, s4, 0x50
	s_addc_u32 s10, s5, 0
	s_waitcnt lgkmcnt(0)
	s_bitcmp1_b32 s15, 0
	s_cselect_b32 s1, s8, s1
	s_cselect_b32 s0, s7, s0
	v_mov_b32_e32 v1, s0
	v_mov_b32_e32 v2, s1
	flat_load_dwordx4 v[5:8], v[1:2]
	s_load_dwordx2 s[2:3], s[4:5], 0x50
	s_waitcnt lgkmcnt(0)
	s_cselect_b32 s0, s10, s3
	s_cselect_b32 s1, s9, s2
	v_mov_b32_e32 v1, s1
	v_mov_b32_e32 v2, s0
	flat_load_dwordx4 v[1:4], v[1:2]
	s_waitcnt vmcnt(0)
	v_cmp_eq_f64_e32 vcc, 0, v[5:6]
	v_cmp_eq_f64_e64 s[0:1], 0, v[7:8]
	s_and_b64 s[8:9], vcc, s[0:1]
	s_mov_b64 s[0:1], -1
	s_and_saveexec_b64 s[2:3], s[8:9]
	s_cbranch_execz .LBB60_2
; %bb.1:
	s_waitcnt lgkmcnt(0)
	v_cmp_neq_f64_e32 vcc, 1.0, v[1:2]
	v_cmp_neq_f64_e64 s[0:1], 0, v[3:4]
	s_or_b64 s[0:1], vcc, s[0:1]
	s_orn2_b64 s[0:1], s[0:1], exec
.LBB60_2:
	s_or_b64 exec, exec, s[2:3]
	s_and_saveexec_b64 s[2:3], s[0:1]
	s_cbranch_execz .LBB60_39
; %bb.3:
	s_load_dwordx4 s[0:3], s[4:5], 0x20
	s_load_dwordx2 s[8:9], s[4:5], 0x30
	s_waitcnt lgkmcnt(0)
	s_cmp_eq_u64 s[0:1], 0
	s_cbranch_scc1 .LBB60_5
; %bb.4:
	s_ashr_i32 s7, s6, 31
	s_lshl_b64 s[6:7], s[6:7], 2
	s_add_u32 s0, s0, s6
	s_addc_u32 s1, s1, s7
	s_load_dword s0, s[0:1], 0x0
	s_waitcnt lgkmcnt(0)
	s_sub_i32 s6, s0, s14
.LBB60_5:
	s_load_dword s0, s[4:5], 0x4
	s_load_dwordx2 s[12:13], s[4:5], 0x60
	v_mul_u32_u24_e32 v13, 0x8d4, v0
	v_mov_b32_e32 v9, 29
	v_mul_lo_u16_sdwa v9, v13, v9 dst_sel:DWORD dst_unused:UNUSED_PAD src0_sel:WORD_1 src1_sel:DWORD
	s_waitcnt lgkmcnt(0)
	s_cmp_eq_u32 s0, 1
	s_cselect_b64 vcc, -1, 0
	s_cmp_lg_u32 s0, 1
	s_cselect_b64 s[16:17], -1, 0
	s_ashr_i32 s7, s6, 31
	s_lshl_b64 s[0:1], s[6:7], 2
	s_add_u32 s2, s2, s0
	s_addc_u32 s3, s3, s1
	s_load_dword s7, s[2:3], 0x0
	s_add_u32 s2, s2, 4
	s_addc_u32 s3, s3, 0
	s_add_u32 s0, s8, s0
	s_addc_u32 s1, s9, s1
	s_cmp_eq_u64 s[8:9], 0
	s_cselect_b32 s1, s3, s1
	s_cselect_b32 s0, s2, s0
	s_load_dword s0, s[0:1], 0x0
	v_sub_u16_e32 v19, v0, v9
	v_mov_b32_e32 v11, 0
	v_mov_b32_e32 v9, 0
	;; [unrolled: 1-line block ×3, first 2 shown]
	s_waitcnt lgkmcnt(0)
	s_cmp_ge_i32 s7, s0
	v_mov_b32_e32 v10, 0
	v_lshlrev_b32_e32 v18, 4, v0
	s_cbranch_scc1 .LBB60_10
; %bb.6:
	s_load_dwordx2 s[2:3], s[4:5], 0x48
	s_load_dwordx4 s[8:11], s[4:5], 0x38
	s_sub_i32 s4, s0, s14
	s_mov_b32 s0, 0xffff
	s_movk_i32 s1, 0x349
	v_and_b32_sdwa v9, s0, v13 dst_sel:DWORD dst_unused:UNUSED_PAD src0_sel:DWORD src1_sel:WORD_1
	v_subrev_u32_e32 v10, 29, v9
	v_cmp_gt_u32_e64 s[0:1], s1, v0
	s_sub_i32 s5, s7, s14
	v_cndmask_b32_e64 v9, v10, v9, s[0:1]
	s_mul_i32 s1, s5, 0x3490
	s_mul_hi_i32 s0, s5, 0x3490
	s_waitcnt lgkmcnt(0)
	s_add_u32 s1, s10, s1
	s_addc_u32 s0, s11, s0
	v_cndmask_b32_e32 v13, v19, v9, vcc
	v_mov_b32_e32 v9, s0
	v_add_co_u32_e32 v14, vcc, s1, v18
	v_addc_co_u32_e32 v15, vcc, 0, v9, vcc
	s_movk_i32 s0, 0x348
	v_mov_b32_e32 v11, 0
	v_mov_b32_e32 v12, 0
	v_cmp_lt_u32_e32 vcc, s0, v0
	v_mov_b32_e32 v9, v11
	v_cndmask_b32_e64 v20, 0, 1, vcc
	v_mov_b32_e32 v10, v12
	s_branch .LBB60_8
.LBB60_7:                               ;   in Loop: Header=BB60_8 Depth=1
	s_or_b64 exec, exec, s[0:1]
	s_add_i32 s5, s5, 1
	s_cmp_lt_i32 s5, s4
	s_cbranch_scc0 .LBB60_10
.LBB60_8:                               ; =>This Inner Loop Header: Depth=1
	v_add_u32_e32 v16, s5, v20
	v_cmp_gt_i32_e32 vcc, s4, v16
	s_and_saveexec_b64 s[0:1], vcc
	s_cbranch_execz .LBB60_7
; %bb.9:                                ;   in Loop: Header=BB60_8 Depth=1
	v_ashrrev_i32_e32 v17, 31, v16
	v_lshlrev_b64 v[16:17], 2, v[16:17]
	v_mov_b32_e32 v21, s9
	v_add_co_u32_e32 v16, vcc, s8, v16
	v_addc_co_u32_e32 v17, vcc, v21, v17, vcc
	global_load_dword v16, v[16:17], off
	v_mov_b32_e32 v25, s3
	global_load_dwordx4 v[21:24], v[14:15], off
	s_waitcnt vmcnt(1)
	v_subrev_u32_e32 v16, s14, v16
	v_mad_u64_u32 v[16:17], s[10:11], v16, 29, v[13:14]
	v_ashrrev_i32_e32 v17, 31, v16
	v_lshlrev_b64 v[16:17], 4, v[16:17]
	v_add_co_u32_e32 v16, vcc, s2, v16
	v_addc_co_u32_e32 v17, vcc, v25, v17, vcc
	global_load_dwordx4 v[25:28], v[16:17], off
	v_add_co_u32_e32 v14, vcc, 0x3490, v14
	v_addc_co_u32_e32 v15, vcc, 0, v15, vcc
	s_waitcnt vmcnt(0)
	v_fma_f64 v[9:10], v[21:22], v[25:26], v[9:10]
	v_fma_f64 v[11:12], v[23:24], v[25:26], v[11:12]
	v_fma_f64 v[9:10], -v[23:24], v[27:28], v[9:10]
	v_fma_f64 v[11:12], v[21:22], v[27:28], v[11:12]
	s_branch .LBB60_7
.LBB60_10:
	s_and_b64 vcc, exec, s[16:17]
	ds_write_b128 v18, v[9:12]
	s_waitcnt lgkmcnt(0)
	s_barrier
	s_cbranch_vccz .LBB60_22
; %bb.11:
	v_cmp_gt_u16_e32 vcc, 13, v19
	s_and_saveexec_b64 s[0:1], vcc
	s_cbranch_execz .LBB60_13
; %bb.12:
	ds_read_b128 v[13:16], v18 offset:256
	ds_read_b128 v[20:23], v18
	s_waitcnt lgkmcnt(0)
	v_add_f64 v[13:14], v[13:14], v[20:21]
	v_add_f64 v[15:16], v[15:16], v[22:23]
	ds_write_b128 v18, v[13:16]
.LBB60_13:
	s_or_b64 exec, exec, s[0:1]
	v_cmp_gt_u16_e32 vcc, 8, v19
	s_waitcnt lgkmcnt(0)
	s_barrier
	s_and_saveexec_b64 s[0:1], vcc
	s_cbranch_execz .LBB60_15
; %bb.14:
	ds_read_b128 v[13:16], v18 offset:128
	ds_read_b128 v[20:23], v18
	s_waitcnt lgkmcnt(0)
	v_add_f64 v[13:14], v[13:14], v[20:21]
	v_add_f64 v[15:16], v[15:16], v[22:23]
	ds_write_b128 v18, v[13:16]
.LBB60_15:
	s_or_b64 exec, exec, s[0:1]
	v_cmp_gt_u16_e32 vcc, 4, v19
	s_waitcnt lgkmcnt(0)
	s_barrier
	;; [unrolled: 14-line block ×3, first 2 shown]
	s_and_saveexec_b64 s[0:1], vcc
	s_cbranch_execz .LBB60_19
; %bb.18:
	ds_read_b128 v[13:16], v18
	ds_read_b128 v[19:22], v18 offset:32
	s_waitcnt lgkmcnt(0)
	v_add_f64 v[13:14], v[19:20], v[13:14]
	v_add_f64 v[15:16], v[21:22], v[15:16]
	ds_write_b128 v18, v[13:16]
.LBB60_19:
	s_or_b64 exec, exec, s[0:1]
	v_mov_b32_e32 v16, v12
	v_mov_b32_e32 v14, v10
	v_cmp_gt_u32_e32 vcc, 29, v0
	v_mov_b32_e32 v15, v11
	v_mov_b32_e32 v13, v9
	s_waitcnt lgkmcnt(0)
	s_barrier
	s_and_saveexec_b64 s[0:1], vcc
	s_cbranch_execz .LBB60_21
; %bb.20:
	s_movk_i32 s2, 0x1c0
	v_mad_u32_u24 v17, v0, s2, v18
	ds_read_b128 v[13:16], v17
	ds_read_b128 v[19:22], v17 offset:16
	s_waitcnt lgkmcnt(0)
	v_add_f64 v[13:14], v[19:20], v[13:14]
	v_add_f64 v[15:16], v[21:22], v[15:16]
.LBB60_21:
	s_or_b64 exec, exec, s[0:1]
	s_branch .LBB60_34
.LBB60_22:
                                        ; implicit-def: $vgpr15_vgpr16
                                        ; implicit-def: $vgpr13_vgpr14
	s_cbranch_execz .LBB60_34
; %bb.23:
	s_movk_i32 s0, 0x179
	v_cmp_gt_u32_e32 vcc, s0, v0
	s_and_saveexec_b64 s[0:1], vcc
	s_cbranch_execz .LBB60_25
; %bb.24:
	ds_read_b128 v[13:16], v18 offset:7424
	ds_read_b128 v[19:22], v18
	s_waitcnt lgkmcnt(0)
	v_add_f64 v[13:14], v[13:14], v[19:20]
	v_add_f64 v[15:16], v[15:16], v[21:22]
	ds_write_b128 v18, v[13:16]
.LBB60_25:
	s_or_b64 exec, exec, s[0:1]
	s_movk_i32 s0, 0xe8
	v_cmp_gt_u32_e32 vcc, s0, v0
	s_waitcnt lgkmcnt(0)
	s_barrier
	s_and_saveexec_b64 s[0:1], vcc
	s_cbranch_execz .LBB60_27
; %bb.26:
	ds_read_b128 v[13:16], v18 offset:3712
	ds_read_b128 v[19:22], v18
	s_waitcnt lgkmcnt(0)
	v_add_f64 v[13:14], v[13:14], v[19:20]
	v_add_f64 v[15:16], v[15:16], v[21:22]
	ds_write_b128 v18, v[13:16]
.LBB60_27:
	s_or_b64 exec, exec, s[0:1]
	s_movk_i32 s0, 0x74
	v_cmp_gt_u32_e32 vcc, s0, v0
	s_waitcnt lgkmcnt(0)
	s_barrier
	s_and_saveexec_b64 s[0:1], vcc
	s_cbranch_execz .LBB60_29
; %bb.28:
	ds_read_b128 v[13:16], v18 offset:1856
	ds_read_b128 v[19:22], v18
	s_waitcnt lgkmcnt(0)
	v_add_f64 v[13:14], v[13:14], v[19:20]
	v_add_f64 v[15:16], v[15:16], v[21:22]
	ds_write_b128 v18, v[13:16]
.LBB60_29:
	s_or_b64 exec, exec, s[0:1]
	v_cmp_gt_u32_e32 vcc, 58, v0
	s_waitcnt lgkmcnt(0)
	s_barrier
	s_and_saveexec_b64 s[0:1], vcc
	s_cbranch_execz .LBB60_31
; %bb.30:
	ds_read_b128 v[13:16], v18 offset:928
	ds_read_b128 v[19:22], v18
	s_waitcnt lgkmcnt(0)
	v_add_f64 v[13:14], v[13:14], v[19:20]
	v_add_f64 v[15:16], v[15:16], v[21:22]
	ds_write_b128 v18, v[13:16]
.LBB60_31:
	s_or_b64 exec, exec, s[0:1]
	v_cmp_gt_u32_e32 vcc, 29, v0
	s_waitcnt lgkmcnt(0)
	s_and_saveexec_b64 s[0:1], vcc
	s_cbranch_execz .LBB60_33
; %bb.32:
	ds_read_b128 v[9:12], v18 offset:464
	ds_read_b128 v[13:16], v18
	s_waitcnt lgkmcnt(0)
	v_add_f64 v[9:10], v[9:10], v[13:14]
	v_add_f64 v[11:12], v[11:12], v[15:16]
.LBB60_33:
	s_or_b64 exec, exec, s[0:1]
	v_mov_b32_e32 v16, v12
	v_mov_b32_e32 v14, v10
	;; [unrolled: 1-line block ×4, first 2 shown]
.LBB60_34:
	v_cmp_gt_u32_e32 vcc, 29, v0
	s_and_b64 exec, exec, vcc
	s_cbranch_execz .LBB60_39
; %bb.35:
	v_mul_f64 v[9:10], v[15:16], -v[7:8]
	v_mul_f64 v[11:12], v[5:6], v[15:16]
	v_cmp_eq_f64_e32 vcc, 0, v[1:2]
	v_cmp_eq_f64_e64 s[0:1], 0, v[3:4]
	v_fma_f64 v[5:6], v[5:6], v[13:14], v[9:10]
	v_fma_f64 v[7:8], v[7:8], v[13:14], v[11:12]
	s_and_b64 s[0:1], vcc, s[0:1]
	s_and_saveexec_b64 s[2:3], s[0:1]
	s_xor_b64 s[0:1], exec, s[2:3]
	s_cbranch_execz .LBB60_37
; %bb.36:
	v_mad_u64_u32 v[0:1], s[2:3], s6, 29, v[0:1]
	v_mov_b32_e32 v1, 0
	v_mov_b32_e32 v2, s13
	v_lshlrev_b64 v[0:1], 4, v[0:1]
	v_add_co_u32_e32 v0, vcc, s12, v0
	v_addc_co_u32_e32 v1, vcc, v2, v1, vcc
	global_store_dwordx4 v[0:1], v[5:8], off
                                        ; implicit-def: $vgpr0
                                        ; implicit-def: $vgpr1_vgpr2
                                        ; implicit-def: $vgpr5_vgpr6
.LBB60_37:
	s_andn2_saveexec_b64 s[0:1], s[0:1]
	s_cbranch_execz .LBB60_39
; %bb.38:
	v_mad_u64_u32 v[9:10], s[0:1], s6, 29, v[0:1]
	v_mov_b32_e32 v10, 0
	v_mov_b32_e32 v0, s13
	v_lshlrev_b64 v[9:10], 4, v[9:10]
	v_add_co_u32_e32 v13, vcc, s12, v9
	v_addc_co_u32_e32 v14, vcc, v0, v10, vcc
	global_load_dwordx4 v[9:12], v[13:14], off
	s_waitcnt vmcnt(0)
	v_fma_f64 v[5:6], v[1:2], v[9:10], v[5:6]
	v_fma_f64 v[7:8], v[3:4], v[9:10], v[7:8]
	v_fma_f64 v[3:4], -v[3:4], v[11:12], v[5:6]
	v_fma_f64 v[5:6], v[1:2], v[11:12], v[7:8]
	global_store_dwordx4 v[13:14], v[3:6], off
.LBB60_39:
	s_endpgm
	.section	.rodata,"a",@progbits
	.p2align	6, 0x0
	.amdhsa_kernel _ZN9rocsparseL20bsrxmvn_17_32_kernelILj29E21rocsparse_complex_numIdEiiS2_S2_S2_EEvT2_20rocsparse_direction_NS_24const_host_device_scalarIT0_EES3_PKS3_PKT1_SC_S9_PKT3_PKT4_S7_PT5_21rocsparse_index_base_b
		.amdhsa_group_segment_fixed_size 13456
		.amdhsa_private_segment_fixed_size 0
		.amdhsa_kernarg_size 112
		.amdhsa_user_sgpr_count 6
		.amdhsa_user_sgpr_private_segment_buffer 1
		.amdhsa_user_sgpr_dispatch_ptr 0
		.amdhsa_user_sgpr_queue_ptr 0
		.amdhsa_user_sgpr_kernarg_segment_ptr 1
		.amdhsa_user_sgpr_dispatch_id 0
		.amdhsa_user_sgpr_flat_scratch_init 0
		.amdhsa_user_sgpr_private_segment_size 0
		.amdhsa_uses_dynamic_stack 0
		.amdhsa_system_sgpr_private_segment_wavefront_offset 0
		.amdhsa_system_sgpr_workgroup_id_x 1
		.amdhsa_system_sgpr_workgroup_id_y 0
		.amdhsa_system_sgpr_workgroup_id_z 0
		.amdhsa_system_sgpr_workgroup_info 0
		.amdhsa_system_vgpr_workitem_id 0
		.amdhsa_next_free_vgpr 33
		.amdhsa_next_free_sgpr 77
		.amdhsa_reserve_vcc 1
		.amdhsa_reserve_flat_scratch 0
		.amdhsa_float_round_mode_32 0
		.amdhsa_float_round_mode_16_64 0
		.amdhsa_float_denorm_mode_32 3
		.amdhsa_float_denorm_mode_16_64 3
		.amdhsa_dx10_clamp 1
		.amdhsa_ieee_mode 1
		.amdhsa_fp16_overflow 0
		.amdhsa_exception_fp_ieee_invalid_op 0
		.amdhsa_exception_fp_denorm_src 0
		.amdhsa_exception_fp_ieee_div_zero 0
		.amdhsa_exception_fp_ieee_overflow 0
		.amdhsa_exception_fp_ieee_underflow 0
		.amdhsa_exception_fp_ieee_inexact 0
		.amdhsa_exception_int_div_zero 0
	.end_amdhsa_kernel
	.section	.text._ZN9rocsparseL20bsrxmvn_17_32_kernelILj29E21rocsparse_complex_numIdEiiS2_S2_S2_EEvT2_20rocsparse_direction_NS_24const_host_device_scalarIT0_EES3_PKS3_PKT1_SC_S9_PKT3_PKT4_S7_PT5_21rocsparse_index_base_b,"axG",@progbits,_ZN9rocsparseL20bsrxmvn_17_32_kernelILj29E21rocsparse_complex_numIdEiiS2_S2_S2_EEvT2_20rocsparse_direction_NS_24const_host_device_scalarIT0_EES3_PKS3_PKT1_SC_S9_PKT3_PKT4_S7_PT5_21rocsparse_index_base_b,comdat
.Lfunc_end60:
	.size	_ZN9rocsparseL20bsrxmvn_17_32_kernelILj29E21rocsparse_complex_numIdEiiS2_S2_S2_EEvT2_20rocsparse_direction_NS_24const_host_device_scalarIT0_EES3_PKS3_PKT1_SC_S9_PKT3_PKT4_S7_PT5_21rocsparse_index_base_b, .Lfunc_end60-_ZN9rocsparseL20bsrxmvn_17_32_kernelILj29E21rocsparse_complex_numIdEiiS2_S2_S2_EEvT2_20rocsparse_direction_NS_24const_host_device_scalarIT0_EES3_PKS3_PKT1_SC_S9_PKT3_PKT4_S7_PT5_21rocsparse_index_base_b
                                        ; -- End function
	.set _ZN9rocsparseL20bsrxmvn_17_32_kernelILj29E21rocsparse_complex_numIdEiiS2_S2_S2_EEvT2_20rocsparse_direction_NS_24const_host_device_scalarIT0_EES3_PKS3_PKT1_SC_S9_PKT3_PKT4_S7_PT5_21rocsparse_index_base_b.num_vgpr, 29
	.set _ZN9rocsparseL20bsrxmvn_17_32_kernelILj29E21rocsparse_complex_numIdEiiS2_S2_S2_EEvT2_20rocsparse_direction_NS_24const_host_device_scalarIT0_EES3_PKS3_PKT1_SC_S9_PKT3_PKT4_S7_PT5_21rocsparse_index_base_b.num_agpr, 0
	.set _ZN9rocsparseL20bsrxmvn_17_32_kernelILj29E21rocsparse_complex_numIdEiiS2_S2_S2_EEvT2_20rocsparse_direction_NS_24const_host_device_scalarIT0_EES3_PKS3_PKT1_SC_S9_PKT3_PKT4_S7_PT5_21rocsparse_index_base_b.numbered_sgpr, 18
	.set _ZN9rocsparseL20bsrxmvn_17_32_kernelILj29E21rocsparse_complex_numIdEiiS2_S2_S2_EEvT2_20rocsparse_direction_NS_24const_host_device_scalarIT0_EES3_PKS3_PKT1_SC_S9_PKT3_PKT4_S7_PT5_21rocsparse_index_base_b.num_named_barrier, 0
	.set _ZN9rocsparseL20bsrxmvn_17_32_kernelILj29E21rocsparse_complex_numIdEiiS2_S2_S2_EEvT2_20rocsparse_direction_NS_24const_host_device_scalarIT0_EES3_PKS3_PKT1_SC_S9_PKT3_PKT4_S7_PT5_21rocsparse_index_base_b.private_seg_size, 0
	.set _ZN9rocsparseL20bsrxmvn_17_32_kernelILj29E21rocsparse_complex_numIdEiiS2_S2_S2_EEvT2_20rocsparse_direction_NS_24const_host_device_scalarIT0_EES3_PKS3_PKT1_SC_S9_PKT3_PKT4_S7_PT5_21rocsparse_index_base_b.uses_vcc, 1
	.set _ZN9rocsparseL20bsrxmvn_17_32_kernelILj29E21rocsparse_complex_numIdEiiS2_S2_S2_EEvT2_20rocsparse_direction_NS_24const_host_device_scalarIT0_EES3_PKS3_PKT1_SC_S9_PKT3_PKT4_S7_PT5_21rocsparse_index_base_b.uses_flat_scratch, 0
	.set _ZN9rocsparseL20bsrxmvn_17_32_kernelILj29E21rocsparse_complex_numIdEiiS2_S2_S2_EEvT2_20rocsparse_direction_NS_24const_host_device_scalarIT0_EES3_PKS3_PKT1_SC_S9_PKT3_PKT4_S7_PT5_21rocsparse_index_base_b.has_dyn_sized_stack, 0
	.set _ZN9rocsparseL20bsrxmvn_17_32_kernelILj29E21rocsparse_complex_numIdEiiS2_S2_S2_EEvT2_20rocsparse_direction_NS_24const_host_device_scalarIT0_EES3_PKS3_PKT1_SC_S9_PKT3_PKT4_S7_PT5_21rocsparse_index_base_b.has_recursion, 0
	.set _ZN9rocsparseL20bsrxmvn_17_32_kernelILj29E21rocsparse_complex_numIdEiiS2_S2_S2_EEvT2_20rocsparse_direction_NS_24const_host_device_scalarIT0_EES3_PKS3_PKT1_SC_S9_PKT3_PKT4_S7_PT5_21rocsparse_index_base_b.has_indirect_call, 0
	.section	.AMDGPU.csdata,"",@progbits
; Kernel info:
; codeLenInByte = 1640
; TotalNumSgprs: 22
; NumVgprs: 29
; ScratchSize: 0
; MemoryBound: 0
; FloatMode: 240
; IeeeMode: 1
; LDSByteSize: 13456 bytes/workgroup (compile time only)
; SGPRBlocks: 10
; VGPRBlocks: 8
; NumSGPRsForWavesPerEU: 81
; NumVGPRsForWavesPerEU: 33
; Occupancy: 7
; WaveLimiterHint : 1
; COMPUTE_PGM_RSRC2:SCRATCH_EN: 0
; COMPUTE_PGM_RSRC2:USER_SGPR: 6
; COMPUTE_PGM_RSRC2:TRAP_HANDLER: 0
; COMPUTE_PGM_RSRC2:TGID_X_EN: 1
; COMPUTE_PGM_RSRC2:TGID_Y_EN: 0
; COMPUTE_PGM_RSRC2:TGID_Z_EN: 0
; COMPUTE_PGM_RSRC2:TIDIG_COMP_CNT: 0
	.section	.text._ZN9rocsparseL20bsrxmvn_17_32_kernelILj30E21rocsparse_complex_numIdEiiS2_S2_S2_EEvT2_20rocsparse_direction_NS_24const_host_device_scalarIT0_EES3_PKS3_PKT1_SC_S9_PKT3_PKT4_S7_PT5_21rocsparse_index_base_b,"axG",@progbits,_ZN9rocsparseL20bsrxmvn_17_32_kernelILj30E21rocsparse_complex_numIdEiiS2_S2_S2_EEvT2_20rocsparse_direction_NS_24const_host_device_scalarIT0_EES3_PKS3_PKT1_SC_S9_PKT3_PKT4_S7_PT5_21rocsparse_index_base_b,comdat
	.globl	_ZN9rocsparseL20bsrxmvn_17_32_kernelILj30E21rocsparse_complex_numIdEiiS2_S2_S2_EEvT2_20rocsparse_direction_NS_24const_host_device_scalarIT0_EES3_PKS3_PKT1_SC_S9_PKT3_PKT4_S7_PT5_21rocsparse_index_base_b ; -- Begin function _ZN9rocsparseL20bsrxmvn_17_32_kernelILj30E21rocsparse_complex_numIdEiiS2_S2_S2_EEvT2_20rocsparse_direction_NS_24const_host_device_scalarIT0_EES3_PKS3_PKT1_SC_S9_PKT3_PKT4_S7_PT5_21rocsparse_index_base_b
	.p2align	8
	.type	_ZN9rocsparseL20bsrxmvn_17_32_kernelILj30E21rocsparse_complex_numIdEiiS2_S2_S2_EEvT2_20rocsparse_direction_NS_24const_host_device_scalarIT0_EES3_PKS3_PKT1_SC_S9_PKT3_PKT4_S7_PT5_21rocsparse_index_base_b,@function
_ZN9rocsparseL20bsrxmvn_17_32_kernelILj30E21rocsparse_complex_numIdEiiS2_S2_S2_EEvT2_20rocsparse_direction_NS_24const_host_device_scalarIT0_EES3_PKS3_PKT1_SC_S9_PKT3_PKT4_S7_PT5_21rocsparse_index_base_b: ; @_ZN9rocsparseL20bsrxmvn_17_32_kernelILj30E21rocsparse_complex_numIdEiiS2_S2_S2_EEvT2_20rocsparse_direction_NS_24const_host_device_scalarIT0_EES3_PKS3_PKT1_SC_S9_PKT3_PKT4_S7_PT5_21rocsparse_index_base_b
; %bb.0:
	s_load_dwordx2 s[0:1], s[4:5], 0x8
	s_load_dwordx2 s[14:15], s[4:5], 0x68
	s_add_u32 s7, s4, 8
	s_addc_u32 s8, s5, 0
	s_add_u32 s9, s4, 0x50
	s_addc_u32 s10, s5, 0
	s_waitcnt lgkmcnt(0)
	s_bitcmp1_b32 s15, 0
	s_cselect_b32 s1, s8, s1
	s_cselect_b32 s0, s7, s0
	v_mov_b32_e32 v1, s0
	v_mov_b32_e32 v2, s1
	flat_load_dwordx4 v[5:8], v[1:2]
	s_load_dwordx2 s[2:3], s[4:5], 0x50
	s_waitcnt lgkmcnt(0)
	s_cselect_b32 s0, s10, s3
	s_cselect_b32 s1, s9, s2
	v_mov_b32_e32 v1, s1
	v_mov_b32_e32 v2, s0
	flat_load_dwordx4 v[1:4], v[1:2]
	s_waitcnt vmcnt(0)
	v_cmp_eq_f64_e32 vcc, 0, v[5:6]
	v_cmp_eq_f64_e64 s[0:1], 0, v[7:8]
	s_and_b64 s[8:9], vcc, s[0:1]
	s_mov_b64 s[0:1], -1
	s_and_saveexec_b64 s[2:3], s[8:9]
	s_cbranch_execz .LBB61_2
; %bb.1:
	s_waitcnt lgkmcnt(0)
	v_cmp_neq_f64_e32 vcc, 1.0, v[1:2]
	v_cmp_neq_f64_e64 s[0:1], 0, v[3:4]
	s_or_b64 s[0:1], vcc, s[0:1]
	s_orn2_b64 s[0:1], s[0:1], exec
.LBB61_2:
	s_or_b64 exec, exec, s[2:3]
	s_and_saveexec_b64 s[2:3], s[0:1]
	s_cbranch_execz .LBB61_39
; %bb.3:
	s_load_dwordx4 s[0:3], s[4:5], 0x20
	s_load_dwordx2 s[8:9], s[4:5], 0x30
	s_waitcnt lgkmcnt(0)
	s_cmp_eq_u64 s[0:1], 0
	s_cbranch_scc1 .LBB61_5
; %bb.4:
	s_ashr_i32 s7, s6, 31
	s_lshl_b64 s[6:7], s[6:7], 2
	s_add_u32 s0, s0, s6
	s_addc_u32 s1, s1, s7
	s_load_dword s0, s[0:1], 0x0
	s_waitcnt lgkmcnt(0)
	s_sub_i32 s6, s0, s14
.LBB61_5:
	s_load_dword s0, s[4:5], 0x4
	s_load_dwordx2 s[12:13], s[4:5], 0x60
	v_mul_u32_u24_e32 v13, 0x889, v0
	v_mov_b32_e32 v9, 30
	v_mul_lo_u16_sdwa v9, v13, v9 dst_sel:DWORD dst_unused:UNUSED_PAD src0_sel:WORD_1 src1_sel:DWORD
	s_waitcnt lgkmcnt(0)
	s_cmp_eq_u32 s0, 1
	s_cselect_b64 vcc, -1, 0
	s_cmp_lg_u32 s0, 1
	s_cselect_b64 s[16:17], -1, 0
	s_ashr_i32 s7, s6, 31
	s_lshl_b64 s[0:1], s[6:7], 2
	s_add_u32 s2, s2, s0
	s_addc_u32 s3, s3, s1
	s_load_dword s7, s[2:3], 0x0
	s_add_u32 s2, s2, 4
	s_addc_u32 s3, s3, 0
	s_add_u32 s0, s8, s0
	s_addc_u32 s1, s9, s1
	s_cmp_eq_u64 s[8:9], 0
	s_cselect_b32 s1, s3, s1
	s_cselect_b32 s0, s2, s0
	s_load_dword s0, s[0:1], 0x0
	v_sub_u16_e32 v19, v0, v9
	v_mov_b32_e32 v11, 0
	v_mov_b32_e32 v9, 0
	;; [unrolled: 1-line block ×3, first 2 shown]
	s_waitcnt lgkmcnt(0)
	s_cmp_ge_i32 s7, s0
	v_mov_b32_e32 v10, 0
	v_lshlrev_b32_e32 v18, 4, v0
	s_cbranch_scc1 .LBB61_10
; %bb.6:
	s_load_dwordx2 s[2:3], s[4:5], 0x48
	s_load_dwordx4 s[8:11], s[4:5], 0x38
	s_sub_i32 s4, s0, s14
	s_mov_b32 s0, 0xffff
	s_movk_i32 s1, 0x384
	v_and_b32_sdwa v9, s0, v13 dst_sel:DWORD dst_unused:UNUSED_PAD src0_sel:DWORD src1_sel:WORD_1
	v_subrev_u32_e32 v10, 30, v9
	v_cmp_gt_u32_e64 s[0:1], s1, v0
	s_sub_i32 s5, s7, s14
	v_cndmask_b32_e64 v9, v10, v9, s[0:1]
	s_mul_i32 s1, s5, 0x3840
	s_mul_hi_i32 s0, s5, 0x3840
	s_waitcnt lgkmcnt(0)
	s_add_u32 s1, s10, s1
	s_addc_u32 s0, s11, s0
	v_cndmask_b32_e32 v13, v19, v9, vcc
	v_mov_b32_e32 v9, s0
	v_add_co_u32_e32 v14, vcc, s1, v18
	v_addc_co_u32_e32 v15, vcc, 0, v9, vcc
	s_movk_i32 s0, 0x383
	v_mov_b32_e32 v11, 0
	v_mov_b32_e32 v12, 0
	v_cmp_lt_u32_e32 vcc, s0, v0
	v_mov_b32_e32 v9, v11
	v_cndmask_b32_e64 v20, 0, 1, vcc
	v_mov_b32_e32 v10, v12
	s_branch .LBB61_8
.LBB61_7:                               ;   in Loop: Header=BB61_8 Depth=1
	s_or_b64 exec, exec, s[0:1]
	s_add_i32 s5, s5, 1
	s_cmp_lt_i32 s5, s4
	s_cbranch_scc0 .LBB61_10
.LBB61_8:                               ; =>This Inner Loop Header: Depth=1
	v_add_u32_e32 v16, s5, v20
	v_cmp_gt_i32_e32 vcc, s4, v16
	s_and_saveexec_b64 s[0:1], vcc
	s_cbranch_execz .LBB61_7
; %bb.9:                                ;   in Loop: Header=BB61_8 Depth=1
	v_ashrrev_i32_e32 v17, 31, v16
	v_lshlrev_b64 v[16:17], 2, v[16:17]
	v_mov_b32_e32 v21, s9
	v_add_co_u32_e32 v16, vcc, s8, v16
	v_addc_co_u32_e32 v17, vcc, v21, v17, vcc
	global_load_dword v16, v[16:17], off
	v_mov_b32_e32 v25, s3
	global_load_dwordx4 v[21:24], v[14:15], off
	s_waitcnt vmcnt(1)
	v_subrev_u32_e32 v16, s14, v16
	v_mad_u64_u32 v[16:17], s[10:11], v16, 30, v[13:14]
	v_ashrrev_i32_e32 v17, 31, v16
	v_lshlrev_b64 v[16:17], 4, v[16:17]
	v_add_co_u32_e32 v16, vcc, s2, v16
	v_addc_co_u32_e32 v17, vcc, v25, v17, vcc
	global_load_dwordx4 v[25:28], v[16:17], off
	v_add_co_u32_e32 v14, vcc, 0x3840, v14
	v_addc_co_u32_e32 v15, vcc, 0, v15, vcc
	s_waitcnt vmcnt(0)
	v_fma_f64 v[9:10], v[21:22], v[25:26], v[9:10]
	v_fma_f64 v[11:12], v[23:24], v[25:26], v[11:12]
	v_fma_f64 v[9:10], -v[23:24], v[27:28], v[9:10]
	v_fma_f64 v[11:12], v[21:22], v[27:28], v[11:12]
	s_branch .LBB61_7
.LBB61_10:
	s_and_b64 vcc, exec, s[16:17]
	ds_write_b128 v18, v[9:12]
	s_waitcnt lgkmcnt(0)
	s_barrier
	s_cbranch_vccz .LBB61_22
; %bb.11:
	v_cmp_gt_u16_e32 vcc, 14, v19
	s_and_saveexec_b64 s[0:1], vcc
	s_cbranch_execz .LBB61_13
; %bb.12:
	ds_read_b128 v[13:16], v18 offset:256
	ds_read_b128 v[20:23], v18
	s_waitcnt lgkmcnt(0)
	v_add_f64 v[13:14], v[13:14], v[20:21]
	v_add_f64 v[15:16], v[15:16], v[22:23]
	ds_write_b128 v18, v[13:16]
.LBB61_13:
	s_or_b64 exec, exec, s[0:1]
	v_cmp_gt_u16_e32 vcc, 8, v19
	s_waitcnt lgkmcnt(0)
	s_barrier
	s_and_saveexec_b64 s[0:1], vcc
	s_cbranch_execz .LBB61_15
; %bb.14:
	ds_read_b128 v[13:16], v18 offset:128
	ds_read_b128 v[20:23], v18
	s_waitcnt lgkmcnt(0)
	v_add_f64 v[13:14], v[13:14], v[20:21]
	v_add_f64 v[15:16], v[15:16], v[22:23]
	ds_write_b128 v18, v[13:16]
.LBB61_15:
	s_or_b64 exec, exec, s[0:1]
	v_cmp_gt_u16_e32 vcc, 4, v19
	s_waitcnt lgkmcnt(0)
	s_barrier
	;; [unrolled: 14-line block ×3, first 2 shown]
	s_and_saveexec_b64 s[0:1], vcc
	s_cbranch_execz .LBB61_19
; %bb.18:
	ds_read_b128 v[13:16], v18
	ds_read_b128 v[19:22], v18 offset:32
	s_waitcnt lgkmcnt(0)
	v_add_f64 v[13:14], v[19:20], v[13:14]
	v_add_f64 v[15:16], v[21:22], v[15:16]
	ds_write_b128 v18, v[13:16]
.LBB61_19:
	s_or_b64 exec, exec, s[0:1]
	v_mov_b32_e32 v16, v12
	v_mov_b32_e32 v14, v10
	v_cmp_gt_u32_e32 vcc, 30, v0
	v_mov_b32_e32 v15, v11
	v_mov_b32_e32 v13, v9
	s_waitcnt lgkmcnt(0)
	s_barrier
	s_and_saveexec_b64 s[0:1], vcc
	s_cbranch_execz .LBB61_21
; %bb.20:
	s_movk_i32 s2, 0x1d0
	v_mad_u32_u24 v17, v0, s2, v18
	ds_read_b128 v[13:16], v17
	ds_read_b128 v[19:22], v17 offset:16
	s_waitcnt lgkmcnt(0)
	v_add_f64 v[13:14], v[19:20], v[13:14]
	v_add_f64 v[15:16], v[21:22], v[15:16]
.LBB61_21:
	s_or_b64 exec, exec, s[0:1]
	s_branch .LBB61_34
.LBB61_22:
                                        ; implicit-def: $vgpr15_vgpr16
                                        ; implicit-def: $vgpr13_vgpr14
	s_cbranch_execz .LBB61_34
; %bb.23:
	s_movk_i32 s0, 0x1a4
	v_cmp_gt_u32_e32 vcc, s0, v0
	s_and_saveexec_b64 s[0:1], vcc
	s_cbranch_execz .LBB61_25
; %bb.24:
	ds_read_b128 v[13:16], v18 offset:7680
	ds_read_b128 v[19:22], v18
	s_waitcnt lgkmcnt(0)
	v_add_f64 v[13:14], v[13:14], v[19:20]
	v_add_f64 v[15:16], v[15:16], v[21:22]
	ds_write_b128 v18, v[13:16]
.LBB61_25:
	s_or_b64 exec, exec, s[0:1]
	s_movk_i32 s0, 0xf0
	v_cmp_gt_u32_e32 vcc, s0, v0
	s_waitcnt lgkmcnt(0)
	s_barrier
	s_and_saveexec_b64 s[0:1], vcc
	s_cbranch_execz .LBB61_27
; %bb.26:
	ds_read_b128 v[13:16], v18 offset:3840
	ds_read_b128 v[19:22], v18
	s_waitcnt lgkmcnt(0)
	v_add_f64 v[13:14], v[13:14], v[19:20]
	v_add_f64 v[15:16], v[15:16], v[21:22]
	ds_write_b128 v18, v[13:16]
.LBB61_27:
	s_or_b64 exec, exec, s[0:1]
	s_movk_i32 s0, 0x78
	v_cmp_gt_u32_e32 vcc, s0, v0
	s_waitcnt lgkmcnt(0)
	s_barrier
	s_and_saveexec_b64 s[0:1], vcc
	s_cbranch_execz .LBB61_29
; %bb.28:
	ds_read_b128 v[13:16], v18 offset:1920
	ds_read_b128 v[19:22], v18
	s_waitcnt lgkmcnt(0)
	v_add_f64 v[13:14], v[13:14], v[19:20]
	v_add_f64 v[15:16], v[15:16], v[21:22]
	ds_write_b128 v18, v[13:16]
.LBB61_29:
	s_or_b64 exec, exec, s[0:1]
	v_cmp_gt_u32_e32 vcc, 60, v0
	s_waitcnt lgkmcnt(0)
	s_barrier
	s_and_saveexec_b64 s[0:1], vcc
	s_cbranch_execz .LBB61_31
; %bb.30:
	ds_read_b128 v[13:16], v18 offset:960
	ds_read_b128 v[19:22], v18
	s_waitcnt lgkmcnt(0)
	v_add_f64 v[13:14], v[13:14], v[19:20]
	v_add_f64 v[15:16], v[15:16], v[21:22]
	ds_write_b128 v18, v[13:16]
.LBB61_31:
	s_or_b64 exec, exec, s[0:1]
	v_cmp_gt_u32_e32 vcc, 30, v0
	s_waitcnt lgkmcnt(0)
	s_and_saveexec_b64 s[0:1], vcc
	s_cbranch_execz .LBB61_33
; %bb.32:
	ds_read_b128 v[9:12], v18 offset:480
	ds_read_b128 v[13:16], v18
	s_waitcnt lgkmcnt(0)
	v_add_f64 v[9:10], v[9:10], v[13:14]
	v_add_f64 v[11:12], v[11:12], v[15:16]
.LBB61_33:
	s_or_b64 exec, exec, s[0:1]
	v_mov_b32_e32 v16, v12
	v_mov_b32_e32 v14, v10
	;; [unrolled: 1-line block ×4, first 2 shown]
.LBB61_34:
	v_cmp_gt_u32_e32 vcc, 30, v0
	s_and_b64 exec, exec, vcc
	s_cbranch_execz .LBB61_39
; %bb.35:
	v_mul_f64 v[9:10], v[15:16], -v[7:8]
	v_mul_f64 v[11:12], v[5:6], v[15:16]
	v_cmp_eq_f64_e32 vcc, 0, v[1:2]
	v_cmp_eq_f64_e64 s[0:1], 0, v[3:4]
	v_fma_f64 v[5:6], v[5:6], v[13:14], v[9:10]
	v_fma_f64 v[7:8], v[7:8], v[13:14], v[11:12]
	s_and_b64 s[0:1], vcc, s[0:1]
	s_and_saveexec_b64 s[2:3], s[0:1]
	s_xor_b64 s[0:1], exec, s[2:3]
	s_cbranch_execz .LBB61_37
; %bb.36:
	v_mad_u64_u32 v[0:1], s[2:3], s6, 30, v[0:1]
	v_mov_b32_e32 v1, 0
	v_mov_b32_e32 v2, s13
	v_lshlrev_b64 v[0:1], 4, v[0:1]
	v_add_co_u32_e32 v0, vcc, s12, v0
	v_addc_co_u32_e32 v1, vcc, v2, v1, vcc
	global_store_dwordx4 v[0:1], v[5:8], off
                                        ; implicit-def: $vgpr0
                                        ; implicit-def: $vgpr1_vgpr2
                                        ; implicit-def: $vgpr5_vgpr6
.LBB61_37:
	s_andn2_saveexec_b64 s[0:1], s[0:1]
	s_cbranch_execz .LBB61_39
; %bb.38:
	v_mad_u64_u32 v[9:10], s[0:1], s6, 30, v[0:1]
	v_mov_b32_e32 v10, 0
	v_mov_b32_e32 v0, s13
	v_lshlrev_b64 v[9:10], 4, v[9:10]
	v_add_co_u32_e32 v13, vcc, s12, v9
	v_addc_co_u32_e32 v14, vcc, v0, v10, vcc
	global_load_dwordx4 v[9:12], v[13:14], off
	s_waitcnt vmcnt(0)
	v_fma_f64 v[5:6], v[1:2], v[9:10], v[5:6]
	v_fma_f64 v[7:8], v[3:4], v[9:10], v[7:8]
	v_fma_f64 v[3:4], -v[3:4], v[11:12], v[5:6]
	v_fma_f64 v[5:6], v[1:2], v[11:12], v[7:8]
	global_store_dwordx4 v[13:14], v[3:6], off
.LBB61_39:
	s_endpgm
	.section	.rodata,"a",@progbits
	.p2align	6, 0x0
	.amdhsa_kernel _ZN9rocsparseL20bsrxmvn_17_32_kernelILj30E21rocsparse_complex_numIdEiiS2_S2_S2_EEvT2_20rocsparse_direction_NS_24const_host_device_scalarIT0_EES3_PKS3_PKT1_SC_S9_PKT3_PKT4_S7_PT5_21rocsparse_index_base_b
		.amdhsa_group_segment_fixed_size 14400
		.amdhsa_private_segment_fixed_size 0
		.amdhsa_kernarg_size 112
		.amdhsa_user_sgpr_count 6
		.amdhsa_user_sgpr_private_segment_buffer 1
		.amdhsa_user_sgpr_dispatch_ptr 0
		.amdhsa_user_sgpr_queue_ptr 0
		.amdhsa_user_sgpr_kernarg_segment_ptr 1
		.amdhsa_user_sgpr_dispatch_id 0
		.amdhsa_user_sgpr_flat_scratch_init 0
		.amdhsa_user_sgpr_private_segment_size 0
		.amdhsa_uses_dynamic_stack 0
		.amdhsa_system_sgpr_private_segment_wavefront_offset 0
		.amdhsa_system_sgpr_workgroup_id_x 1
		.amdhsa_system_sgpr_workgroup_id_y 0
		.amdhsa_system_sgpr_workgroup_id_z 0
		.amdhsa_system_sgpr_workgroup_info 0
		.amdhsa_system_vgpr_workitem_id 0
		.amdhsa_next_free_vgpr 29
		.amdhsa_next_free_sgpr 61
		.amdhsa_reserve_vcc 1
		.amdhsa_reserve_flat_scratch 0
		.amdhsa_float_round_mode_32 0
		.amdhsa_float_round_mode_16_64 0
		.amdhsa_float_denorm_mode_32 3
		.amdhsa_float_denorm_mode_16_64 3
		.amdhsa_dx10_clamp 1
		.amdhsa_ieee_mode 1
		.amdhsa_fp16_overflow 0
		.amdhsa_exception_fp_ieee_invalid_op 0
		.amdhsa_exception_fp_denorm_src 0
		.amdhsa_exception_fp_ieee_div_zero 0
		.amdhsa_exception_fp_ieee_overflow 0
		.amdhsa_exception_fp_ieee_underflow 0
		.amdhsa_exception_fp_ieee_inexact 0
		.amdhsa_exception_int_div_zero 0
	.end_amdhsa_kernel
	.section	.text._ZN9rocsparseL20bsrxmvn_17_32_kernelILj30E21rocsparse_complex_numIdEiiS2_S2_S2_EEvT2_20rocsparse_direction_NS_24const_host_device_scalarIT0_EES3_PKS3_PKT1_SC_S9_PKT3_PKT4_S7_PT5_21rocsparse_index_base_b,"axG",@progbits,_ZN9rocsparseL20bsrxmvn_17_32_kernelILj30E21rocsparse_complex_numIdEiiS2_S2_S2_EEvT2_20rocsparse_direction_NS_24const_host_device_scalarIT0_EES3_PKS3_PKT1_SC_S9_PKT3_PKT4_S7_PT5_21rocsparse_index_base_b,comdat
.Lfunc_end61:
	.size	_ZN9rocsparseL20bsrxmvn_17_32_kernelILj30E21rocsparse_complex_numIdEiiS2_S2_S2_EEvT2_20rocsparse_direction_NS_24const_host_device_scalarIT0_EES3_PKS3_PKT1_SC_S9_PKT3_PKT4_S7_PT5_21rocsparse_index_base_b, .Lfunc_end61-_ZN9rocsparseL20bsrxmvn_17_32_kernelILj30E21rocsparse_complex_numIdEiiS2_S2_S2_EEvT2_20rocsparse_direction_NS_24const_host_device_scalarIT0_EES3_PKS3_PKT1_SC_S9_PKT3_PKT4_S7_PT5_21rocsparse_index_base_b
                                        ; -- End function
	.set _ZN9rocsparseL20bsrxmvn_17_32_kernelILj30E21rocsparse_complex_numIdEiiS2_S2_S2_EEvT2_20rocsparse_direction_NS_24const_host_device_scalarIT0_EES3_PKS3_PKT1_SC_S9_PKT3_PKT4_S7_PT5_21rocsparse_index_base_b.num_vgpr, 29
	.set _ZN9rocsparseL20bsrxmvn_17_32_kernelILj30E21rocsparse_complex_numIdEiiS2_S2_S2_EEvT2_20rocsparse_direction_NS_24const_host_device_scalarIT0_EES3_PKS3_PKT1_SC_S9_PKT3_PKT4_S7_PT5_21rocsparse_index_base_b.num_agpr, 0
	.set _ZN9rocsparseL20bsrxmvn_17_32_kernelILj30E21rocsparse_complex_numIdEiiS2_S2_S2_EEvT2_20rocsparse_direction_NS_24const_host_device_scalarIT0_EES3_PKS3_PKT1_SC_S9_PKT3_PKT4_S7_PT5_21rocsparse_index_base_b.numbered_sgpr, 18
	.set _ZN9rocsparseL20bsrxmvn_17_32_kernelILj30E21rocsparse_complex_numIdEiiS2_S2_S2_EEvT2_20rocsparse_direction_NS_24const_host_device_scalarIT0_EES3_PKS3_PKT1_SC_S9_PKT3_PKT4_S7_PT5_21rocsparse_index_base_b.num_named_barrier, 0
	.set _ZN9rocsparseL20bsrxmvn_17_32_kernelILj30E21rocsparse_complex_numIdEiiS2_S2_S2_EEvT2_20rocsparse_direction_NS_24const_host_device_scalarIT0_EES3_PKS3_PKT1_SC_S9_PKT3_PKT4_S7_PT5_21rocsparse_index_base_b.private_seg_size, 0
	.set _ZN9rocsparseL20bsrxmvn_17_32_kernelILj30E21rocsparse_complex_numIdEiiS2_S2_S2_EEvT2_20rocsparse_direction_NS_24const_host_device_scalarIT0_EES3_PKS3_PKT1_SC_S9_PKT3_PKT4_S7_PT5_21rocsparse_index_base_b.uses_vcc, 1
	.set _ZN9rocsparseL20bsrxmvn_17_32_kernelILj30E21rocsparse_complex_numIdEiiS2_S2_S2_EEvT2_20rocsparse_direction_NS_24const_host_device_scalarIT0_EES3_PKS3_PKT1_SC_S9_PKT3_PKT4_S7_PT5_21rocsparse_index_base_b.uses_flat_scratch, 0
	.set _ZN9rocsparseL20bsrxmvn_17_32_kernelILj30E21rocsparse_complex_numIdEiiS2_S2_S2_EEvT2_20rocsparse_direction_NS_24const_host_device_scalarIT0_EES3_PKS3_PKT1_SC_S9_PKT3_PKT4_S7_PT5_21rocsparse_index_base_b.has_dyn_sized_stack, 0
	.set _ZN9rocsparseL20bsrxmvn_17_32_kernelILj30E21rocsparse_complex_numIdEiiS2_S2_S2_EEvT2_20rocsparse_direction_NS_24const_host_device_scalarIT0_EES3_PKS3_PKT1_SC_S9_PKT3_PKT4_S7_PT5_21rocsparse_index_base_b.has_recursion, 0
	.set _ZN9rocsparseL20bsrxmvn_17_32_kernelILj30E21rocsparse_complex_numIdEiiS2_S2_S2_EEvT2_20rocsparse_direction_NS_24const_host_device_scalarIT0_EES3_PKS3_PKT1_SC_S9_PKT3_PKT4_S7_PT5_21rocsparse_index_base_b.has_indirect_call, 0
	.section	.AMDGPU.csdata,"",@progbits
; Kernel info:
; codeLenInByte = 1640
; TotalNumSgprs: 22
; NumVgprs: 29
; ScratchSize: 0
; MemoryBound: 0
; FloatMode: 240
; IeeeMode: 1
; LDSByteSize: 14400 bytes/workgroup (compile time only)
; SGPRBlocks: 8
; VGPRBlocks: 7
; NumSGPRsForWavesPerEU: 65
; NumVGPRsForWavesPerEU: 29
; Occupancy: 8
; WaveLimiterHint : 1
; COMPUTE_PGM_RSRC2:SCRATCH_EN: 0
; COMPUTE_PGM_RSRC2:USER_SGPR: 6
; COMPUTE_PGM_RSRC2:TRAP_HANDLER: 0
; COMPUTE_PGM_RSRC2:TGID_X_EN: 1
; COMPUTE_PGM_RSRC2:TGID_Y_EN: 0
; COMPUTE_PGM_RSRC2:TGID_Z_EN: 0
; COMPUTE_PGM_RSRC2:TIDIG_COMP_CNT: 0
	.section	.text._ZN9rocsparseL20bsrxmvn_17_32_kernelILj31E21rocsparse_complex_numIdEiiS2_S2_S2_EEvT2_20rocsparse_direction_NS_24const_host_device_scalarIT0_EES3_PKS3_PKT1_SC_S9_PKT3_PKT4_S7_PT5_21rocsparse_index_base_b,"axG",@progbits,_ZN9rocsparseL20bsrxmvn_17_32_kernelILj31E21rocsparse_complex_numIdEiiS2_S2_S2_EEvT2_20rocsparse_direction_NS_24const_host_device_scalarIT0_EES3_PKS3_PKT1_SC_S9_PKT3_PKT4_S7_PT5_21rocsparse_index_base_b,comdat
	.globl	_ZN9rocsparseL20bsrxmvn_17_32_kernelILj31E21rocsparse_complex_numIdEiiS2_S2_S2_EEvT2_20rocsparse_direction_NS_24const_host_device_scalarIT0_EES3_PKS3_PKT1_SC_S9_PKT3_PKT4_S7_PT5_21rocsparse_index_base_b ; -- Begin function _ZN9rocsparseL20bsrxmvn_17_32_kernelILj31E21rocsparse_complex_numIdEiiS2_S2_S2_EEvT2_20rocsparse_direction_NS_24const_host_device_scalarIT0_EES3_PKS3_PKT1_SC_S9_PKT3_PKT4_S7_PT5_21rocsparse_index_base_b
	.p2align	8
	.type	_ZN9rocsparseL20bsrxmvn_17_32_kernelILj31E21rocsparse_complex_numIdEiiS2_S2_S2_EEvT2_20rocsparse_direction_NS_24const_host_device_scalarIT0_EES3_PKS3_PKT1_SC_S9_PKT3_PKT4_S7_PT5_21rocsparse_index_base_b,@function
_ZN9rocsparseL20bsrxmvn_17_32_kernelILj31E21rocsparse_complex_numIdEiiS2_S2_S2_EEvT2_20rocsparse_direction_NS_24const_host_device_scalarIT0_EES3_PKS3_PKT1_SC_S9_PKT3_PKT4_S7_PT5_21rocsparse_index_base_b: ; @_ZN9rocsparseL20bsrxmvn_17_32_kernelILj31E21rocsparse_complex_numIdEiiS2_S2_S2_EEvT2_20rocsparse_direction_NS_24const_host_device_scalarIT0_EES3_PKS3_PKT1_SC_S9_PKT3_PKT4_S7_PT5_21rocsparse_index_base_b
; %bb.0:
	s_load_dwordx2 s[0:1], s[4:5], 0x8
	s_load_dwordx2 s[14:15], s[4:5], 0x68
	s_add_u32 s7, s4, 8
	s_addc_u32 s8, s5, 0
	s_add_u32 s9, s4, 0x50
	s_addc_u32 s10, s5, 0
	s_waitcnt lgkmcnt(0)
	s_bitcmp1_b32 s15, 0
	s_cselect_b32 s1, s8, s1
	s_cselect_b32 s0, s7, s0
	v_mov_b32_e32 v1, s0
	v_mov_b32_e32 v2, s1
	flat_load_dwordx4 v[5:8], v[1:2]
	s_load_dwordx2 s[2:3], s[4:5], 0x50
	s_waitcnt lgkmcnt(0)
	s_cselect_b32 s0, s10, s3
	s_cselect_b32 s1, s9, s2
	v_mov_b32_e32 v1, s1
	v_mov_b32_e32 v2, s0
	flat_load_dwordx4 v[1:4], v[1:2]
	s_waitcnt vmcnt(0)
	v_cmp_eq_f64_e32 vcc, 0, v[5:6]
	v_cmp_eq_f64_e64 s[0:1], 0, v[7:8]
	s_and_b64 s[8:9], vcc, s[0:1]
	s_mov_b64 s[0:1], -1
	s_and_saveexec_b64 s[2:3], s[8:9]
	s_cbranch_execz .LBB62_2
; %bb.1:
	s_waitcnt lgkmcnt(0)
	v_cmp_neq_f64_e32 vcc, 1.0, v[1:2]
	v_cmp_neq_f64_e64 s[0:1], 0, v[3:4]
	s_or_b64 s[0:1], vcc, s[0:1]
	s_orn2_b64 s[0:1], s[0:1], exec
.LBB62_2:
	s_or_b64 exec, exec, s[2:3]
	s_and_saveexec_b64 s[2:3], s[0:1]
	s_cbranch_execz .LBB62_39
; %bb.3:
	s_load_dwordx4 s[0:3], s[4:5], 0x20
	s_load_dwordx2 s[8:9], s[4:5], 0x30
	s_waitcnt lgkmcnt(0)
	s_cmp_eq_u64 s[0:1], 0
	s_cbranch_scc1 .LBB62_5
; %bb.4:
	s_ashr_i32 s7, s6, 31
	s_lshl_b64 s[6:7], s[6:7], 2
	s_add_u32 s0, s0, s6
	s_addc_u32 s1, s1, s7
	s_load_dword s0, s[0:1], 0x0
	s_waitcnt lgkmcnt(0)
	s_sub_i32 s6, s0, s14
.LBB62_5:
	s_load_dword s0, s[4:5], 0x4
	s_load_dwordx2 s[12:13], s[4:5], 0x60
	v_mul_u32_u24_e32 v13, 0x843, v0
	v_mov_b32_e32 v9, 31
	v_mul_lo_u16_sdwa v9, v13, v9 dst_sel:DWORD dst_unused:UNUSED_PAD src0_sel:WORD_1 src1_sel:DWORD
	s_waitcnt lgkmcnt(0)
	s_cmp_eq_u32 s0, 1
	s_cselect_b64 vcc, -1, 0
	s_cmp_lg_u32 s0, 1
	s_cselect_b64 s[16:17], -1, 0
	s_ashr_i32 s7, s6, 31
	s_lshl_b64 s[0:1], s[6:7], 2
	s_add_u32 s2, s2, s0
	s_addc_u32 s3, s3, s1
	s_load_dword s7, s[2:3], 0x0
	s_add_u32 s2, s2, 4
	s_addc_u32 s3, s3, 0
	s_add_u32 s0, s8, s0
	s_addc_u32 s1, s9, s1
	s_cmp_eq_u64 s[8:9], 0
	s_cselect_b32 s1, s3, s1
	s_cselect_b32 s0, s2, s0
	s_load_dword s0, s[0:1], 0x0
	v_sub_u16_e32 v19, v0, v9
	v_mov_b32_e32 v11, 0
	v_mov_b32_e32 v9, 0
	;; [unrolled: 1-line block ×3, first 2 shown]
	s_waitcnt lgkmcnt(0)
	s_cmp_ge_i32 s7, s0
	v_mov_b32_e32 v10, 0
	v_lshlrev_b32_e32 v18, 4, v0
	s_cbranch_scc1 .LBB62_10
; %bb.6:
	s_load_dwordx2 s[2:3], s[4:5], 0x48
	s_load_dwordx4 s[8:11], s[4:5], 0x38
	s_sub_i32 s4, s0, s14
	s_mov_b32 s0, 0xffff
	s_movk_i32 s1, 0x3c1
	v_and_b32_sdwa v9, s0, v13 dst_sel:DWORD dst_unused:UNUSED_PAD src0_sel:DWORD src1_sel:WORD_1
	v_subrev_u32_e32 v10, 31, v9
	v_cmp_gt_u32_e64 s[0:1], s1, v0
	s_sub_i32 s5, s7, s14
	v_cndmask_b32_e64 v9, v10, v9, s[0:1]
	s_mul_i32 s1, s5, 0x3c10
	s_mul_hi_i32 s0, s5, 0x3c10
	s_waitcnt lgkmcnt(0)
	s_add_u32 s1, s10, s1
	s_addc_u32 s0, s11, s0
	v_cndmask_b32_e32 v13, v19, v9, vcc
	v_mov_b32_e32 v9, s0
	v_add_co_u32_e32 v14, vcc, s1, v18
	v_addc_co_u32_e32 v15, vcc, 0, v9, vcc
	s_movk_i32 s0, 0x3c0
	v_mov_b32_e32 v11, 0
	v_mov_b32_e32 v12, 0
	v_cmp_lt_u32_e32 vcc, s0, v0
	v_mov_b32_e32 v9, v11
	v_cndmask_b32_e64 v20, 0, 1, vcc
	v_mov_b32_e32 v10, v12
	s_branch .LBB62_8
.LBB62_7:                               ;   in Loop: Header=BB62_8 Depth=1
	s_or_b64 exec, exec, s[0:1]
	s_add_i32 s5, s5, 1
	s_cmp_lt_i32 s5, s4
	s_cbranch_scc0 .LBB62_10
.LBB62_8:                               ; =>This Inner Loop Header: Depth=1
	v_add_u32_e32 v16, s5, v20
	v_cmp_gt_i32_e32 vcc, s4, v16
	s_and_saveexec_b64 s[0:1], vcc
	s_cbranch_execz .LBB62_7
; %bb.9:                                ;   in Loop: Header=BB62_8 Depth=1
	v_ashrrev_i32_e32 v17, 31, v16
	v_lshlrev_b64 v[16:17], 2, v[16:17]
	v_mov_b32_e32 v21, s9
	v_add_co_u32_e32 v16, vcc, s8, v16
	v_addc_co_u32_e32 v17, vcc, v21, v17, vcc
	global_load_dword v16, v[16:17], off
	v_mov_b32_e32 v25, s3
	global_load_dwordx4 v[21:24], v[14:15], off
	s_waitcnt vmcnt(1)
	v_subrev_u32_e32 v16, s14, v16
	v_mad_u64_u32 v[16:17], s[10:11], v16, 31, v[13:14]
	v_ashrrev_i32_e32 v17, 31, v16
	v_lshlrev_b64 v[16:17], 4, v[16:17]
	v_add_co_u32_e32 v16, vcc, s2, v16
	v_addc_co_u32_e32 v17, vcc, v25, v17, vcc
	global_load_dwordx4 v[25:28], v[16:17], off
	v_add_co_u32_e32 v14, vcc, 0x3c10, v14
	v_addc_co_u32_e32 v15, vcc, 0, v15, vcc
	s_waitcnt vmcnt(0)
	v_fma_f64 v[9:10], v[21:22], v[25:26], v[9:10]
	v_fma_f64 v[11:12], v[23:24], v[25:26], v[11:12]
	v_fma_f64 v[9:10], -v[23:24], v[27:28], v[9:10]
	v_fma_f64 v[11:12], v[21:22], v[27:28], v[11:12]
	s_branch .LBB62_7
.LBB62_10:
	s_and_b64 vcc, exec, s[16:17]
	ds_write_b128 v18, v[9:12]
	s_waitcnt lgkmcnt(0)
	s_barrier
	s_cbranch_vccz .LBB62_22
; %bb.11:
	v_cmp_gt_u16_e32 vcc, 15, v19
	s_and_saveexec_b64 s[0:1], vcc
	s_cbranch_execz .LBB62_13
; %bb.12:
	ds_read_b128 v[13:16], v18 offset:256
	ds_read_b128 v[20:23], v18
	s_waitcnt lgkmcnt(0)
	v_add_f64 v[13:14], v[13:14], v[20:21]
	v_add_f64 v[15:16], v[15:16], v[22:23]
	ds_write_b128 v18, v[13:16]
.LBB62_13:
	s_or_b64 exec, exec, s[0:1]
	v_cmp_gt_u16_e32 vcc, 8, v19
	s_waitcnt lgkmcnt(0)
	s_barrier
	s_and_saveexec_b64 s[0:1], vcc
	s_cbranch_execz .LBB62_15
; %bb.14:
	ds_read_b128 v[13:16], v18 offset:128
	ds_read_b128 v[20:23], v18
	s_waitcnt lgkmcnt(0)
	v_add_f64 v[13:14], v[13:14], v[20:21]
	v_add_f64 v[15:16], v[15:16], v[22:23]
	ds_write_b128 v18, v[13:16]
.LBB62_15:
	s_or_b64 exec, exec, s[0:1]
	v_cmp_gt_u16_e32 vcc, 4, v19
	s_waitcnt lgkmcnt(0)
	s_barrier
	;; [unrolled: 14-line block ×3, first 2 shown]
	s_and_saveexec_b64 s[0:1], vcc
	s_cbranch_execz .LBB62_19
; %bb.18:
	ds_read_b128 v[13:16], v18
	ds_read_b128 v[19:22], v18 offset:32
	s_waitcnt lgkmcnt(0)
	v_add_f64 v[13:14], v[19:20], v[13:14]
	v_add_f64 v[15:16], v[21:22], v[15:16]
	ds_write_b128 v18, v[13:16]
.LBB62_19:
	s_or_b64 exec, exec, s[0:1]
	v_mov_b32_e32 v16, v12
	v_mov_b32_e32 v14, v10
	v_cmp_gt_u32_e32 vcc, 31, v0
	v_mov_b32_e32 v15, v11
	v_mov_b32_e32 v13, v9
	s_waitcnt lgkmcnt(0)
	s_barrier
	s_and_saveexec_b64 s[0:1], vcc
	s_cbranch_execz .LBB62_21
; %bb.20:
	s_movk_i32 s2, 0x1e0
	v_mad_u32_u24 v17, v0, s2, v18
	ds_read_b128 v[13:16], v17
	ds_read_b128 v[19:22], v17 offset:16
	s_waitcnt lgkmcnt(0)
	v_add_f64 v[13:14], v[19:20], v[13:14]
	v_add_f64 v[15:16], v[21:22], v[15:16]
.LBB62_21:
	s_or_b64 exec, exec, s[0:1]
	s_branch .LBB62_34
.LBB62_22:
                                        ; implicit-def: $vgpr15_vgpr16
                                        ; implicit-def: $vgpr13_vgpr14
	s_cbranch_execz .LBB62_34
; %bb.23:
	s_movk_i32 s0, 0x1d1
	v_cmp_gt_u32_e32 vcc, s0, v0
	s_and_saveexec_b64 s[0:1], vcc
	s_cbranch_execz .LBB62_25
; %bb.24:
	ds_read_b128 v[13:16], v18 offset:7936
	ds_read_b128 v[19:22], v18
	s_waitcnt lgkmcnt(0)
	v_add_f64 v[13:14], v[13:14], v[19:20]
	v_add_f64 v[15:16], v[15:16], v[21:22]
	ds_write_b128 v18, v[13:16]
.LBB62_25:
	s_or_b64 exec, exec, s[0:1]
	s_movk_i32 s0, 0xf8
	v_cmp_gt_u32_e32 vcc, s0, v0
	s_waitcnt lgkmcnt(0)
	s_barrier
	s_and_saveexec_b64 s[0:1], vcc
	s_cbranch_execz .LBB62_27
; %bb.26:
	ds_read_b128 v[13:16], v18 offset:3968
	ds_read_b128 v[19:22], v18
	s_waitcnt lgkmcnt(0)
	v_add_f64 v[13:14], v[13:14], v[19:20]
	v_add_f64 v[15:16], v[15:16], v[21:22]
	ds_write_b128 v18, v[13:16]
.LBB62_27:
	s_or_b64 exec, exec, s[0:1]
	s_movk_i32 s0, 0x7c
	v_cmp_gt_u32_e32 vcc, s0, v0
	s_waitcnt lgkmcnt(0)
	s_barrier
	s_and_saveexec_b64 s[0:1], vcc
	s_cbranch_execz .LBB62_29
; %bb.28:
	ds_read_b128 v[13:16], v18 offset:1984
	ds_read_b128 v[19:22], v18
	s_waitcnt lgkmcnt(0)
	v_add_f64 v[13:14], v[13:14], v[19:20]
	v_add_f64 v[15:16], v[15:16], v[21:22]
	ds_write_b128 v18, v[13:16]
.LBB62_29:
	s_or_b64 exec, exec, s[0:1]
	v_cmp_gt_u32_e32 vcc, 62, v0
	s_waitcnt lgkmcnt(0)
	s_barrier
	s_and_saveexec_b64 s[0:1], vcc
	s_cbranch_execz .LBB62_31
; %bb.30:
	ds_read_b128 v[13:16], v18 offset:992
	ds_read_b128 v[19:22], v18
	s_waitcnt lgkmcnt(0)
	v_add_f64 v[13:14], v[13:14], v[19:20]
	v_add_f64 v[15:16], v[15:16], v[21:22]
	ds_write_b128 v18, v[13:16]
.LBB62_31:
	s_or_b64 exec, exec, s[0:1]
	v_cmp_gt_u32_e32 vcc, 31, v0
	s_waitcnt lgkmcnt(0)
	s_and_saveexec_b64 s[0:1], vcc
	s_cbranch_execz .LBB62_33
; %bb.32:
	ds_read_b128 v[9:12], v18 offset:496
	ds_read_b128 v[13:16], v18
	s_waitcnt lgkmcnt(0)
	v_add_f64 v[9:10], v[9:10], v[13:14]
	v_add_f64 v[11:12], v[11:12], v[15:16]
.LBB62_33:
	s_or_b64 exec, exec, s[0:1]
	v_mov_b32_e32 v16, v12
	v_mov_b32_e32 v14, v10
	;; [unrolled: 1-line block ×4, first 2 shown]
.LBB62_34:
	v_cmp_gt_u32_e32 vcc, 31, v0
	s_and_b64 exec, exec, vcc
	s_cbranch_execz .LBB62_39
; %bb.35:
	v_mul_f64 v[9:10], v[15:16], -v[7:8]
	v_mul_f64 v[11:12], v[5:6], v[15:16]
	v_cmp_eq_f64_e32 vcc, 0, v[1:2]
	v_cmp_eq_f64_e64 s[0:1], 0, v[3:4]
	v_fma_f64 v[5:6], v[5:6], v[13:14], v[9:10]
	v_fma_f64 v[7:8], v[7:8], v[13:14], v[11:12]
	s_and_b64 s[0:1], vcc, s[0:1]
	s_and_saveexec_b64 s[2:3], s[0:1]
	s_xor_b64 s[0:1], exec, s[2:3]
	s_cbranch_execz .LBB62_37
; %bb.36:
	v_mad_u64_u32 v[0:1], s[2:3], s6, 31, v[0:1]
	v_mov_b32_e32 v1, 0
	v_mov_b32_e32 v2, s13
	v_lshlrev_b64 v[0:1], 4, v[0:1]
	v_add_co_u32_e32 v0, vcc, s12, v0
	v_addc_co_u32_e32 v1, vcc, v2, v1, vcc
	global_store_dwordx4 v[0:1], v[5:8], off
                                        ; implicit-def: $vgpr0
                                        ; implicit-def: $vgpr1_vgpr2
                                        ; implicit-def: $vgpr5_vgpr6
.LBB62_37:
	s_andn2_saveexec_b64 s[0:1], s[0:1]
	s_cbranch_execz .LBB62_39
; %bb.38:
	v_mad_u64_u32 v[9:10], s[0:1], s6, 31, v[0:1]
	v_mov_b32_e32 v10, 0
	v_mov_b32_e32 v0, s13
	v_lshlrev_b64 v[9:10], 4, v[9:10]
	v_add_co_u32_e32 v13, vcc, s12, v9
	v_addc_co_u32_e32 v14, vcc, v0, v10, vcc
	global_load_dwordx4 v[9:12], v[13:14], off
	s_waitcnt vmcnt(0)
	v_fma_f64 v[5:6], v[1:2], v[9:10], v[5:6]
	v_fma_f64 v[7:8], v[3:4], v[9:10], v[7:8]
	v_fma_f64 v[3:4], -v[3:4], v[11:12], v[5:6]
	v_fma_f64 v[5:6], v[1:2], v[11:12], v[7:8]
	global_store_dwordx4 v[13:14], v[3:6], off
.LBB62_39:
	s_endpgm
	.section	.rodata,"a",@progbits
	.p2align	6, 0x0
	.amdhsa_kernel _ZN9rocsparseL20bsrxmvn_17_32_kernelILj31E21rocsparse_complex_numIdEiiS2_S2_S2_EEvT2_20rocsparse_direction_NS_24const_host_device_scalarIT0_EES3_PKS3_PKT1_SC_S9_PKT3_PKT4_S7_PT5_21rocsparse_index_base_b
		.amdhsa_group_segment_fixed_size 15376
		.amdhsa_private_segment_fixed_size 0
		.amdhsa_kernarg_size 112
		.amdhsa_user_sgpr_count 6
		.amdhsa_user_sgpr_private_segment_buffer 1
		.amdhsa_user_sgpr_dispatch_ptr 0
		.amdhsa_user_sgpr_queue_ptr 0
		.amdhsa_user_sgpr_kernarg_segment_ptr 1
		.amdhsa_user_sgpr_dispatch_id 0
		.amdhsa_user_sgpr_flat_scratch_init 0
		.amdhsa_user_sgpr_private_segment_size 0
		.amdhsa_uses_dynamic_stack 0
		.amdhsa_system_sgpr_private_segment_wavefront_offset 0
		.amdhsa_system_sgpr_workgroup_id_x 1
		.amdhsa_system_sgpr_workgroup_id_y 0
		.amdhsa_system_sgpr_workgroup_id_z 0
		.amdhsa_system_sgpr_workgroup_info 0
		.amdhsa_system_vgpr_workitem_id 0
		.amdhsa_next_free_vgpr 29
		.amdhsa_next_free_sgpr 61
		.amdhsa_reserve_vcc 1
		.amdhsa_reserve_flat_scratch 0
		.amdhsa_float_round_mode_32 0
		.amdhsa_float_round_mode_16_64 0
		.amdhsa_float_denorm_mode_32 3
		.amdhsa_float_denorm_mode_16_64 3
		.amdhsa_dx10_clamp 1
		.amdhsa_ieee_mode 1
		.amdhsa_fp16_overflow 0
		.amdhsa_exception_fp_ieee_invalid_op 0
		.amdhsa_exception_fp_denorm_src 0
		.amdhsa_exception_fp_ieee_div_zero 0
		.amdhsa_exception_fp_ieee_overflow 0
		.amdhsa_exception_fp_ieee_underflow 0
		.amdhsa_exception_fp_ieee_inexact 0
		.amdhsa_exception_int_div_zero 0
	.end_amdhsa_kernel
	.section	.text._ZN9rocsparseL20bsrxmvn_17_32_kernelILj31E21rocsparse_complex_numIdEiiS2_S2_S2_EEvT2_20rocsparse_direction_NS_24const_host_device_scalarIT0_EES3_PKS3_PKT1_SC_S9_PKT3_PKT4_S7_PT5_21rocsparse_index_base_b,"axG",@progbits,_ZN9rocsparseL20bsrxmvn_17_32_kernelILj31E21rocsparse_complex_numIdEiiS2_S2_S2_EEvT2_20rocsparse_direction_NS_24const_host_device_scalarIT0_EES3_PKS3_PKT1_SC_S9_PKT3_PKT4_S7_PT5_21rocsparse_index_base_b,comdat
.Lfunc_end62:
	.size	_ZN9rocsparseL20bsrxmvn_17_32_kernelILj31E21rocsparse_complex_numIdEiiS2_S2_S2_EEvT2_20rocsparse_direction_NS_24const_host_device_scalarIT0_EES3_PKS3_PKT1_SC_S9_PKT3_PKT4_S7_PT5_21rocsparse_index_base_b, .Lfunc_end62-_ZN9rocsparseL20bsrxmvn_17_32_kernelILj31E21rocsparse_complex_numIdEiiS2_S2_S2_EEvT2_20rocsparse_direction_NS_24const_host_device_scalarIT0_EES3_PKS3_PKT1_SC_S9_PKT3_PKT4_S7_PT5_21rocsparse_index_base_b
                                        ; -- End function
	.set _ZN9rocsparseL20bsrxmvn_17_32_kernelILj31E21rocsparse_complex_numIdEiiS2_S2_S2_EEvT2_20rocsparse_direction_NS_24const_host_device_scalarIT0_EES3_PKS3_PKT1_SC_S9_PKT3_PKT4_S7_PT5_21rocsparse_index_base_b.num_vgpr, 29
	.set _ZN9rocsparseL20bsrxmvn_17_32_kernelILj31E21rocsparse_complex_numIdEiiS2_S2_S2_EEvT2_20rocsparse_direction_NS_24const_host_device_scalarIT0_EES3_PKS3_PKT1_SC_S9_PKT3_PKT4_S7_PT5_21rocsparse_index_base_b.num_agpr, 0
	.set _ZN9rocsparseL20bsrxmvn_17_32_kernelILj31E21rocsparse_complex_numIdEiiS2_S2_S2_EEvT2_20rocsparse_direction_NS_24const_host_device_scalarIT0_EES3_PKS3_PKT1_SC_S9_PKT3_PKT4_S7_PT5_21rocsparse_index_base_b.numbered_sgpr, 18
	.set _ZN9rocsparseL20bsrxmvn_17_32_kernelILj31E21rocsparse_complex_numIdEiiS2_S2_S2_EEvT2_20rocsparse_direction_NS_24const_host_device_scalarIT0_EES3_PKS3_PKT1_SC_S9_PKT3_PKT4_S7_PT5_21rocsparse_index_base_b.num_named_barrier, 0
	.set _ZN9rocsparseL20bsrxmvn_17_32_kernelILj31E21rocsparse_complex_numIdEiiS2_S2_S2_EEvT2_20rocsparse_direction_NS_24const_host_device_scalarIT0_EES3_PKS3_PKT1_SC_S9_PKT3_PKT4_S7_PT5_21rocsparse_index_base_b.private_seg_size, 0
	.set _ZN9rocsparseL20bsrxmvn_17_32_kernelILj31E21rocsparse_complex_numIdEiiS2_S2_S2_EEvT2_20rocsparse_direction_NS_24const_host_device_scalarIT0_EES3_PKS3_PKT1_SC_S9_PKT3_PKT4_S7_PT5_21rocsparse_index_base_b.uses_vcc, 1
	.set _ZN9rocsparseL20bsrxmvn_17_32_kernelILj31E21rocsparse_complex_numIdEiiS2_S2_S2_EEvT2_20rocsparse_direction_NS_24const_host_device_scalarIT0_EES3_PKS3_PKT1_SC_S9_PKT3_PKT4_S7_PT5_21rocsparse_index_base_b.uses_flat_scratch, 0
	.set _ZN9rocsparseL20bsrxmvn_17_32_kernelILj31E21rocsparse_complex_numIdEiiS2_S2_S2_EEvT2_20rocsparse_direction_NS_24const_host_device_scalarIT0_EES3_PKS3_PKT1_SC_S9_PKT3_PKT4_S7_PT5_21rocsparse_index_base_b.has_dyn_sized_stack, 0
	.set _ZN9rocsparseL20bsrxmvn_17_32_kernelILj31E21rocsparse_complex_numIdEiiS2_S2_S2_EEvT2_20rocsparse_direction_NS_24const_host_device_scalarIT0_EES3_PKS3_PKT1_SC_S9_PKT3_PKT4_S7_PT5_21rocsparse_index_base_b.has_recursion, 0
	.set _ZN9rocsparseL20bsrxmvn_17_32_kernelILj31E21rocsparse_complex_numIdEiiS2_S2_S2_EEvT2_20rocsparse_direction_NS_24const_host_device_scalarIT0_EES3_PKS3_PKT1_SC_S9_PKT3_PKT4_S7_PT5_21rocsparse_index_base_b.has_indirect_call, 0
	.section	.AMDGPU.csdata,"",@progbits
; Kernel info:
; codeLenInByte = 1640
; TotalNumSgprs: 22
; NumVgprs: 29
; ScratchSize: 0
; MemoryBound: 0
; FloatMode: 240
; IeeeMode: 1
; LDSByteSize: 15376 bytes/workgroup (compile time only)
; SGPRBlocks: 8
; VGPRBlocks: 7
; NumSGPRsForWavesPerEU: 65
; NumVGPRsForWavesPerEU: 29
; Occupancy: 8
; WaveLimiterHint : 1
; COMPUTE_PGM_RSRC2:SCRATCH_EN: 0
; COMPUTE_PGM_RSRC2:USER_SGPR: 6
; COMPUTE_PGM_RSRC2:TRAP_HANDLER: 0
; COMPUTE_PGM_RSRC2:TGID_X_EN: 1
; COMPUTE_PGM_RSRC2:TGID_Y_EN: 0
; COMPUTE_PGM_RSRC2:TGID_Z_EN: 0
; COMPUTE_PGM_RSRC2:TIDIG_COMP_CNT: 0
	.section	.text._ZN9rocsparseL20bsrxmvn_17_32_kernelILj32E21rocsparse_complex_numIdEiiS2_S2_S2_EEvT2_20rocsparse_direction_NS_24const_host_device_scalarIT0_EES3_PKS3_PKT1_SC_S9_PKT3_PKT4_S7_PT5_21rocsparse_index_base_b,"axG",@progbits,_ZN9rocsparseL20bsrxmvn_17_32_kernelILj32E21rocsparse_complex_numIdEiiS2_S2_S2_EEvT2_20rocsparse_direction_NS_24const_host_device_scalarIT0_EES3_PKS3_PKT1_SC_S9_PKT3_PKT4_S7_PT5_21rocsparse_index_base_b,comdat
	.globl	_ZN9rocsparseL20bsrxmvn_17_32_kernelILj32E21rocsparse_complex_numIdEiiS2_S2_S2_EEvT2_20rocsparse_direction_NS_24const_host_device_scalarIT0_EES3_PKS3_PKT1_SC_S9_PKT3_PKT4_S7_PT5_21rocsparse_index_base_b ; -- Begin function _ZN9rocsparseL20bsrxmvn_17_32_kernelILj32E21rocsparse_complex_numIdEiiS2_S2_S2_EEvT2_20rocsparse_direction_NS_24const_host_device_scalarIT0_EES3_PKS3_PKT1_SC_S9_PKT3_PKT4_S7_PT5_21rocsparse_index_base_b
	.p2align	8
	.type	_ZN9rocsparseL20bsrxmvn_17_32_kernelILj32E21rocsparse_complex_numIdEiiS2_S2_S2_EEvT2_20rocsparse_direction_NS_24const_host_device_scalarIT0_EES3_PKS3_PKT1_SC_S9_PKT3_PKT4_S7_PT5_21rocsparse_index_base_b,@function
_ZN9rocsparseL20bsrxmvn_17_32_kernelILj32E21rocsparse_complex_numIdEiiS2_S2_S2_EEvT2_20rocsparse_direction_NS_24const_host_device_scalarIT0_EES3_PKS3_PKT1_SC_S9_PKT3_PKT4_S7_PT5_21rocsparse_index_base_b: ; @_ZN9rocsparseL20bsrxmvn_17_32_kernelILj32E21rocsparse_complex_numIdEiiS2_S2_S2_EEvT2_20rocsparse_direction_NS_24const_host_device_scalarIT0_EES3_PKS3_PKT1_SC_S9_PKT3_PKT4_S7_PT5_21rocsparse_index_base_b
; %bb.0:
	s_load_dwordx2 s[0:1], s[4:5], 0x8
	s_load_dwordx2 s[8:9], s[4:5], 0x68
	s_add_u32 s7, s4, 8
	s_addc_u32 s10, s5, 0
	s_add_u32 s11, s4, 0x50
	s_addc_u32 s12, s5, 0
	s_waitcnt lgkmcnt(0)
	s_bitcmp1_b32 s9, 0
	s_cselect_b32 s1, s10, s1
	s_cselect_b32 s0, s7, s0
	v_mov_b32_e32 v1, s0
	v_mov_b32_e32 v2, s1
	flat_load_dwordx4 v[5:8], v[1:2]
	s_load_dwordx2 s[2:3], s[4:5], 0x50
	s_waitcnt lgkmcnt(0)
	s_cselect_b32 s0, s12, s3
	s_cselect_b32 s1, s11, s2
	v_mov_b32_e32 v1, s1
	v_mov_b32_e32 v2, s0
	flat_load_dwordx4 v[1:4], v[1:2]
	s_waitcnt vmcnt(0)
	v_cmp_eq_f64_e32 vcc, 0, v[5:6]
	v_cmp_eq_f64_e64 s[0:1], 0, v[7:8]
	s_and_b64 s[10:11], vcc, s[0:1]
	s_mov_b64 s[0:1], -1
	s_and_saveexec_b64 s[2:3], s[10:11]
	s_cbranch_execz .LBB63_2
; %bb.1:
	s_waitcnt lgkmcnt(0)
	v_cmp_neq_f64_e32 vcc, 1.0, v[1:2]
	v_cmp_neq_f64_e64 s[0:1], 0, v[3:4]
	s_or_b64 s[0:1], vcc, s[0:1]
	s_orn2_b64 s[0:1], s[0:1], exec
.LBB63_2:
	s_or_b64 exec, exec, s[2:3]
	s_and_saveexec_b64 s[2:3], s[0:1]
	s_cbranch_execz .LBB63_37
; %bb.3:
	s_load_dwordx4 s[0:3], s[4:5], 0x20
	s_load_dwordx2 s[10:11], s[4:5], 0x30
	s_waitcnt lgkmcnt(0)
	s_cmp_eq_u64 s[0:1], 0
	s_cbranch_scc1 .LBB63_5
; %bb.4:
	s_ashr_i32 s7, s6, 31
	s_lshl_b64 s[6:7], s[6:7], 2
	s_add_u32 s0, s0, s6
	s_addc_u32 s1, s1, s7
	s_load_dword s0, s[0:1], 0x0
	s_waitcnt lgkmcnt(0)
	s_sub_i32 s6, s0, s8
.LBB63_5:
	s_load_dword s0, s[4:5], 0x4
	v_mov_b32_e32 v11, 0
	v_mov_b32_e32 v9, 0
	v_and_b32_e32 v15, 31, v0
	v_mov_b32_e32 v12, 0
	s_waitcnt lgkmcnt(0)
	s_cmp_eq_u32 s0, 1
	s_cselect_b64 vcc, -1, 0
	s_cmp_lg_u32 s0, 1
	s_cselect_b64 s[0:1], -1, 0
	s_ashr_i32 s7, s6, 31
	s_lshl_b64 s[12:13], s[6:7], 2
	s_add_u32 s2, s2, s12
	s_addc_u32 s3, s3, s13
	s_load_dword s9, s[2:3], 0x0
	s_add_u32 s2, s2, 4
	s_addc_u32 s3, s3, 0
	s_add_u32 s7, s10, s12
	s_addc_u32 s12, s11, s13
	s_cmp_eq_u64 s[10:11], 0
	s_cselect_b32 s11, s3, s12
	s_cselect_b32 s10, s2, s7
	s_load_dword s7, s[10:11], 0x0
	s_load_dwordx2 s[2:3], s[4:5], 0x60
	v_mov_b32_e32 v10, 0
	v_lshlrev_b32_e32 v17, 4, v0
	s_waitcnt lgkmcnt(0)
	s_cmp_ge_i32 s9, s7
	s_cbranch_scc1 .LBB63_8
; %bb.6:
	s_load_dwordx2 s[10:11], s[4:5], 0x48
	s_load_dwordx4 s[12:15], s[4:5], 0x38
	s_sub_i32 s4, s9, s8
	s_ashr_i32 s5, s4, 31
	s_sub_i32 s7, s7, s8
	s_lshl_b64 s[16:17], s[4:5], 14
	s_waitcnt lgkmcnt(0)
	s_add_u32 s9, s14, s16
	v_lshrrev_b32_e32 v9, 5, v0
	s_addc_u32 s14, s15, s17
	v_cndmask_b32_e32 v16, v15, v9, vcc
	v_mov_b32_e32 v9, s14
	v_add_co_u32_e32 v13, vcc, s9, v17
	s_lshl_b64 s[14:15], s[4:5], 2
	v_mov_b32_e32 v11, 0
	v_addc_co_u32_e32 v14, vcc, 0, v9, vcc
	s_add_u32 s12, s12, s14
	v_mov_b32_e32 v12, 0
	v_mov_b32_e32 v9, v11
	s_addc_u32 s13, s13, s15
	v_mov_b32_e32 v18, s11
	v_mov_b32_e32 v10, v12
.LBB63_7:                               ; =>This Inner Loop Header: Depth=1
	s_load_dword s5, s[12:13], 0x0
	global_load_dwordx4 v[19:22], v[13:14], off
	s_add_i32 s4, s4, 1
	s_waitcnt lgkmcnt(0)
	s_sub_i32 s5, s5, s8
	v_lshl_or_b32 v23, s5, 5, v16
	v_ashrrev_i32_e32 v24, 31, v23
	v_lshlrev_b64 v[23:24], 4, v[23:24]
	s_add_u32 s12, s12, 4
	v_add_co_u32_e32 v23, vcc, s10, v23
	v_addc_co_u32_e32 v24, vcc, v18, v24, vcc
	global_load_dwordx4 v[23:26], v[23:24], off
	v_add_co_u32_e32 v13, vcc, 0x4000, v13
	s_addc_u32 s13, s13, 0
	s_cmp_lt_i32 s4, s7
	v_addc_co_u32_e32 v14, vcc, 0, v14, vcc
	s_waitcnt vmcnt(0)
	v_fma_f64 v[9:10], v[19:20], v[23:24], v[9:10]
	v_fma_f64 v[11:12], v[21:22], v[23:24], v[11:12]
	v_fma_f64 v[9:10], -v[21:22], v[25:26], v[9:10]
	v_fma_f64 v[11:12], v[19:20], v[25:26], v[11:12]
	s_cbranch_scc1 .LBB63_7
.LBB63_8:
	s_and_b64 vcc, exec, s[0:1]
	ds_write_b128 v17, v[9:12]
	s_waitcnt lgkmcnt(0)
	s_barrier
	s_cbranch_vccz .LBB63_20
; %bb.9:
	v_cmp_gt_u32_e32 vcc, 16, v15
	s_and_saveexec_b64 s[0:1], vcc
	s_cbranch_execz .LBB63_11
; %bb.10:
	ds_read_b128 v[18:21], v17 offset:256
	ds_read_b128 v[22:25], v17
	s_waitcnt lgkmcnt(0)
	v_add_f64 v[18:19], v[18:19], v[22:23]
	v_add_f64 v[20:21], v[20:21], v[24:25]
	ds_write_b128 v17, v[18:21]
.LBB63_11:
	s_or_b64 exec, exec, s[0:1]
	v_cmp_gt_u32_e32 vcc, 8, v15
	s_waitcnt lgkmcnt(0)
	s_barrier
	s_and_saveexec_b64 s[0:1], vcc
	s_cbranch_execz .LBB63_13
; %bb.12:
	ds_read_b128 v[18:21], v17 offset:128
	ds_read_b128 v[22:25], v17
	s_waitcnt lgkmcnt(0)
	v_add_f64 v[18:19], v[18:19], v[22:23]
	v_add_f64 v[20:21], v[20:21], v[24:25]
	ds_write_b128 v17, v[18:21]
.LBB63_13:
	s_or_b64 exec, exec, s[0:1]
	v_cmp_gt_u32_e32 vcc, 4, v15
	s_waitcnt lgkmcnt(0)
	s_barrier
	;; [unrolled: 14-line block ×3, first 2 shown]
	s_and_saveexec_b64 s[0:1], vcc
	s_cbranch_execz .LBB63_17
; %bb.16:
	ds_read_b128 v[13:16], v17
	ds_read_b128 v[18:21], v17 offset:32
	s_waitcnt lgkmcnt(0)
	v_add_f64 v[13:14], v[18:19], v[13:14]
	v_add_f64 v[15:16], v[20:21], v[15:16]
	ds_write_b128 v17, v[13:16]
.LBB63_17:
	s_or_b64 exec, exec, s[0:1]
	v_mov_b32_e32 v16, v12
	v_mov_b32_e32 v14, v10
	v_cmp_gt_u32_e32 vcc, 32, v0
	v_mov_b32_e32 v15, v11
	v_mov_b32_e32 v13, v9
	s_waitcnt lgkmcnt(0)
	s_barrier
	s_and_saveexec_b64 s[0:1], vcc
	s_cbranch_execz .LBB63_19
; %bb.18:
	s_movk_i32 s4, 0x1f0
	v_mad_u32_u24 v18, v0, s4, v17
	ds_read_b128 v[13:16], v18
	ds_read_b128 v[18:21], v18 offset:16
	s_waitcnt lgkmcnt(0)
	v_add_f64 v[13:14], v[18:19], v[13:14]
	v_add_f64 v[15:16], v[20:21], v[15:16]
.LBB63_19:
	s_or_b64 exec, exec, s[0:1]
	s_branch .LBB63_32
.LBB63_20:
                                        ; implicit-def: $vgpr15_vgpr16
                                        ; implicit-def: $vgpr13_vgpr14
	s_cbranch_execz .LBB63_32
; %bb.21:
	s_movk_i32 s0, 0x200
	v_cmp_gt_u32_e32 vcc, s0, v0
	s_and_saveexec_b64 s[0:1], vcc
	s_cbranch_execz .LBB63_23
; %bb.22:
	ds_read_b128 v[13:16], v17 offset:8192
	ds_read_b128 v[18:21], v17
	s_waitcnt lgkmcnt(0)
	v_add_f64 v[13:14], v[13:14], v[18:19]
	v_add_f64 v[15:16], v[15:16], v[20:21]
	ds_write_b128 v17, v[13:16]
.LBB63_23:
	s_or_b64 exec, exec, s[0:1]
	s_movk_i32 s0, 0x100
	v_cmp_gt_u32_e32 vcc, s0, v0
	s_waitcnt lgkmcnt(0)
	s_barrier
	s_and_saveexec_b64 s[0:1], vcc
	s_cbranch_execz .LBB63_25
; %bb.24:
	ds_read_b128 v[13:16], v17 offset:4096
	ds_read_b128 v[18:21], v17
	s_waitcnt lgkmcnt(0)
	v_add_f64 v[13:14], v[13:14], v[18:19]
	v_add_f64 v[15:16], v[15:16], v[20:21]
	ds_write_b128 v17, v[13:16]
.LBB63_25:
	s_or_b64 exec, exec, s[0:1]
	s_movk_i32 s0, 0x80
	v_cmp_gt_u32_e32 vcc, s0, v0
	s_waitcnt lgkmcnt(0)
	s_barrier
	s_and_saveexec_b64 s[0:1], vcc
	s_cbranch_execz .LBB63_27
; %bb.26:
	ds_read_b128 v[13:16], v17 offset:2048
	ds_read_b128 v[18:21], v17
	s_waitcnt lgkmcnt(0)
	v_add_f64 v[13:14], v[13:14], v[18:19]
	v_add_f64 v[15:16], v[15:16], v[20:21]
	ds_write_b128 v17, v[13:16]
.LBB63_27:
	s_or_b64 exec, exec, s[0:1]
	v_cmp_gt_u32_e32 vcc, 64, v0
	s_waitcnt lgkmcnt(0)
	s_barrier
	s_and_saveexec_b64 s[0:1], vcc
	s_cbranch_execz .LBB63_29
; %bb.28:
	ds_read_b128 v[13:16], v17 offset:1024
	ds_read_b128 v[18:21], v17
	s_waitcnt lgkmcnt(0)
	v_add_f64 v[13:14], v[13:14], v[18:19]
	v_add_f64 v[15:16], v[15:16], v[20:21]
	ds_write_b128 v17, v[13:16]
.LBB63_29:
	s_or_b64 exec, exec, s[0:1]
	v_cmp_gt_u32_e32 vcc, 32, v0
	s_waitcnt lgkmcnt(0)
	s_and_saveexec_b64 s[0:1], vcc
	s_cbranch_execz .LBB63_31
; %bb.30:
	ds_read_b128 v[9:12], v17 offset:512
	ds_read_b128 v[13:16], v17
	s_waitcnt lgkmcnt(0)
	v_add_f64 v[9:10], v[9:10], v[13:14]
	v_add_f64 v[11:12], v[11:12], v[15:16]
.LBB63_31:
	s_or_b64 exec, exec, s[0:1]
	v_mov_b32_e32 v16, v12
	v_mov_b32_e32 v14, v10
	;; [unrolled: 1-line block ×4, first 2 shown]
.LBB63_32:
	v_cmp_gt_u32_e32 vcc, 32, v0
	s_and_b64 exec, exec, vcc
	s_cbranch_execz .LBB63_37
; %bb.33:
	v_mul_f64 v[9:10], v[15:16], -v[7:8]
	v_mul_f64 v[11:12], v[5:6], v[15:16]
	v_cmp_eq_f64_e32 vcc, 0, v[1:2]
	v_cmp_eq_f64_e64 s[0:1], 0, v[3:4]
	v_fma_f64 v[5:6], v[5:6], v[13:14], v[9:10]
	v_fma_f64 v[7:8], v[7:8], v[13:14], v[11:12]
	v_lshl_or_b32 v9, s6, 5, v0
	s_and_b64 s[0:1], vcc, s[0:1]
	s_and_saveexec_b64 s[4:5], s[0:1]
	s_xor_b64 s[0:1], exec, s[4:5]
	s_cbranch_execz .LBB63_35
; %bb.34:
	v_mov_b32_e32 v10, 0
	v_lshlrev_b64 v[0:1], 4, v[9:10]
	v_mov_b32_e32 v2, s3
	v_add_co_u32_e32 v0, vcc, s2, v0
	v_addc_co_u32_e32 v1, vcc, v2, v1, vcc
	global_store_dwordx4 v[0:1], v[5:8], off
                                        ; implicit-def: $vgpr9
                                        ; implicit-def: $vgpr1_vgpr2
                                        ; implicit-def: $vgpr5_vgpr6
.LBB63_35:
	s_andn2_saveexec_b64 s[0:1], s[0:1]
	s_cbranch_execz .LBB63_37
; %bb.36:
	v_mov_b32_e32 v10, 0
	v_lshlrev_b64 v[9:10], 4, v[9:10]
	v_mov_b32_e32 v0, s3
	v_add_co_u32_e32 v13, vcc, s2, v9
	v_addc_co_u32_e32 v14, vcc, v0, v10, vcc
	global_load_dwordx4 v[9:12], v[13:14], off
	s_waitcnt vmcnt(0)
	v_fma_f64 v[5:6], v[1:2], v[9:10], v[5:6]
	v_fma_f64 v[7:8], v[3:4], v[9:10], v[7:8]
	v_fma_f64 v[3:4], -v[3:4], v[11:12], v[5:6]
	v_fma_f64 v[5:6], v[1:2], v[11:12], v[7:8]
	global_store_dwordx4 v[13:14], v[3:6], off
.LBB63_37:
	s_endpgm
	.section	.rodata,"a",@progbits
	.p2align	6, 0x0
	.amdhsa_kernel _ZN9rocsparseL20bsrxmvn_17_32_kernelILj32E21rocsparse_complex_numIdEiiS2_S2_S2_EEvT2_20rocsparse_direction_NS_24const_host_device_scalarIT0_EES3_PKS3_PKT1_SC_S9_PKT3_PKT4_S7_PT5_21rocsparse_index_base_b
		.amdhsa_group_segment_fixed_size 16384
		.amdhsa_private_segment_fixed_size 0
		.amdhsa_kernarg_size 112
		.amdhsa_user_sgpr_count 6
		.amdhsa_user_sgpr_private_segment_buffer 1
		.amdhsa_user_sgpr_dispatch_ptr 0
		.amdhsa_user_sgpr_queue_ptr 0
		.amdhsa_user_sgpr_kernarg_segment_ptr 1
		.amdhsa_user_sgpr_dispatch_id 0
		.amdhsa_user_sgpr_flat_scratch_init 0
		.amdhsa_user_sgpr_private_segment_size 0
		.amdhsa_uses_dynamic_stack 0
		.amdhsa_system_sgpr_private_segment_wavefront_offset 0
		.amdhsa_system_sgpr_workgroup_id_x 1
		.amdhsa_system_sgpr_workgroup_id_y 0
		.amdhsa_system_sgpr_workgroup_id_z 0
		.amdhsa_system_sgpr_workgroup_info 0
		.amdhsa_system_vgpr_workitem_id 0
		.amdhsa_next_free_vgpr 29
		.amdhsa_next_free_sgpr 61
		.amdhsa_reserve_vcc 1
		.amdhsa_reserve_flat_scratch 0
		.amdhsa_float_round_mode_32 0
		.amdhsa_float_round_mode_16_64 0
		.amdhsa_float_denorm_mode_32 3
		.amdhsa_float_denorm_mode_16_64 3
		.amdhsa_dx10_clamp 1
		.amdhsa_ieee_mode 1
		.amdhsa_fp16_overflow 0
		.amdhsa_exception_fp_ieee_invalid_op 0
		.amdhsa_exception_fp_denorm_src 0
		.amdhsa_exception_fp_ieee_div_zero 0
		.amdhsa_exception_fp_ieee_overflow 0
		.amdhsa_exception_fp_ieee_underflow 0
		.amdhsa_exception_fp_ieee_inexact 0
		.amdhsa_exception_int_div_zero 0
	.end_amdhsa_kernel
	.section	.text._ZN9rocsparseL20bsrxmvn_17_32_kernelILj32E21rocsparse_complex_numIdEiiS2_S2_S2_EEvT2_20rocsparse_direction_NS_24const_host_device_scalarIT0_EES3_PKS3_PKT1_SC_S9_PKT3_PKT4_S7_PT5_21rocsparse_index_base_b,"axG",@progbits,_ZN9rocsparseL20bsrxmvn_17_32_kernelILj32E21rocsparse_complex_numIdEiiS2_S2_S2_EEvT2_20rocsparse_direction_NS_24const_host_device_scalarIT0_EES3_PKS3_PKT1_SC_S9_PKT3_PKT4_S7_PT5_21rocsparse_index_base_b,comdat
.Lfunc_end63:
	.size	_ZN9rocsparseL20bsrxmvn_17_32_kernelILj32E21rocsparse_complex_numIdEiiS2_S2_S2_EEvT2_20rocsparse_direction_NS_24const_host_device_scalarIT0_EES3_PKS3_PKT1_SC_S9_PKT3_PKT4_S7_PT5_21rocsparse_index_base_b, .Lfunc_end63-_ZN9rocsparseL20bsrxmvn_17_32_kernelILj32E21rocsparse_complex_numIdEiiS2_S2_S2_EEvT2_20rocsparse_direction_NS_24const_host_device_scalarIT0_EES3_PKS3_PKT1_SC_S9_PKT3_PKT4_S7_PT5_21rocsparse_index_base_b
                                        ; -- End function
	.set _ZN9rocsparseL20bsrxmvn_17_32_kernelILj32E21rocsparse_complex_numIdEiiS2_S2_S2_EEvT2_20rocsparse_direction_NS_24const_host_device_scalarIT0_EES3_PKS3_PKT1_SC_S9_PKT3_PKT4_S7_PT5_21rocsparse_index_base_b.num_vgpr, 27
	.set _ZN9rocsparseL20bsrxmvn_17_32_kernelILj32E21rocsparse_complex_numIdEiiS2_S2_S2_EEvT2_20rocsparse_direction_NS_24const_host_device_scalarIT0_EES3_PKS3_PKT1_SC_S9_PKT3_PKT4_S7_PT5_21rocsparse_index_base_b.num_agpr, 0
	.set _ZN9rocsparseL20bsrxmvn_17_32_kernelILj32E21rocsparse_complex_numIdEiiS2_S2_S2_EEvT2_20rocsparse_direction_NS_24const_host_device_scalarIT0_EES3_PKS3_PKT1_SC_S9_PKT3_PKT4_S7_PT5_21rocsparse_index_base_b.numbered_sgpr, 18
	.set _ZN9rocsparseL20bsrxmvn_17_32_kernelILj32E21rocsparse_complex_numIdEiiS2_S2_S2_EEvT2_20rocsparse_direction_NS_24const_host_device_scalarIT0_EES3_PKS3_PKT1_SC_S9_PKT3_PKT4_S7_PT5_21rocsparse_index_base_b.num_named_barrier, 0
	.set _ZN9rocsparseL20bsrxmvn_17_32_kernelILj32E21rocsparse_complex_numIdEiiS2_S2_S2_EEvT2_20rocsparse_direction_NS_24const_host_device_scalarIT0_EES3_PKS3_PKT1_SC_S9_PKT3_PKT4_S7_PT5_21rocsparse_index_base_b.private_seg_size, 0
	.set _ZN9rocsparseL20bsrxmvn_17_32_kernelILj32E21rocsparse_complex_numIdEiiS2_S2_S2_EEvT2_20rocsparse_direction_NS_24const_host_device_scalarIT0_EES3_PKS3_PKT1_SC_S9_PKT3_PKT4_S7_PT5_21rocsparse_index_base_b.uses_vcc, 1
	.set _ZN9rocsparseL20bsrxmvn_17_32_kernelILj32E21rocsparse_complex_numIdEiiS2_S2_S2_EEvT2_20rocsparse_direction_NS_24const_host_device_scalarIT0_EES3_PKS3_PKT1_SC_S9_PKT3_PKT4_S7_PT5_21rocsparse_index_base_b.uses_flat_scratch, 0
	.set _ZN9rocsparseL20bsrxmvn_17_32_kernelILj32E21rocsparse_complex_numIdEiiS2_S2_S2_EEvT2_20rocsparse_direction_NS_24const_host_device_scalarIT0_EES3_PKS3_PKT1_SC_S9_PKT3_PKT4_S7_PT5_21rocsparse_index_base_b.has_dyn_sized_stack, 0
	.set _ZN9rocsparseL20bsrxmvn_17_32_kernelILj32E21rocsparse_complex_numIdEiiS2_S2_S2_EEvT2_20rocsparse_direction_NS_24const_host_device_scalarIT0_EES3_PKS3_PKT1_SC_S9_PKT3_PKT4_S7_PT5_21rocsparse_index_base_b.has_recursion, 0
	.set _ZN9rocsparseL20bsrxmvn_17_32_kernelILj32E21rocsparse_complex_numIdEiiS2_S2_S2_EEvT2_20rocsparse_direction_NS_24const_host_device_scalarIT0_EES3_PKS3_PKT1_SC_S9_PKT3_PKT4_S7_PT5_21rocsparse_index_base_b.has_indirect_call, 0
	.section	.AMDGPU.csdata,"",@progbits
; Kernel info:
; codeLenInByte = 1520
; TotalNumSgprs: 22
; NumVgprs: 27
; ScratchSize: 0
; MemoryBound: 0
; FloatMode: 240
; IeeeMode: 1
; LDSByteSize: 16384 bytes/workgroup (compile time only)
; SGPRBlocks: 8
; VGPRBlocks: 7
; NumSGPRsForWavesPerEU: 65
; NumVGPRsForWavesPerEU: 29
; Occupancy: 8
; WaveLimiterHint : 1
; COMPUTE_PGM_RSRC2:SCRATCH_EN: 0
; COMPUTE_PGM_RSRC2:USER_SGPR: 6
; COMPUTE_PGM_RSRC2:TRAP_HANDLER: 0
; COMPUTE_PGM_RSRC2:TGID_X_EN: 1
; COMPUTE_PGM_RSRC2:TGID_Y_EN: 0
; COMPUTE_PGM_RSRC2:TGID_Z_EN: 0
; COMPUTE_PGM_RSRC2:TIDIG_COMP_CNT: 0
	.section	.text._ZN9rocsparseL20bsrxmvn_17_32_kernelILj17EflifffEEvT2_20rocsparse_direction_NS_24const_host_device_scalarIT0_EES1_PKS1_PKT1_SA_S7_PKT3_PKT4_S5_PT5_21rocsparse_index_base_b,"axG",@progbits,_ZN9rocsparseL20bsrxmvn_17_32_kernelILj17EflifffEEvT2_20rocsparse_direction_NS_24const_host_device_scalarIT0_EES1_PKS1_PKT1_SA_S7_PKT3_PKT4_S5_PT5_21rocsparse_index_base_b,comdat
	.globl	_ZN9rocsparseL20bsrxmvn_17_32_kernelILj17EflifffEEvT2_20rocsparse_direction_NS_24const_host_device_scalarIT0_EES1_PKS1_PKT1_SA_S7_PKT3_PKT4_S5_PT5_21rocsparse_index_base_b ; -- Begin function _ZN9rocsparseL20bsrxmvn_17_32_kernelILj17EflifffEEvT2_20rocsparse_direction_NS_24const_host_device_scalarIT0_EES1_PKS1_PKT1_SA_S7_PKT3_PKT4_S5_PT5_21rocsparse_index_base_b
	.p2align	8
	.type	_ZN9rocsparseL20bsrxmvn_17_32_kernelILj17EflifffEEvT2_20rocsparse_direction_NS_24const_host_device_scalarIT0_EES1_PKS1_PKT1_SA_S7_PKT3_PKT4_S5_PT5_21rocsparse_index_base_b,@function
_ZN9rocsparseL20bsrxmvn_17_32_kernelILj17EflifffEEvT2_20rocsparse_direction_NS_24const_host_device_scalarIT0_EES1_PKS1_PKT1_SA_S7_PKT3_PKT4_S5_PT5_21rocsparse_index_base_b: ; @_ZN9rocsparseL20bsrxmvn_17_32_kernelILj17EflifffEEvT2_20rocsparse_direction_NS_24const_host_device_scalarIT0_EES1_PKS1_PKT1_SA_S7_PKT3_PKT4_S5_PT5_21rocsparse_index_base_b
; %bb.0:
	s_load_dwordx2 s[18:19], s[4:5], 0x58
	s_load_dwordx2 s[14:15], s[4:5], 0x8
	;; [unrolled: 1-line block ×3, first 2 shown]
	s_waitcnt lgkmcnt(0)
	s_bitcmp1_b32 s19, 0
	s_cselect_b64 s[2:3], -1, 0
	s_xor_b64 s[0:1], s[2:3], -1
	s_and_b64 vcc, exec, s[2:3]
	s_cbranch_vccnz .LBB64_2
; %bb.1:
	s_load_dword s14, s[14:15], 0x0
.LBB64_2:
	s_andn2_b64 vcc, exec, s[0:1]
	s_cbranch_vccnz .LBB64_4
; %bb.3:
	s_load_dword s12, s[12:13], 0x0
.LBB64_4:
	s_waitcnt lgkmcnt(0)
	v_cmp_neq_f32_e64 s[0:1], s14, 0
	v_cmp_neq_f32_e64 s[2:3], s12, 1.0
	s_or_b64 s[0:1], s[0:1], s[2:3]
	s_andn2_b64 vcc, exec, s[0:1]
	s_cbranch_vccnz .LBB64_40
; %bb.5:
	s_load_dwordx4 s[0:3], s[4:5], 0x18
	s_load_dwordx2 s[8:9], s[4:5], 0x28
	s_waitcnt lgkmcnt(0)
	s_cmp_eq_u64 s[0:1], 0
	s_cbranch_scc1 .LBB64_7
; %bb.6:
	s_ashr_i32 s7, s6, 31
	s_lshl_b64 s[6:7], s[6:7], 2
	s_add_u32 s0, s0, s6
	s_addc_u32 s1, s1, s7
	s_load_dword s0, s[0:1], 0x0
	s_waitcnt lgkmcnt(0)
	s_sub_i32 s6, s0, s18
.LBB64_7:
	s_load_dword s7, s[4:5], 0x4
	s_load_dwordx2 s[16:17], s[4:5], 0x50
	v_mul_u32_u24_e32 v1, 0xf10, v0
	v_mov_b32_e32 v2, 17
	v_mul_lo_u16_sdwa v2, v1, v2 dst_sel:DWORD dst_unused:UNUSED_PAD src0_sel:WORD_1 src1_sel:DWORD
	s_waitcnt lgkmcnt(0)
	s_cmp_eq_u32 s7, 1
	s_cselect_b64 s[0:1], -1, 0
	s_cmp_lg_u32 s7, 1
	s_cselect_b64 s[20:21], -1, 0
	s_ashr_i32 s7, s6, 31
	s_lshl_b64 s[10:11], s[6:7], 3
	s_add_u32 s2, s2, s10
	s_addc_u32 s3, s3, s11
	s_add_u32 s7, s2, 8
	s_addc_u32 s13, s3, 0
	;; [unrolled: 2-line block ×3, first 2 shown]
	s_cmp_eq_u64 s[8:9], 0
	s_cselect_b32 s9, s13, s11
	s_cselect_b32 s8, s7, s10
	s_load_dwordx2 s[22:23], s[8:9], 0x0
	s_load_dwordx2 s[24:25], s[2:3], 0x0
	v_sub_u16_e32 v8, v0, v2
	v_mov_b32_e32 v7, 0
	v_lshlrev_b32_e32 v6, 2, v0
	s_waitcnt lgkmcnt(0)
	v_mov_b32_e32 v2, s22
	v_mov_b32_e32 v3, s23
	v_cmp_ge_i64_e32 vcc, s[24:25], v[2:3]
	s_cbranch_vccnz .LBB64_12
; %bb.8:
	v_mov_b32_e32 v2, 31
	v_mul_lo_u16_sdwa v2, v1, v2 dst_sel:DWORD dst_unused:UNUSED_PAD src0_sel:WORD_1 src1_sel:DWORD
	s_load_dwordx4 s[8:11], s[4:5], 0x30
	s_load_dwordx2 s[2:3], s[4:5], 0x40
	s_sub_u32 s4, s22, s18
	v_lshrrev_b16_e32 v2, 9, v2
	s_subb_u32 s5, s23, 0
	v_mul_lo_u16_e32 v2, 17, v2
	v_sub_u16_sdwa v1, v1, v2 dst_sel:DWORD dst_unused:UNUSED_PAD src0_sel:WORD_1 src1_sel:DWORD
	s_sub_u32 s22, s24, s18
	v_and_b32_e32 v1, 0xff, v1
	s_subb_u32 s23, s25, 0
	v_cndmask_b32_e64 v1, v8, v1, s[0:1]
	s_mul_i32 s0, s23, 0x484
	s_mul_hi_u32 s1, s22, 0x484
	s_add_i32 s1, s1, s0
	s_mul_i32 s0, s22, 0x484
	s_waitcnt lgkmcnt(0)
	s_add_u32 s0, s10, s0
	s_addc_u32 s1, s11, s1
	v_add_co_u32_e32 v2, vcc, s0, v6
	s_movk_i32 s0, 0xe3
	v_mov_b32_e32 v3, s1
	v_mul_u32_u24_sdwa v4, v0, s0 dst_sel:DWORD dst_unused:UNUSED_PAD src0_sel:WORD_0 src1_sel:DWORD
	v_addc_co_u32_e32 v3, vcc, 0, v3, vcc
	v_lshrrev_b32_e32 v9, 16, v4
	v_mov_b32_e32 v4, s25
	v_add_co_u32_e32 v5, vcc, s24, v9
	v_addc_co_u32_e32 v10, vcc, 0, v4, vcc
	v_subrev_co_u32_e32 v4, vcc, s18, v5
	v_subbrev_co_u32_e32 v5, vcc, 0, v10, vcc
	v_lshlrev_b64 v[4:5], 2, v[4:5]
	v_mov_b32_e32 v10, s9
	v_add_co_u32_e32 v4, vcc, s8, v4
	v_mov_b32_e32 v7, 0
	v_addc_co_u32_e32 v5, vcc, v10, v5, vcc
	s_branch .LBB64_10
.LBB64_9:                               ;   in Loop: Header=BB64_10 Depth=1
	s_or_b64 exec, exec, s[0:1]
	s_add_u32 s22, s22, 1
	v_mov_b32_e32 v11, s5
	s_addc_u32 s23, s23, 0
	v_mov_b32_e32 v10, s4
	v_cmp_lt_i64_e32 vcc, s[22:23], v[10:11]
	v_add_co_u32_e64 v4, s[0:1], 4, v4
	v_addc_co_u32_e64 v5, s[0:1], 0, v5, s[0:1]
	s_cbranch_vccz .LBB64_12
.LBB64_10:                              ; =>This Inner Loop Header: Depth=1
	v_mov_b32_e32 v11, s23
	v_add_co_u32_e32 v10, vcc, s22, v9
	v_addc_co_u32_e32 v11, vcc, 0, v11, vcc
	v_cmp_gt_i64_e32 vcc, s[4:5], v[10:11]
	s_and_saveexec_b64 s[0:1], vcc
	s_cbranch_execz .LBB64_9
; %bb.11:                               ;   in Loop: Header=BB64_10 Depth=1
	global_load_dword v10, v[4:5], off
	v_mov_b32_e32 v13, s3
	global_load_dword v12, v[2:3], off
	s_waitcnt vmcnt(1)
	v_subrev_u32_e32 v10, s18, v10
	v_mad_u64_u32 v[10:11], s[8:9], v10, 17, v[1:2]
	v_ashrrev_i32_e32 v11, 31, v10
	v_lshlrev_b64 v[10:11], 2, v[10:11]
	v_add_co_u32_e32 v10, vcc, s2, v10
	v_addc_co_u32_e32 v11, vcc, v13, v11, vcc
	global_load_dword v10, v[10:11], off
	v_add_co_u32_e32 v2, vcc, 0x484, v2
	v_addc_co_u32_e32 v3, vcc, 0, v3, vcc
	s_waitcnt vmcnt(0)
	v_fmac_f32_e32 v7, v12, v10
	s_branch .LBB64_9
.LBB64_12:
	s_and_b64 vcc, exec, s[20:21]
	ds_write_b32 v6, v7
	s_waitcnt lgkmcnt(0)
	s_barrier
	s_cbranch_vccz .LBB64_24
; %bb.13:
	v_cmp_eq_u16_e32 vcc, 0, v8
	s_and_saveexec_b64 s[0:1], vcc
	s_cbranch_execz .LBB64_15
; %bb.14:
	ds_read2_b32 v[1:2], v6 offset1:16
	s_waitcnt lgkmcnt(0)
	v_add_f32_e32 v1, v2, v1
	ds_write_b32 v6, v1
.LBB64_15:
	s_or_b64 exec, exec, s[0:1]
	v_cmp_gt_u16_e32 vcc, 8, v8
	s_waitcnt lgkmcnt(0)
	s_barrier
	s_and_saveexec_b64 s[0:1], vcc
	s_cbranch_execz .LBB64_17
; %bb.16:
	ds_read2_b32 v[1:2], v6 offset1:8
	s_waitcnt lgkmcnt(0)
	v_add_f32_e32 v1, v2, v1
	ds_write_b32 v6, v1
.LBB64_17:
	s_or_b64 exec, exec, s[0:1]
	v_cmp_gt_u16_e32 vcc, 4, v8
	s_waitcnt lgkmcnt(0)
	s_barrier
	;; [unrolled: 12-line block ×3, first 2 shown]
	s_and_saveexec_b64 s[0:1], vcc
	s_cbranch_execz .LBB64_21
; %bb.20:
	ds_read2_b32 v[1:2], v6 offset1:2
	s_waitcnt lgkmcnt(0)
	v_add_f32_e32 v1, v2, v1
	ds_write_b32 v6, v1
.LBB64_21:
	s_or_b64 exec, exec, s[0:1]
	v_cmp_gt_u32_e32 vcc, 17, v0
	v_mov_b32_e32 v1, v7
	s_waitcnt lgkmcnt(0)
	s_barrier
	s_and_saveexec_b64 s[0:1], vcc
	s_cbranch_execz .LBB64_23
; %bb.22:
	v_lshl_add_u32 v1, v0, 6, v6
	ds_read2_b32 v[1:2], v1 offset1:1
	s_waitcnt lgkmcnt(0)
	v_add_f32_e32 v1, v1, v2
.LBB64_23:
	s_or_b64 exec, exec, s[0:1]
	v_cmp_gt_u32_e64 s[0:1], 17, v0
	s_branch .LBB64_36
.LBB64_24:
                                        ; implicit-def: $vgpr1
	v_cmp_gt_u32_e64 s[0:1], 17, v0
	s_cbranch_execz .LBB64_36
; %bb.25:
	s_and_saveexec_b64 s[2:3], s[0:1]
	s_cbranch_execz .LBB64_27
; %bb.26:
	ds_read_b32 v1, v6 offset:1088
	ds_read_b32 v2, v6
	s_waitcnt lgkmcnt(0)
	v_add_f32_e32 v1, v1, v2
	ds_write_b32 v6, v1
.LBB64_27:
	s_or_b64 exec, exec, s[2:3]
	s_movk_i32 s2, 0x88
	v_cmp_gt_u32_e32 vcc, s2, v0
	s_waitcnt lgkmcnt(0)
	s_barrier
	s_and_saveexec_b64 s[2:3], vcc
	s_cbranch_execz .LBB64_29
; %bb.28:
	ds_read2_b32 v[1:2], v6 offset1:136
	s_waitcnt lgkmcnt(0)
	v_add_f32_e32 v1, v2, v1
	ds_write_b32 v6, v1
.LBB64_29:
	s_or_b64 exec, exec, s[2:3]
	s_movk_i32 s2, 0x44
	v_cmp_gt_u32_e32 vcc, s2, v0
	s_waitcnt lgkmcnt(0)
	s_barrier
	s_and_saveexec_b64 s[2:3], vcc
	s_cbranch_execz .LBB64_31
; %bb.30:
	ds_read2_b32 v[1:2], v6 offset1:68
	s_waitcnt lgkmcnt(0)
	v_add_f32_e32 v1, v2, v1
	ds_write_b32 v6, v1
.LBB64_31:
	s_or_b64 exec, exec, s[2:3]
	v_cmp_gt_u32_e32 vcc, 34, v0
	s_waitcnt lgkmcnt(0)
	s_barrier
	s_and_saveexec_b64 s[2:3], vcc
	s_cbranch_execz .LBB64_33
; %bb.32:
	ds_read2_b32 v[1:2], v6 offset1:34
	s_waitcnt lgkmcnt(0)
	v_add_f32_e32 v1, v2, v1
	ds_write_b32 v6, v1
.LBB64_33:
	s_or_b64 exec, exec, s[2:3]
	s_waitcnt lgkmcnt(0)
	s_and_saveexec_b64 s[2:3], s[0:1]
	s_cbranch_execz .LBB64_35
; %bb.34:
	ds_read2_b32 v[1:2], v6 offset1:17
	s_waitcnt lgkmcnt(0)
	v_add_f32_e32 v7, v1, v2
.LBB64_35:
	s_or_b64 exec, exec, s[2:3]
	v_mov_b32_e32 v1, v7
.LBB64_36:
	v_cmp_gt_u32_e32 vcc, 17, v0
	s_and_saveexec_b64 s[0:1], vcc
	s_cbranch_execz .LBB64_40
; %bb.37:
	v_cmp_eq_f32_e64 s[0:1], s12, 0
	s_and_b64 vcc, exec, s[0:1]
	v_mul_f32_e32 v1, s14, v1
	s_cbranch_vccz .LBB64_41
; %bb.38:
	v_mad_u64_u32 v[2:3], s[0:1], s6, 17, v[0:1]
	v_mov_b32_e32 v3, 0
	v_mov_b32_e32 v4, s17
	v_lshlrev_b64 v[2:3], 2, v[2:3]
	v_add_co_u32_e32 v2, vcc, s16, v2
	v_addc_co_u32_e32 v3, vcc, v4, v3, vcc
	global_store_dword v[2:3], v1, off
	s_cbranch_execnz .LBB64_40
.LBB64_39:
	v_mad_u64_u32 v[2:3], s[0:1], s6, 17, v[0:1]
	v_mov_b32_e32 v3, 0
	v_mov_b32_e32 v0, s17
	v_lshlrev_b64 v[2:3], 2, v[2:3]
	v_add_co_u32_e32 v2, vcc, s16, v2
	v_addc_co_u32_e32 v3, vcc, v0, v3, vcc
	global_load_dword v0, v[2:3], off
	s_waitcnt vmcnt(0)
	v_fmac_f32_e32 v1, s12, v0
	global_store_dword v[2:3], v1, off
.LBB64_40:
	s_endpgm
.LBB64_41:
	s_branch .LBB64_39
	.section	.rodata,"a",@progbits
	.p2align	6, 0x0
	.amdhsa_kernel _ZN9rocsparseL20bsrxmvn_17_32_kernelILj17EflifffEEvT2_20rocsparse_direction_NS_24const_host_device_scalarIT0_EES1_PKS1_PKT1_SA_S7_PKT3_PKT4_S5_PT5_21rocsparse_index_base_b
		.amdhsa_group_segment_fixed_size 1156
		.amdhsa_private_segment_fixed_size 0
		.amdhsa_kernarg_size 96
		.amdhsa_user_sgpr_count 6
		.amdhsa_user_sgpr_private_segment_buffer 1
		.amdhsa_user_sgpr_dispatch_ptr 0
		.amdhsa_user_sgpr_queue_ptr 0
		.amdhsa_user_sgpr_kernarg_segment_ptr 1
		.amdhsa_user_sgpr_dispatch_id 0
		.amdhsa_user_sgpr_flat_scratch_init 0
		.amdhsa_user_sgpr_private_segment_size 0
		.amdhsa_uses_dynamic_stack 0
		.amdhsa_system_sgpr_private_segment_wavefront_offset 0
		.amdhsa_system_sgpr_workgroup_id_x 1
		.amdhsa_system_sgpr_workgroup_id_y 0
		.amdhsa_system_sgpr_workgroup_id_z 0
		.amdhsa_system_sgpr_workgroup_info 0
		.amdhsa_system_vgpr_workitem_id 0
		.amdhsa_next_free_vgpr 14
		.amdhsa_next_free_sgpr 26
		.amdhsa_reserve_vcc 1
		.amdhsa_reserve_flat_scratch 0
		.amdhsa_float_round_mode_32 0
		.amdhsa_float_round_mode_16_64 0
		.amdhsa_float_denorm_mode_32 3
		.amdhsa_float_denorm_mode_16_64 3
		.amdhsa_dx10_clamp 1
		.amdhsa_ieee_mode 1
		.amdhsa_fp16_overflow 0
		.amdhsa_exception_fp_ieee_invalid_op 0
		.amdhsa_exception_fp_denorm_src 0
		.amdhsa_exception_fp_ieee_div_zero 0
		.amdhsa_exception_fp_ieee_overflow 0
		.amdhsa_exception_fp_ieee_underflow 0
		.amdhsa_exception_fp_ieee_inexact 0
		.amdhsa_exception_int_div_zero 0
	.end_amdhsa_kernel
	.section	.text._ZN9rocsparseL20bsrxmvn_17_32_kernelILj17EflifffEEvT2_20rocsparse_direction_NS_24const_host_device_scalarIT0_EES1_PKS1_PKT1_SA_S7_PKT3_PKT4_S5_PT5_21rocsparse_index_base_b,"axG",@progbits,_ZN9rocsparseL20bsrxmvn_17_32_kernelILj17EflifffEEvT2_20rocsparse_direction_NS_24const_host_device_scalarIT0_EES1_PKS1_PKT1_SA_S7_PKT3_PKT4_S5_PT5_21rocsparse_index_base_b,comdat
.Lfunc_end64:
	.size	_ZN9rocsparseL20bsrxmvn_17_32_kernelILj17EflifffEEvT2_20rocsparse_direction_NS_24const_host_device_scalarIT0_EES1_PKS1_PKT1_SA_S7_PKT3_PKT4_S5_PT5_21rocsparse_index_base_b, .Lfunc_end64-_ZN9rocsparseL20bsrxmvn_17_32_kernelILj17EflifffEEvT2_20rocsparse_direction_NS_24const_host_device_scalarIT0_EES1_PKS1_PKT1_SA_S7_PKT3_PKT4_S5_PT5_21rocsparse_index_base_b
                                        ; -- End function
	.set _ZN9rocsparseL20bsrxmvn_17_32_kernelILj17EflifffEEvT2_20rocsparse_direction_NS_24const_host_device_scalarIT0_EES1_PKS1_PKT1_SA_S7_PKT3_PKT4_S5_PT5_21rocsparse_index_base_b.num_vgpr, 14
	.set _ZN9rocsparseL20bsrxmvn_17_32_kernelILj17EflifffEEvT2_20rocsparse_direction_NS_24const_host_device_scalarIT0_EES1_PKS1_PKT1_SA_S7_PKT3_PKT4_S5_PT5_21rocsparse_index_base_b.num_agpr, 0
	.set _ZN9rocsparseL20bsrxmvn_17_32_kernelILj17EflifffEEvT2_20rocsparse_direction_NS_24const_host_device_scalarIT0_EES1_PKS1_PKT1_SA_S7_PKT3_PKT4_S5_PT5_21rocsparse_index_base_b.numbered_sgpr, 26
	.set _ZN9rocsparseL20bsrxmvn_17_32_kernelILj17EflifffEEvT2_20rocsparse_direction_NS_24const_host_device_scalarIT0_EES1_PKS1_PKT1_SA_S7_PKT3_PKT4_S5_PT5_21rocsparse_index_base_b.num_named_barrier, 0
	.set _ZN9rocsparseL20bsrxmvn_17_32_kernelILj17EflifffEEvT2_20rocsparse_direction_NS_24const_host_device_scalarIT0_EES1_PKS1_PKT1_SA_S7_PKT3_PKT4_S5_PT5_21rocsparse_index_base_b.private_seg_size, 0
	.set _ZN9rocsparseL20bsrxmvn_17_32_kernelILj17EflifffEEvT2_20rocsparse_direction_NS_24const_host_device_scalarIT0_EES1_PKS1_PKT1_SA_S7_PKT3_PKT4_S5_PT5_21rocsparse_index_base_b.uses_vcc, 1
	.set _ZN9rocsparseL20bsrxmvn_17_32_kernelILj17EflifffEEvT2_20rocsparse_direction_NS_24const_host_device_scalarIT0_EES1_PKS1_PKT1_SA_S7_PKT3_PKT4_S5_PT5_21rocsparse_index_base_b.uses_flat_scratch, 0
	.set _ZN9rocsparseL20bsrxmvn_17_32_kernelILj17EflifffEEvT2_20rocsparse_direction_NS_24const_host_device_scalarIT0_EES1_PKS1_PKT1_SA_S7_PKT3_PKT4_S5_PT5_21rocsparse_index_base_b.has_dyn_sized_stack, 0
	.set _ZN9rocsparseL20bsrxmvn_17_32_kernelILj17EflifffEEvT2_20rocsparse_direction_NS_24const_host_device_scalarIT0_EES1_PKS1_PKT1_SA_S7_PKT3_PKT4_S5_PT5_21rocsparse_index_base_b.has_recursion, 0
	.set _ZN9rocsparseL20bsrxmvn_17_32_kernelILj17EflifffEEvT2_20rocsparse_direction_NS_24const_host_device_scalarIT0_EES1_PKS1_PKT1_SA_S7_PKT3_PKT4_S5_PT5_21rocsparse_index_base_b.has_indirect_call, 0
	.section	.AMDGPU.csdata,"",@progbits
; Kernel info:
; codeLenInByte = 1316
; TotalNumSgprs: 30
; NumVgprs: 14
; ScratchSize: 0
; MemoryBound: 0
; FloatMode: 240
; IeeeMode: 1
; LDSByteSize: 1156 bytes/workgroup (compile time only)
; SGPRBlocks: 3
; VGPRBlocks: 3
; NumSGPRsForWavesPerEU: 30
; NumVGPRsForWavesPerEU: 14
; Occupancy: 10
; WaveLimiterHint : 1
; COMPUTE_PGM_RSRC2:SCRATCH_EN: 0
; COMPUTE_PGM_RSRC2:USER_SGPR: 6
; COMPUTE_PGM_RSRC2:TRAP_HANDLER: 0
; COMPUTE_PGM_RSRC2:TGID_X_EN: 1
; COMPUTE_PGM_RSRC2:TGID_Y_EN: 0
; COMPUTE_PGM_RSRC2:TGID_Z_EN: 0
; COMPUTE_PGM_RSRC2:TIDIG_COMP_CNT: 0
	.section	.text._ZN9rocsparseL20bsrxmvn_17_32_kernelILj18EflifffEEvT2_20rocsparse_direction_NS_24const_host_device_scalarIT0_EES1_PKS1_PKT1_SA_S7_PKT3_PKT4_S5_PT5_21rocsparse_index_base_b,"axG",@progbits,_ZN9rocsparseL20bsrxmvn_17_32_kernelILj18EflifffEEvT2_20rocsparse_direction_NS_24const_host_device_scalarIT0_EES1_PKS1_PKT1_SA_S7_PKT3_PKT4_S5_PT5_21rocsparse_index_base_b,comdat
	.globl	_ZN9rocsparseL20bsrxmvn_17_32_kernelILj18EflifffEEvT2_20rocsparse_direction_NS_24const_host_device_scalarIT0_EES1_PKS1_PKT1_SA_S7_PKT3_PKT4_S5_PT5_21rocsparse_index_base_b ; -- Begin function _ZN9rocsparseL20bsrxmvn_17_32_kernelILj18EflifffEEvT2_20rocsparse_direction_NS_24const_host_device_scalarIT0_EES1_PKS1_PKT1_SA_S7_PKT3_PKT4_S5_PT5_21rocsparse_index_base_b
	.p2align	8
	.type	_ZN9rocsparseL20bsrxmvn_17_32_kernelILj18EflifffEEvT2_20rocsparse_direction_NS_24const_host_device_scalarIT0_EES1_PKS1_PKT1_SA_S7_PKT3_PKT4_S5_PT5_21rocsparse_index_base_b,@function
_ZN9rocsparseL20bsrxmvn_17_32_kernelILj18EflifffEEvT2_20rocsparse_direction_NS_24const_host_device_scalarIT0_EES1_PKS1_PKT1_SA_S7_PKT3_PKT4_S5_PT5_21rocsparse_index_base_b: ; @_ZN9rocsparseL20bsrxmvn_17_32_kernelILj18EflifffEEvT2_20rocsparse_direction_NS_24const_host_device_scalarIT0_EES1_PKS1_PKT1_SA_S7_PKT3_PKT4_S5_PT5_21rocsparse_index_base_b
; %bb.0:
	s_load_dwordx2 s[18:19], s[4:5], 0x58
	s_load_dwordx2 s[14:15], s[4:5], 0x8
	;; [unrolled: 1-line block ×3, first 2 shown]
	s_waitcnt lgkmcnt(0)
	s_bitcmp1_b32 s19, 0
	s_cselect_b64 s[2:3], -1, 0
	s_xor_b64 s[0:1], s[2:3], -1
	s_and_b64 vcc, exec, s[2:3]
	s_cbranch_vccnz .LBB65_2
; %bb.1:
	s_load_dword s14, s[14:15], 0x0
.LBB65_2:
	s_andn2_b64 vcc, exec, s[0:1]
	s_cbranch_vccnz .LBB65_4
; %bb.3:
	s_load_dword s12, s[12:13], 0x0
.LBB65_4:
	s_waitcnt lgkmcnt(0)
	v_cmp_neq_f32_e64 s[0:1], s14, 0
	v_cmp_neq_f32_e64 s[2:3], s12, 1.0
	s_or_b64 s[0:1], s[0:1], s[2:3]
	s_andn2_b64 vcc, exec, s[0:1]
	s_cbranch_vccnz .LBB65_40
; %bb.5:
	s_load_dwordx4 s[0:3], s[4:5], 0x18
	s_load_dwordx2 s[8:9], s[4:5], 0x28
	s_waitcnt lgkmcnt(0)
	s_cmp_eq_u64 s[0:1], 0
	s_cbranch_scc1 .LBB65_7
; %bb.6:
	s_ashr_i32 s7, s6, 31
	s_lshl_b64 s[6:7], s[6:7], 2
	s_add_u32 s0, s0, s6
	s_addc_u32 s1, s1, s7
	s_load_dword s0, s[0:1], 0x0
	s_waitcnt lgkmcnt(0)
	s_sub_i32 s6, s0, s18
.LBB65_7:
	s_load_dword s7, s[4:5], 0x4
	s_load_dwordx2 s[16:17], s[4:5], 0x50
	v_mul_u32_u24_e32 v1, 0xe39, v0
	v_mov_b32_e32 v2, 18
	v_mul_lo_u16_sdwa v3, v1, v2 dst_sel:DWORD dst_unused:UNUSED_PAD src0_sel:WORD_1 src1_sel:DWORD
	s_waitcnt lgkmcnt(0)
	s_cmp_eq_u32 s7, 1
	s_cselect_b64 s[0:1], -1, 0
	s_cmp_lg_u32 s7, 1
	s_cselect_b64 s[20:21], -1, 0
	s_ashr_i32 s7, s6, 31
	s_lshl_b64 s[10:11], s[6:7], 3
	s_add_u32 s2, s2, s10
	s_addc_u32 s3, s3, s11
	s_add_u32 s7, s2, 8
	s_addc_u32 s13, s3, 0
	;; [unrolled: 2-line block ×3, first 2 shown]
	s_cmp_eq_u64 s[8:9], 0
	s_cselect_b32 s9, s13, s11
	s_cselect_b32 s8, s7, s10
	s_load_dwordx2 s[22:23], s[8:9], 0x0
	s_load_dwordx2 s[24:25], s[2:3], 0x0
	v_sub_u16_e32 v8, v0, v3
	v_mov_b32_e32 v7, 0
	v_lshlrev_b32_e32 v6, 2, v0
	s_waitcnt lgkmcnt(0)
	v_mov_b32_e32 v3, s22
	v_mov_b32_e32 v4, s23
	v_cmp_ge_i64_e32 vcc, s[24:25], v[3:4]
	s_cbranch_vccnz .LBB65_12
; %bb.8:
	v_mov_b32_e32 v3, 15
	s_load_dwordx4 s[8:11], s[4:5], 0x30
	s_load_dwordx2 s[2:3], s[4:5], 0x40
	s_sub_u32 s4, s22, s18
	v_mul_lo_u16_sdwa v3, v1, v3 dst_sel:DWORD dst_unused:UNUSED_PAD src0_sel:WORD_1 src1_sel:DWORD
	s_subb_u32 s5, s23, 0
	v_mul_lo_u16_sdwa v2, v3, v2 dst_sel:DWORD dst_unused:UNUSED_PAD src0_sel:BYTE_1 src1_sel:DWORD
	v_sub_u16_sdwa v1, v1, v2 dst_sel:DWORD dst_unused:UNUSED_PAD src0_sel:WORD_1 src1_sel:DWORD
	s_sub_u32 s22, s24, s18
	v_and_b32_e32 v1, 0xff, v1
	s_subb_u32 s23, s25, 0
	v_cndmask_b32_e64 v1, v8, v1, s[0:1]
	s_mul_i32 s0, s23, 0x510
	s_mul_hi_u32 s1, s22, 0x510
	s_add_i32 s1, s1, s0
	s_mul_i32 s0, s22, 0x510
	s_waitcnt lgkmcnt(0)
	s_add_u32 s0, s10, s0
	s_addc_u32 s1, s11, s1
	v_add_co_u32_e32 v2, vcc, s0, v6
	s_movk_i32 s0, 0x195
	v_mov_b32_e32 v3, s1
	v_mul_u32_u24_sdwa v4, v0, s0 dst_sel:DWORD dst_unused:UNUSED_PAD src0_sel:WORD_0 src1_sel:DWORD
	v_addc_co_u32_e32 v3, vcc, 0, v3, vcc
	v_lshrrev_b32_e32 v9, 17, v4
	v_mov_b32_e32 v4, s25
	v_add_co_u32_e32 v5, vcc, s24, v9
	v_addc_co_u32_e32 v10, vcc, 0, v4, vcc
	v_subrev_co_u32_e32 v4, vcc, s18, v5
	v_subbrev_co_u32_e32 v5, vcc, 0, v10, vcc
	v_lshlrev_b64 v[4:5], 2, v[4:5]
	v_mov_b32_e32 v10, s9
	v_add_co_u32_e32 v4, vcc, s8, v4
	v_mov_b32_e32 v7, 0
	v_addc_co_u32_e32 v5, vcc, v10, v5, vcc
	s_branch .LBB65_10
.LBB65_9:                               ;   in Loop: Header=BB65_10 Depth=1
	s_or_b64 exec, exec, s[0:1]
	s_add_u32 s22, s22, 1
	v_mov_b32_e32 v11, s5
	s_addc_u32 s23, s23, 0
	v_mov_b32_e32 v10, s4
	v_cmp_lt_i64_e32 vcc, s[22:23], v[10:11]
	v_add_co_u32_e64 v4, s[0:1], 4, v4
	v_addc_co_u32_e64 v5, s[0:1], 0, v5, s[0:1]
	s_cbranch_vccz .LBB65_12
.LBB65_10:                              ; =>This Inner Loop Header: Depth=1
	v_mov_b32_e32 v11, s23
	v_add_co_u32_e32 v10, vcc, s22, v9
	v_addc_co_u32_e32 v11, vcc, 0, v11, vcc
	v_cmp_gt_i64_e32 vcc, s[4:5], v[10:11]
	s_and_saveexec_b64 s[0:1], vcc
	s_cbranch_execz .LBB65_9
; %bb.11:                               ;   in Loop: Header=BB65_10 Depth=1
	global_load_dword v10, v[4:5], off
	v_mov_b32_e32 v13, s3
	global_load_dword v12, v[2:3], off
	s_waitcnt vmcnt(1)
	v_subrev_u32_e32 v10, s18, v10
	v_mad_u64_u32 v[10:11], s[8:9], v10, 18, v[1:2]
	v_ashrrev_i32_e32 v11, 31, v10
	v_lshlrev_b64 v[10:11], 2, v[10:11]
	v_add_co_u32_e32 v10, vcc, s2, v10
	v_addc_co_u32_e32 v11, vcc, v13, v11, vcc
	global_load_dword v10, v[10:11], off
	v_add_co_u32_e32 v2, vcc, 0x510, v2
	v_addc_co_u32_e32 v3, vcc, 0, v3, vcc
	s_waitcnt vmcnt(0)
	v_fmac_f32_e32 v7, v12, v10
	s_branch .LBB65_9
.LBB65_12:
	s_and_b64 vcc, exec, s[20:21]
	ds_write_b32 v6, v7
	s_waitcnt lgkmcnt(0)
	s_barrier
	s_cbranch_vccz .LBB65_24
; %bb.13:
	v_cmp_gt_u16_e32 vcc, 2, v8
	s_and_saveexec_b64 s[0:1], vcc
	s_cbranch_execz .LBB65_15
; %bb.14:
	ds_read2_b32 v[1:2], v6 offset1:16
	s_waitcnt lgkmcnt(0)
	v_add_f32_e32 v1, v2, v1
	ds_write_b32 v6, v1
.LBB65_15:
	s_or_b64 exec, exec, s[0:1]
	v_cmp_gt_u16_e64 s[0:1], 8, v8
	s_waitcnt lgkmcnt(0)
	s_barrier
	s_and_saveexec_b64 s[2:3], s[0:1]
	s_cbranch_execz .LBB65_17
; %bb.16:
	ds_read2_b32 v[1:2], v6 offset1:8
	s_waitcnt lgkmcnt(0)
	v_add_f32_e32 v1, v2, v1
	ds_write_b32 v6, v1
.LBB65_17:
	s_or_b64 exec, exec, s[2:3]
	v_cmp_gt_u16_e64 s[0:1], 4, v8
	s_waitcnt lgkmcnt(0)
	s_barrier
	s_and_saveexec_b64 s[2:3], s[0:1]
	s_cbranch_execz .LBB65_19
; %bb.18:
	ds_read2_b32 v[1:2], v6 offset1:4
	s_waitcnt lgkmcnt(0)
	v_add_f32_e32 v1, v2, v1
	ds_write_b32 v6, v1
.LBB65_19:
	s_or_b64 exec, exec, s[2:3]
	s_waitcnt lgkmcnt(0)
	s_barrier
	s_and_saveexec_b64 s[0:1], vcc
	s_cbranch_execz .LBB65_21
; %bb.20:
	ds_read2_b32 v[1:2], v6 offset1:2
	s_waitcnt lgkmcnt(0)
	v_add_f32_e32 v1, v2, v1
	ds_write_b32 v6, v1
.LBB65_21:
	s_or_b64 exec, exec, s[0:1]
	v_cmp_gt_u32_e32 vcc, 18, v0
	v_mov_b32_e32 v1, v7
	s_waitcnt lgkmcnt(0)
	s_barrier
	s_and_saveexec_b64 s[0:1], vcc
	s_cbranch_execz .LBB65_23
; %bb.22:
	s_movk_i32 s2, 0x44
	v_mad_u32_u24 v1, v0, s2, v6
	ds_read_b64 v[1:2], v1
	s_waitcnt lgkmcnt(0)
	v_add_f32_e32 v1, v1, v2
.LBB65_23:
	s_or_b64 exec, exec, s[0:1]
	s_branch .LBB65_36
.LBB65_24:
                                        ; implicit-def: $vgpr1
	s_cbranch_execz .LBB65_36
; %bb.25:
	v_cmp_gt_u32_e32 vcc, 36, v0
	s_and_saveexec_b64 s[0:1], vcc
	s_cbranch_execz .LBB65_27
; %bb.26:
	ds_read_b32 v1, v6 offset:1152
	ds_read_b32 v2, v6
	s_waitcnt lgkmcnt(0)
	v_add_f32_e32 v1, v1, v2
	ds_write_b32 v6, v1
.LBB65_27:
	s_or_b64 exec, exec, s[0:1]
	s_movk_i32 s0, 0x90
	v_cmp_gt_u32_e64 s[0:1], s0, v0
	s_waitcnt lgkmcnt(0)
	s_barrier
	s_and_saveexec_b64 s[2:3], s[0:1]
	s_cbranch_execz .LBB65_29
; %bb.28:
	ds_read2_b32 v[1:2], v6 offset1:144
	s_waitcnt lgkmcnt(0)
	v_add_f32_e32 v1, v2, v1
	ds_write_b32 v6, v1
.LBB65_29:
	s_or_b64 exec, exec, s[2:3]
	s_movk_i32 s0, 0x48
	v_cmp_gt_u32_e64 s[0:1], s0, v0
	s_waitcnt lgkmcnt(0)
	s_barrier
	s_and_saveexec_b64 s[2:3], s[0:1]
	s_cbranch_execz .LBB65_31
; %bb.30:
	ds_read2_b32 v[1:2], v6 offset1:72
	s_waitcnt lgkmcnt(0)
	v_add_f32_e32 v1, v2, v1
	ds_write_b32 v6, v1
.LBB65_31:
	s_or_b64 exec, exec, s[2:3]
	s_waitcnt lgkmcnt(0)
	s_barrier
	s_and_saveexec_b64 s[0:1], vcc
	s_cbranch_execz .LBB65_33
; %bb.32:
	ds_read2_b32 v[1:2], v6 offset1:36
	s_waitcnt lgkmcnt(0)
	v_add_f32_e32 v1, v2, v1
	ds_write_b32 v6, v1
.LBB65_33:
	s_or_b64 exec, exec, s[0:1]
	v_cmp_gt_u32_e32 vcc, 18, v0
	s_waitcnt lgkmcnt(0)
	s_and_saveexec_b64 s[0:1], vcc
	s_cbranch_execz .LBB65_35
; %bb.34:
	ds_read2_b32 v[1:2], v6 offset1:18
	s_waitcnt lgkmcnt(0)
	v_add_f32_e32 v7, v1, v2
.LBB65_35:
	s_or_b64 exec, exec, s[0:1]
	v_mov_b32_e32 v1, v7
.LBB65_36:
	v_cmp_gt_u32_e32 vcc, 18, v0
	s_and_saveexec_b64 s[0:1], vcc
	s_cbranch_execz .LBB65_40
; %bb.37:
	v_cmp_eq_f32_e64 s[0:1], s12, 0
	s_and_b64 vcc, exec, s[0:1]
	v_mul_f32_e32 v1, s14, v1
	s_cbranch_vccz .LBB65_41
; %bb.38:
	v_mad_u64_u32 v[2:3], s[0:1], s6, 18, v[0:1]
	v_mov_b32_e32 v3, 0
	v_mov_b32_e32 v4, s17
	v_lshlrev_b64 v[2:3], 2, v[2:3]
	v_add_co_u32_e32 v2, vcc, s16, v2
	v_addc_co_u32_e32 v3, vcc, v4, v3, vcc
	global_store_dword v[2:3], v1, off
	s_cbranch_execnz .LBB65_40
.LBB65_39:
	v_mad_u64_u32 v[2:3], s[0:1], s6, 18, v[0:1]
	v_mov_b32_e32 v3, 0
	v_mov_b32_e32 v0, s17
	v_lshlrev_b64 v[2:3], 2, v[2:3]
	v_add_co_u32_e32 v2, vcc, s16, v2
	v_addc_co_u32_e32 v3, vcc, v0, v3, vcc
	global_load_dword v0, v[2:3], off
	s_waitcnt vmcnt(0)
	v_fmac_f32_e32 v1, s12, v0
	global_store_dword v[2:3], v1, off
.LBB65_40:
	s_endpgm
.LBB65_41:
	s_branch .LBB65_39
	.section	.rodata,"a",@progbits
	.p2align	6, 0x0
	.amdhsa_kernel _ZN9rocsparseL20bsrxmvn_17_32_kernelILj18EflifffEEvT2_20rocsparse_direction_NS_24const_host_device_scalarIT0_EES1_PKS1_PKT1_SA_S7_PKT3_PKT4_S5_PT5_21rocsparse_index_base_b
		.amdhsa_group_segment_fixed_size 1296
		.amdhsa_private_segment_fixed_size 0
		.amdhsa_kernarg_size 96
		.amdhsa_user_sgpr_count 6
		.amdhsa_user_sgpr_private_segment_buffer 1
		.amdhsa_user_sgpr_dispatch_ptr 0
		.amdhsa_user_sgpr_queue_ptr 0
		.amdhsa_user_sgpr_kernarg_segment_ptr 1
		.amdhsa_user_sgpr_dispatch_id 0
		.amdhsa_user_sgpr_flat_scratch_init 0
		.amdhsa_user_sgpr_private_segment_size 0
		.amdhsa_uses_dynamic_stack 0
		.amdhsa_system_sgpr_private_segment_wavefront_offset 0
		.amdhsa_system_sgpr_workgroup_id_x 1
		.amdhsa_system_sgpr_workgroup_id_y 0
		.amdhsa_system_sgpr_workgroup_id_z 0
		.amdhsa_system_sgpr_workgroup_info 0
		.amdhsa_system_vgpr_workitem_id 0
		.amdhsa_next_free_vgpr 14
		.amdhsa_next_free_sgpr 26
		.amdhsa_reserve_vcc 1
		.amdhsa_reserve_flat_scratch 0
		.amdhsa_float_round_mode_32 0
		.amdhsa_float_round_mode_16_64 0
		.amdhsa_float_denorm_mode_32 3
		.amdhsa_float_denorm_mode_16_64 3
		.amdhsa_dx10_clamp 1
		.amdhsa_ieee_mode 1
		.amdhsa_fp16_overflow 0
		.amdhsa_exception_fp_ieee_invalid_op 0
		.amdhsa_exception_fp_denorm_src 0
		.amdhsa_exception_fp_ieee_div_zero 0
		.amdhsa_exception_fp_ieee_overflow 0
		.amdhsa_exception_fp_ieee_underflow 0
		.amdhsa_exception_fp_ieee_inexact 0
		.amdhsa_exception_int_div_zero 0
	.end_amdhsa_kernel
	.section	.text._ZN9rocsparseL20bsrxmvn_17_32_kernelILj18EflifffEEvT2_20rocsparse_direction_NS_24const_host_device_scalarIT0_EES1_PKS1_PKT1_SA_S7_PKT3_PKT4_S5_PT5_21rocsparse_index_base_b,"axG",@progbits,_ZN9rocsparseL20bsrxmvn_17_32_kernelILj18EflifffEEvT2_20rocsparse_direction_NS_24const_host_device_scalarIT0_EES1_PKS1_PKT1_SA_S7_PKT3_PKT4_S5_PT5_21rocsparse_index_base_b,comdat
.Lfunc_end65:
	.size	_ZN9rocsparseL20bsrxmvn_17_32_kernelILj18EflifffEEvT2_20rocsparse_direction_NS_24const_host_device_scalarIT0_EES1_PKS1_PKT1_SA_S7_PKT3_PKT4_S5_PT5_21rocsparse_index_base_b, .Lfunc_end65-_ZN9rocsparseL20bsrxmvn_17_32_kernelILj18EflifffEEvT2_20rocsparse_direction_NS_24const_host_device_scalarIT0_EES1_PKS1_PKT1_SA_S7_PKT3_PKT4_S5_PT5_21rocsparse_index_base_b
                                        ; -- End function
	.set _ZN9rocsparseL20bsrxmvn_17_32_kernelILj18EflifffEEvT2_20rocsparse_direction_NS_24const_host_device_scalarIT0_EES1_PKS1_PKT1_SA_S7_PKT3_PKT4_S5_PT5_21rocsparse_index_base_b.num_vgpr, 14
	.set _ZN9rocsparseL20bsrxmvn_17_32_kernelILj18EflifffEEvT2_20rocsparse_direction_NS_24const_host_device_scalarIT0_EES1_PKS1_PKT1_SA_S7_PKT3_PKT4_S5_PT5_21rocsparse_index_base_b.num_agpr, 0
	.set _ZN9rocsparseL20bsrxmvn_17_32_kernelILj18EflifffEEvT2_20rocsparse_direction_NS_24const_host_device_scalarIT0_EES1_PKS1_PKT1_SA_S7_PKT3_PKT4_S5_PT5_21rocsparse_index_base_b.numbered_sgpr, 26
	.set _ZN9rocsparseL20bsrxmvn_17_32_kernelILj18EflifffEEvT2_20rocsparse_direction_NS_24const_host_device_scalarIT0_EES1_PKS1_PKT1_SA_S7_PKT3_PKT4_S5_PT5_21rocsparse_index_base_b.num_named_barrier, 0
	.set _ZN9rocsparseL20bsrxmvn_17_32_kernelILj18EflifffEEvT2_20rocsparse_direction_NS_24const_host_device_scalarIT0_EES1_PKS1_PKT1_SA_S7_PKT3_PKT4_S5_PT5_21rocsparse_index_base_b.private_seg_size, 0
	.set _ZN9rocsparseL20bsrxmvn_17_32_kernelILj18EflifffEEvT2_20rocsparse_direction_NS_24const_host_device_scalarIT0_EES1_PKS1_PKT1_SA_S7_PKT3_PKT4_S5_PT5_21rocsparse_index_base_b.uses_vcc, 1
	.set _ZN9rocsparseL20bsrxmvn_17_32_kernelILj18EflifffEEvT2_20rocsparse_direction_NS_24const_host_device_scalarIT0_EES1_PKS1_PKT1_SA_S7_PKT3_PKT4_S5_PT5_21rocsparse_index_base_b.uses_flat_scratch, 0
	.set _ZN9rocsparseL20bsrxmvn_17_32_kernelILj18EflifffEEvT2_20rocsparse_direction_NS_24const_host_device_scalarIT0_EES1_PKS1_PKT1_SA_S7_PKT3_PKT4_S5_PT5_21rocsparse_index_base_b.has_dyn_sized_stack, 0
	.set _ZN9rocsparseL20bsrxmvn_17_32_kernelILj18EflifffEEvT2_20rocsparse_direction_NS_24const_host_device_scalarIT0_EES1_PKS1_PKT1_SA_S7_PKT3_PKT4_S5_PT5_21rocsparse_index_base_b.has_recursion, 0
	.set _ZN9rocsparseL20bsrxmvn_17_32_kernelILj18EflifffEEvT2_20rocsparse_direction_NS_24const_host_device_scalarIT0_EES1_PKS1_PKT1_SA_S7_PKT3_PKT4_S5_PT5_21rocsparse_index_base_b.has_indirect_call, 0
	.section	.AMDGPU.csdata,"",@progbits
; Kernel info:
; codeLenInByte = 1320
; TotalNumSgprs: 30
; NumVgprs: 14
; ScratchSize: 0
; MemoryBound: 0
; FloatMode: 240
; IeeeMode: 1
; LDSByteSize: 1296 bytes/workgroup (compile time only)
; SGPRBlocks: 3
; VGPRBlocks: 3
; NumSGPRsForWavesPerEU: 30
; NumVGPRsForWavesPerEU: 14
; Occupancy: 10
; WaveLimiterHint : 1
; COMPUTE_PGM_RSRC2:SCRATCH_EN: 0
; COMPUTE_PGM_RSRC2:USER_SGPR: 6
; COMPUTE_PGM_RSRC2:TRAP_HANDLER: 0
; COMPUTE_PGM_RSRC2:TGID_X_EN: 1
; COMPUTE_PGM_RSRC2:TGID_Y_EN: 0
; COMPUTE_PGM_RSRC2:TGID_Z_EN: 0
; COMPUTE_PGM_RSRC2:TIDIG_COMP_CNT: 0
	.section	.text._ZN9rocsparseL20bsrxmvn_17_32_kernelILj19EflifffEEvT2_20rocsparse_direction_NS_24const_host_device_scalarIT0_EES1_PKS1_PKT1_SA_S7_PKT3_PKT4_S5_PT5_21rocsparse_index_base_b,"axG",@progbits,_ZN9rocsparseL20bsrxmvn_17_32_kernelILj19EflifffEEvT2_20rocsparse_direction_NS_24const_host_device_scalarIT0_EES1_PKS1_PKT1_SA_S7_PKT3_PKT4_S5_PT5_21rocsparse_index_base_b,comdat
	.globl	_ZN9rocsparseL20bsrxmvn_17_32_kernelILj19EflifffEEvT2_20rocsparse_direction_NS_24const_host_device_scalarIT0_EES1_PKS1_PKT1_SA_S7_PKT3_PKT4_S5_PT5_21rocsparse_index_base_b ; -- Begin function _ZN9rocsparseL20bsrxmvn_17_32_kernelILj19EflifffEEvT2_20rocsparse_direction_NS_24const_host_device_scalarIT0_EES1_PKS1_PKT1_SA_S7_PKT3_PKT4_S5_PT5_21rocsparse_index_base_b
	.p2align	8
	.type	_ZN9rocsparseL20bsrxmvn_17_32_kernelILj19EflifffEEvT2_20rocsparse_direction_NS_24const_host_device_scalarIT0_EES1_PKS1_PKT1_SA_S7_PKT3_PKT4_S5_PT5_21rocsparse_index_base_b,@function
_ZN9rocsparseL20bsrxmvn_17_32_kernelILj19EflifffEEvT2_20rocsparse_direction_NS_24const_host_device_scalarIT0_EES1_PKS1_PKT1_SA_S7_PKT3_PKT4_S5_PT5_21rocsparse_index_base_b: ; @_ZN9rocsparseL20bsrxmvn_17_32_kernelILj19EflifffEEvT2_20rocsparse_direction_NS_24const_host_device_scalarIT0_EES1_PKS1_PKT1_SA_S7_PKT3_PKT4_S5_PT5_21rocsparse_index_base_b
; %bb.0:
	s_load_dwordx2 s[18:19], s[4:5], 0x58
	s_load_dwordx2 s[14:15], s[4:5], 0x8
	;; [unrolled: 1-line block ×3, first 2 shown]
	s_waitcnt lgkmcnt(0)
	s_bitcmp1_b32 s19, 0
	s_cselect_b64 s[2:3], -1, 0
	s_xor_b64 s[0:1], s[2:3], -1
	s_and_b64 vcc, exec, s[2:3]
	s_cbranch_vccnz .LBB66_2
; %bb.1:
	s_load_dword s14, s[14:15], 0x0
.LBB66_2:
	s_andn2_b64 vcc, exec, s[0:1]
	s_cbranch_vccnz .LBB66_4
; %bb.3:
	s_load_dword s12, s[12:13], 0x0
.LBB66_4:
	s_waitcnt lgkmcnt(0)
	v_cmp_neq_f32_e64 s[0:1], s14, 0
	v_cmp_neq_f32_e64 s[2:3], s12, 1.0
	s_or_b64 s[0:1], s[0:1], s[2:3]
	s_andn2_b64 vcc, exec, s[0:1]
	s_cbranch_vccnz .LBB66_40
; %bb.5:
	s_load_dwordx4 s[0:3], s[4:5], 0x18
	s_load_dwordx2 s[8:9], s[4:5], 0x28
	s_waitcnt lgkmcnt(0)
	s_cmp_eq_u64 s[0:1], 0
	s_cbranch_scc1 .LBB66_7
; %bb.6:
	s_ashr_i32 s7, s6, 31
	s_lshl_b64 s[6:7], s[6:7], 2
	s_add_u32 s0, s0, s6
	s_addc_u32 s1, s1, s7
	s_load_dword s0, s[0:1], 0x0
	s_waitcnt lgkmcnt(0)
	s_sub_i32 s6, s0, s18
.LBB66_7:
	s_load_dword s7, s[4:5], 0x4
	s_load_dwordx2 s[16:17], s[4:5], 0x50
	v_mul_u32_u24_e32 v1, 0xd7a, v0
	v_mov_b32_e32 v2, 19
	v_mul_lo_u16_sdwa v3, v1, v2 dst_sel:DWORD dst_unused:UNUSED_PAD src0_sel:WORD_1 src1_sel:DWORD
	s_waitcnt lgkmcnt(0)
	s_cmp_eq_u32 s7, 1
	s_cselect_b64 s[0:1], -1, 0
	s_cmp_lg_u32 s7, 1
	s_cselect_b64 s[20:21], -1, 0
	s_ashr_i32 s7, s6, 31
	s_lshl_b64 s[10:11], s[6:7], 3
	s_add_u32 s2, s2, s10
	s_addc_u32 s3, s3, s11
	s_add_u32 s7, s2, 8
	s_addc_u32 s13, s3, 0
	;; [unrolled: 2-line block ×3, first 2 shown]
	s_cmp_eq_u64 s[8:9], 0
	s_cselect_b32 s9, s13, s11
	s_cselect_b32 s8, s7, s10
	s_load_dwordx2 s[22:23], s[8:9], 0x0
	s_load_dwordx2 s[24:25], s[2:3], 0x0
	v_sub_u16_e32 v8, v0, v3
	v_mov_b32_e32 v7, 0
	v_lshlrev_b32_e32 v6, 2, v0
	s_waitcnt lgkmcnt(0)
	v_mov_b32_e32 v3, s22
	v_mov_b32_e32 v4, s23
	v_cmp_ge_i64_e32 vcc, s[24:25], v[3:4]
	s_cbranch_vccnz .LBB66_12
; %bb.8:
	v_mov_b32_e32 v3, 14
	s_load_dwordx4 s[8:11], s[4:5], 0x30
	s_load_dwordx2 s[2:3], s[4:5], 0x40
	s_sub_u32 s4, s22, s18
	v_mul_lo_u16_sdwa v3, v1, v3 dst_sel:DWORD dst_unused:UNUSED_PAD src0_sel:WORD_1 src1_sel:DWORD
	s_subb_u32 s5, s23, 0
	v_mul_lo_u16_sdwa v2, v3, v2 dst_sel:DWORD dst_unused:UNUSED_PAD src0_sel:BYTE_1 src1_sel:DWORD
	v_sub_u16_sdwa v1, v1, v2 dst_sel:DWORD dst_unused:UNUSED_PAD src0_sel:WORD_1 src1_sel:DWORD
	s_sub_u32 s22, s24, s18
	v_and_b32_e32 v1, 0xff, v1
	s_subb_u32 s23, s25, 0
	v_cndmask_b32_e64 v1, v8, v1, s[0:1]
	s_mul_i32 s0, s23, 0x5a4
	s_mul_hi_u32 s1, s22, 0x5a4
	s_add_i32 s1, s1, s0
	s_mul_i32 s0, s22, 0x5a4
	s_waitcnt lgkmcnt(0)
	s_add_u32 s0, s10, s0
	s_addc_u32 s1, s11, s1
	v_add_co_u32_e32 v2, vcc, s0, v6
	s_movk_i32 s0, 0xb6
	v_mov_b32_e32 v3, s1
	v_mul_u32_u24_sdwa v4, v0, s0 dst_sel:DWORD dst_unused:UNUSED_PAD src0_sel:WORD_0 src1_sel:DWORD
	v_addc_co_u32_e32 v3, vcc, 0, v3, vcc
	v_lshrrev_b32_e32 v9, 16, v4
	v_mov_b32_e32 v4, s25
	v_add_co_u32_e32 v5, vcc, s24, v9
	v_addc_co_u32_e32 v10, vcc, 0, v4, vcc
	v_subrev_co_u32_e32 v4, vcc, s18, v5
	v_subbrev_co_u32_e32 v5, vcc, 0, v10, vcc
	v_lshlrev_b64 v[4:5], 2, v[4:5]
	v_mov_b32_e32 v10, s9
	v_add_co_u32_e32 v4, vcc, s8, v4
	v_mov_b32_e32 v7, 0
	v_addc_co_u32_e32 v5, vcc, v10, v5, vcc
	s_branch .LBB66_10
.LBB66_9:                               ;   in Loop: Header=BB66_10 Depth=1
	s_or_b64 exec, exec, s[0:1]
	s_add_u32 s22, s22, 1
	v_mov_b32_e32 v11, s5
	s_addc_u32 s23, s23, 0
	v_mov_b32_e32 v10, s4
	v_cmp_lt_i64_e32 vcc, s[22:23], v[10:11]
	v_add_co_u32_e64 v4, s[0:1], 4, v4
	v_addc_co_u32_e64 v5, s[0:1], 0, v5, s[0:1]
	s_cbranch_vccz .LBB66_12
.LBB66_10:                              ; =>This Inner Loop Header: Depth=1
	v_mov_b32_e32 v11, s23
	v_add_co_u32_e32 v10, vcc, s22, v9
	v_addc_co_u32_e32 v11, vcc, 0, v11, vcc
	v_cmp_gt_i64_e32 vcc, s[4:5], v[10:11]
	s_and_saveexec_b64 s[0:1], vcc
	s_cbranch_execz .LBB66_9
; %bb.11:                               ;   in Loop: Header=BB66_10 Depth=1
	global_load_dword v10, v[4:5], off
	v_mov_b32_e32 v13, s3
	global_load_dword v12, v[2:3], off
	s_waitcnt vmcnt(1)
	v_subrev_u32_e32 v10, s18, v10
	v_mad_u64_u32 v[10:11], s[8:9], v10, 19, v[1:2]
	v_ashrrev_i32_e32 v11, 31, v10
	v_lshlrev_b64 v[10:11], 2, v[10:11]
	v_add_co_u32_e32 v10, vcc, s2, v10
	v_addc_co_u32_e32 v11, vcc, v13, v11, vcc
	global_load_dword v10, v[10:11], off
	v_add_co_u32_e32 v2, vcc, 0x5a4, v2
	v_addc_co_u32_e32 v3, vcc, 0, v3, vcc
	s_waitcnt vmcnt(0)
	v_fmac_f32_e32 v7, v12, v10
	s_branch .LBB66_9
.LBB66_12:
	s_and_b64 vcc, exec, s[20:21]
	ds_write_b32 v6, v7
	s_waitcnt lgkmcnt(0)
	s_barrier
	s_cbranch_vccz .LBB66_24
; %bb.13:
	v_cmp_gt_u16_e32 vcc, 3, v8
	s_and_saveexec_b64 s[0:1], vcc
	s_cbranch_execz .LBB66_15
; %bb.14:
	ds_read2_b32 v[1:2], v6 offset1:16
	s_waitcnt lgkmcnt(0)
	v_add_f32_e32 v1, v2, v1
	ds_write_b32 v6, v1
.LBB66_15:
	s_or_b64 exec, exec, s[0:1]
	v_cmp_gt_u16_e32 vcc, 8, v8
	s_waitcnt lgkmcnt(0)
	s_barrier
	s_and_saveexec_b64 s[0:1], vcc
	s_cbranch_execz .LBB66_17
; %bb.16:
	ds_read2_b32 v[1:2], v6 offset1:8
	s_waitcnt lgkmcnt(0)
	v_add_f32_e32 v1, v2, v1
	ds_write_b32 v6, v1
.LBB66_17:
	s_or_b64 exec, exec, s[0:1]
	v_cmp_gt_u16_e32 vcc, 4, v8
	s_waitcnt lgkmcnt(0)
	s_barrier
	;; [unrolled: 12-line block ×3, first 2 shown]
	s_and_saveexec_b64 s[0:1], vcc
	s_cbranch_execz .LBB66_21
; %bb.20:
	ds_read2_b32 v[1:2], v6 offset1:2
	s_waitcnt lgkmcnt(0)
	v_add_f32_e32 v1, v2, v1
	ds_write_b32 v6, v1
.LBB66_21:
	s_or_b64 exec, exec, s[0:1]
	v_cmp_gt_u32_e32 vcc, 19, v0
	v_mov_b32_e32 v1, v7
	s_waitcnt lgkmcnt(0)
	s_barrier
	s_and_saveexec_b64 s[0:1], vcc
	s_cbranch_execz .LBB66_23
; %bb.22:
	s_movk_i32 s2, 0x48
	v_mad_u32_u24 v1, v0, s2, v6
	ds_read2_b32 v[1:2], v1 offset1:1
	s_waitcnt lgkmcnt(0)
	v_add_f32_e32 v1, v1, v2
.LBB66_23:
	s_or_b64 exec, exec, s[0:1]
	s_branch .LBB66_36
.LBB66_24:
                                        ; implicit-def: $vgpr1
	s_cbranch_execz .LBB66_36
; %bb.25:
	v_cmp_gt_u32_e32 vcc, 57, v0
	s_and_saveexec_b64 s[0:1], vcc
	s_cbranch_execz .LBB66_27
; %bb.26:
	ds_read_b32 v1, v6 offset:1216
	ds_read_b32 v2, v6
	s_waitcnt lgkmcnt(0)
	v_add_f32_e32 v1, v1, v2
	ds_write_b32 v6, v1
.LBB66_27:
	s_or_b64 exec, exec, s[0:1]
	s_movk_i32 s0, 0x98
	v_cmp_gt_u32_e32 vcc, s0, v0
	s_waitcnt lgkmcnt(0)
	s_barrier
	s_and_saveexec_b64 s[0:1], vcc
	s_cbranch_execz .LBB66_29
; %bb.28:
	ds_read2_b32 v[1:2], v6 offset1:152
	s_waitcnt lgkmcnt(0)
	v_add_f32_e32 v1, v2, v1
	ds_write_b32 v6, v1
.LBB66_29:
	s_or_b64 exec, exec, s[0:1]
	s_movk_i32 s0, 0x4c
	v_cmp_gt_u32_e32 vcc, s0, v0
	s_waitcnt lgkmcnt(0)
	s_barrier
	s_and_saveexec_b64 s[0:1], vcc
	s_cbranch_execz .LBB66_31
; %bb.30:
	ds_read2_b32 v[1:2], v6 offset1:76
	s_waitcnt lgkmcnt(0)
	v_add_f32_e32 v1, v2, v1
	ds_write_b32 v6, v1
.LBB66_31:
	s_or_b64 exec, exec, s[0:1]
	v_cmp_gt_u32_e32 vcc, 38, v0
	s_waitcnt lgkmcnt(0)
	s_barrier
	s_and_saveexec_b64 s[0:1], vcc
	s_cbranch_execz .LBB66_33
; %bb.32:
	ds_read2_b32 v[1:2], v6 offset1:38
	s_waitcnt lgkmcnt(0)
	v_add_f32_e32 v1, v2, v1
	ds_write_b32 v6, v1
.LBB66_33:
	s_or_b64 exec, exec, s[0:1]
	v_cmp_gt_u32_e32 vcc, 19, v0
	s_waitcnt lgkmcnt(0)
	s_and_saveexec_b64 s[0:1], vcc
	s_cbranch_execz .LBB66_35
; %bb.34:
	ds_read2_b32 v[1:2], v6 offset1:19
	s_waitcnt lgkmcnt(0)
	v_add_f32_e32 v7, v1, v2
.LBB66_35:
	s_or_b64 exec, exec, s[0:1]
	v_mov_b32_e32 v1, v7
.LBB66_36:
	v_cmp_gt_u32_e32 vcc, 19, v0
	s_and_saveexec_b64 s[0:1], vcc
	s_cbranch_execz .LBB66_40
; %bb.37:
	v_cmp_eq_f32_e64 s[0:1], s12, 0
	s_and_b64 vcc, exec, s[0:1]
	v_mul_f32_e32 v1, s14, v1
	s_cbranch_vccz .LBB66_41
; %bb.38:
	v_mad_u64_u32 v[2:3], s[0:1], s6, 19, v[0:1]
	v_mov_b32_e32 v3, 0
	v_mov_b32_e32 v4, s17
	v_lshlrev_b64 v[2:3], 2, v[2:3]
	v_add_co_u32_e32 v2, vcc, s16, v2
	v_addc_co_u32_e32 v3, vcc, v4, v3, vcc
	global_store_dword v[2:3], v1, off
	s_cbranch_execnz .LBB66_40
.LBB66_39:
	v_mad_u64_u32 v[2:3], s[0:1], s6, 19, v[0:1]
	v_mov_b32_e32 v3, 0
	v_mov_b32_e32 v0, s17
	v_lshlrev_b64 v[2:3], 2, v[2:3]
	v_add_co_u32_e32 v2, vcc, s16, v2
	v_addc_co_u32_e32 v3, vcc, v0, v3, vcc
	global_load_dword v0, v[2:3], off
	s_waitcnt vmcnt(0)
	v_fmac_f32_e32 v1, s12, v0
	global_store_dword v[2:3], v1, off
.LBB66_40:
	s_endpgm
.LBB66_41:
	s_branch .LBB66_39
	.section	.rodata,"a",@progbits
	.p2align	6, 0x0
	.amdhsa_kernel _ZN9rocsparseL20bsrxmvn_17_32_kernelILj19EflifffEEvT2_20rocsparse_direction_NS_24const_host_device_scalarIT0_EES1_PKS1_PKT1_SA_S7_PKT3_PKT4_S5_PT5_21rocsparse_index_base_b
		.amdhsa_group_segment_fixed_size 1444
		.amdhsa_private_segment_fixed_size 0
		.amdhsa_kernarg_size 96
		.amdhsa_user_sgpr_count 6
		.amdhsa_user_sgpr_private_segment_buffer 1
		.amdhsa_user_sgpr_dispatch_ptr 0
		.amdhsa_user_sgpr_queue_ptr 0
		.amdhsa_user_sgpr_kernarg_segment_ptr 1
		.amdhsa_user_sgpr_dispatch_id 0
		.amdhsa_user_sgpr_flat_scratch_init 0
		.amdhsa_user_sgpr_private_segment_size 0
		.amdhsa_uses_dynamic_stack 0
		.amdhsa_system_sgpr_private_segment_wavefront_offset 0
		.amdhsa_system_sgpr_workgroup_id_x 1
		.amdhsa_system_sgpr_workgroup_id_y 0
		.amdhsa_system_sgpr_workgroup_id_z 0
		.amdhsa_system_sgpr_workgroup_info 0
		.amdhsa_system_vgpr_workitem_id 0
		.amdhsa_next_free_vgpr 14
		.amdhsa_next_free_sgpr 26
		.amdhsa_reserve_vcc 1
		.amdhsa_reserve_flat_scratch 0
		.amdhsa_float_round_mode_32 0
		.amdhsa_float_round_mode_16_64 0
		.amdhsa_float_denorm_mode_32 3
		.amdhsa_float_denorm_mode_16_64 3
		.amdhsa_dx10_clamp 1
		.amdhsa_ieee_mode 1
		.amdhsa_fp16_overflow 0
		.amdhsa_exception_fp_ieee_invalid_op 0
		.amdhsa_exception_fp_denorm_src 0
		.amdhsa_exception_fp_ieee_div_zero 0
		.amdhsa_exception_fp_ieee_overflow 0
		.amdhsa_exception_fp_ieee_underflow 0
		.amdhsa_exception_fp_ieee_inexact 0
		.amdhsa_exception_int_div_zero 0
	.end_amdhsa_kernel
	.section	.text._ZN9rocsparseL20bsrxmvn_17_32_kernelILj19EflifffEEvT2_20rocsparse_direction_NS_24const_host_device_scalarIT0_EES1_PKS1_PKT1_SA_S7_PKT3_PKT4_S5_PT5_21rocsparse_index_base_b,"axG",@progbits,_ZN9rocsparseL20bsrxmvn_17_32_kernelILj19EflifffEEvT2_20rocsparse_direction_NS_24const_host_device_scalarIT0_EES1_PKS1_PKT1_SA_S7_PKT3_PKT4_S5_PT5_21rocsparse_index_base_b,comdat
.Lfunc_end66:
	.size	_ZN9rocsparseL20bsrxmvn_17_32_kernelILj19EflifffEEvT2_20rocsparse_direction_NS_24const_host_device_scalarIT0_EES1_PKS1_PKT1_SA_S7_PKT3_PKT4_S5_PT5_21rocsparse_index_base_b, .Lfunc_end66-_ZN9rocsparseL20bsrxmvn_17_32_kernelILj19EflifffEEvT2_20rocsparse_direction_NS_24const_host_device_scalarIT0_EES1_PKS1_PKT1_SA_S7_PKT3_PKT4_S5_PT5_21rocsparse_index_base_b
                                        ; -- End function
	.set _ZN9rocsparseL20bsrxmvn_17_32_kernelILj19EflifffEEvT2_20rocsparse_direction_NS_24const_host_device_scalarIT0_EES1_PKS1_PKT1_SA_S7_PKT3_PKT4_S5_PT5_21rocsparse_index_base_b.num_vgpr, 14
	.set _ZN9rocsparseL20bsrxmvn_17_32_kernelILj19EflifffEEvT2_20rocsparse_direction_NS_24const_host_device_scalarIT0_EES1_PKS1_PKT1_SA_S7_PKT3_PKT4_S5_PT5_21rocsparse_index_base_b.num_agpr, 0
	.set _ZN9rocsparseL20bsrxmvn_17_32_kernelILj19EflifffEEvT2_20rocsparse_direction_NS_24const_host_device_scalarIT0_EES1_PKS1_PKT1_SA_S7_PKT3_PKT4_S5_PT5_21rocsparse_index_base_b.numbered_sgpr, 26
	.set _ZN9rocsparseL20bsrxmvn_17_32_kernelILj19EflifffEEvT2_20rocsparse_direction_NS_24const_host_device_scalarIT0_EES1_PKS1_PKT1_SA_S7_PKT3_PKT4_S5_PT5_21rocsparse_index_base_b.num_named_barrier, 0
	.set _ZN9rocsparseL20bsrxmvn_17_32_kernelILj19EflifffEEvT2_20rocsparse_direction_NS_24const_host_device_scalarIT0_EES1_PKS1_PKT1_SA_S7_PKT3_PKT4_S5_PT5_21rocsparse_index_base_b.private_seg_size, 0
	.set _ZN9rocsparseL20bsrxmvn_17_32_kernelILj19EflifffEEvT2_20rocsparse_direction_NS_24const_host_device_scalarIT0_EES1_PKS1_PKT1_SA_S7_PKT3_PKT4_S5_PT5_21rocsparse_index_base_b.uses_vcc, 1
	.set _ZN9rocsparseL20bsrxmvn_17_32_kernelILj19EflifffEEvT2_20rocsparse_direction_NS_24const_host_device_scalarIT0_EES1_PKS1_PKT1_SA_S7_PKT3_PKT4_S5_PT5_21rocsparse_index_base_b.uses_flat_scratch, 0
	.set _ZN9rocsparseL20bsrxmvn_17_32_kernelILj19EflifffEEvT2_20rocsparse_direction_NS_24const_host_device_scalarIT0_EES1_PKS1_PKT1_SA_S7_PKT3_PKT4_S5_PT5_21rocsparse_index_base_b.has_dyn_sized_stack, 0
	.set _ZN9rocsparseL20bsrxmvn_17_32_kernelILj19EflifffEEvT2_20rocsparse_direction_NS_24const_host_device_scalarIT0_EES1_PKS1_PKT1_SA_S7_PKT3_PKT4_S5_PT5_21rocsparse_index_base_b.has_recursion, 0
	.set _ZN9rocsparseL20bsrxmvn_17_32_kernelILj19EflifffEEvT2_20rocsparse_direction_NS_24const_host_device_scalarIT0_EES1_PKS1_PKT1_SA_S7_PKT3_PKT4_S5_PT5_21rocsparse_index_base_b.has_indirect_call, 0
	.section	.AMDGPU.csdata,"",@progbits
; Kernel info:
; codeLenInByte = 1312
; TotalNumSgprs: 30
; NumVgprs: 14
; ScratchSize: 0
; MemoryBound: 0
; FloatMode: 240
; IeeeMode: 1
; LDSByteSize: 1444 bytes/workgroup (compile time only)
; SGPRBlocks: 3
; VGPRBlocks: 3
; NumSGPRsForWavesPerEU: 30
; NumVGPRsForWavesPerEU: 14
; Occupancy: 10
; WaveLimiterHint : 1
; COMPUTE_PGM_RSRC2:SCRATCH_EN: 0
; COMPUTE_PGM_RSRC2:USER_SGPR: 6
; COMPUTE_PGM_RSRC2:TRAP_HANDLER: 0
; COMPUTE_PGM_RSRC2:TGID_X_EN: 1
; COMPUTE_PGM_RSRC2:TGID_Y_EN: 0
; COMPUTE_PGM_RSRC2:TGID_Z_EN: 0
; COMPUTE_PGM_RSRC2:TIDIG_COMP_CNT: 0
	.section	.text._ZN9rocsparseL20bsrxmvn_17_32_kernelILj20EflifffEEvT2_20rocsparse_direction_NS_24const_host_device_scalarIT0_EES1_PKS1_PKT1_SA_S7_PKT3_PKT4_S5_PT5_21rocsparse_index_base_b,"axG",@progbits,_ZN9rocsparseL20bsrxmvn_17_32_kernelILj20EflifffEEvT2_20rocsparse_direction_NS_24const_host_device_scalarIT0_EES1_PKS1_PKT1_SA_S7_PKT3_PKT4_S5_PT5_21rocsparse_index_base_b,comdat
	.globl	_ZN9rocsparseL20bsrxmvn_17_32_kernelILj20EflifffEEvT2_20rocsparse_direction_NS_24const_host_device_scalarIT0_EES1_PKS1_PKT1_SA_S7_PKT3_PKT4_S5_PT5_21rocsparse_index_base_b ; -- Begin function _ZN9rocsparseL20bsrxmvn_17_32_kernelILj20EflifffEEvT2_20rocsparse_direction_NS_24const_host_device_scalarIT0_EES1_PKS1_PKT1_SA_S7_PKT3_PKT4_S5_PT5_21rocsparse_index_base_b
	.p2align	8
	.type	_ZN9rocsparseL20bsrxmvn_17_32_kernelILj20EflifffEEvT2_20rocsparse_direction_NS_24const_host_device_scalarIT0_EES1_PKS1_PKT1_SA_S7_PKT3_PKT4_S5_PT5_21rocsparse_index_base_b,@function
_ZN9rocsparseL20bsrxmvn_17_32_kernelILj20EflifffEEvT2_20rocsparse_direction_NS_24const_host_device_scalarIT0_EES1_PKS1_PKT1_SA_S7_PKT3_PKT4_S5_PT5_21rocsparse_index_base_b: ; @_ZN9rocsparseL20bsrxmvn_17_32_kernelILj20EflifffEEvT2_20rocsparse_direction_NS_24const_host_device_scalarIT0_EES1_PKS1_PKT1_SA_S7_PKT3_PKT4_S5_PT5_21rocsparse_index_base_b
; %bb.0:
	s_load_dwordx2 s[18:19], s[4:5], 0x58
	s_load_dwordx2 s[14:15], s[4:5], 0x8
	;; [unrolled: 1-line block ×3, first 2 shown]
	s_waitcnt lgkmcnt(0)
	s_bitcmp1_b32 s19, 0
	s_cselect_b64 s[2:3], -1, 0
	s_xor_b64 s[0:1], s[2:3], -1
	s_and_b64 vcc, exec, s[2:3]
	s_cbranch_vccnz .LBB67_2
; %bb.1:
	s_load_dword s14, s[14:15], 0x0
.LBB67_2:
	s_andn2_b64 vcc, exec, s[0:1]
	s_cbranch_vccnz .LBB67_4
; %bb.3:
	s_load_dword s12, s[12:13], 0x0
.LBB67_4:
	s_waitcnt lgkmcnt(0)
	v_cmp_neq_f32_e64 s[0:1], s14, 0
	v_cmp_neq_f32_e64 s[2:3], s12, 1.0
	s_or_b64 s[0:1], s[0:1], s[2:3]
	s_andn2_b64 vcc, exec, s[0:1]
	s_cbranch_vccnz .LBB67_40
; %bb.5:
	s_load_dwordx4 s[0:3], s[4:5], 0x18
	s_load_dwordx2 s[8:9], s[4:5], 0x28
	s_waitcnt lgkmcnt(0)
	s_cmp_eq_u64 s[0:1], 0
	s_cbranch_scc1 .LBB67_7
; %bb.6:
	s_ashr_i32 s7, s6, 31
	s_lshl_b64 s[6:7], s[6:7], 2
	s_add_u32 s0, s0, s6
	s_addc_u32 s1, s1, s7
	s_load_dword s0, s[0:1], 0x0
	s_waitcnt lgkmcnt(0)
	s_sub_i32 s6, s0, s18
.LBB67_7:
	s_load_dword s7, s[4:5], 0x4
	s_load_dwordx2 s[16:17], s[4:5], 0x50
	v_mul_u32_u24_e32 v1, 0xccd, v0
	v_mov_b32_e32 v2, 20
	v_mul_lo_u16_sdwa v3, v1, v2 dst_sel:DWORD dst_unused:UNUSED_PAD src0_sel:WORD_1 src1_sel:DWORD
	s_waitcnt lgkmcnt(0)
	s_cmp_eq_u32 s7, 1
	s_cselect_b64 s[0:1], -1, 0
	s_cmp_lg_u32 s7, 1
	s_cselect_b64 s[20:21], -1, 0
	s_ashr_i32 s7, s6, 31
	s_lshl_b64 s[10:11], s[6:7], 3
	s_add_u32 s2, s2, s10
	s_addc_u32 s3, s3, s11
	s_add_u32 s7, s2, 8
	s_addc_u32 s13, s3, 0
	;; [unrolled: 2-line block ×3, first 2 shown]
	s_cmp_eq_u64 s[8:9], 0
	s_cselect_b32 s9, s13, s11
	s_cselect_b32 s8, s7, s10
	s_load_dwordx2 s[22:23], s[8:9], 0x0
	s_load_dwordx2 s[24:25], s[2:3], 0x0
	v_sub_u16_e32 v8, v0, v3
	v_mov_b32_e32 v7, 0
	v_lshlrev_b32_e32 v6, 2, v0
	s_waitcnt lgkmcnt(0)
	v_mov_b32_e32 v3, s22
	v_mov_b32_e32 v4, s23
	v_cmp_ge_i64_e32 vcc, s[24:25], v[3:4]
	s_cbranch_vccnz .LBB67_12
; %bb.8:
	v_mov_b32_e32 v3, 13
	s_load_dwordx4 s[8:11], s[4:5], 0x30
	s_load_dwordx2 s[2:3], s[4:5], 0x40
	s_sub_u32 s4, s22, s18
	v_mul_lo_u16_sdwa v3, v1, v3 dst_sel:DWORD dst_unused:UNUSED_PAD src0_sel:WORD_1 src1_sel:DWORD
	s_subb_u32 s5, s23, 0
	v_mul_lo_u16_sdwa v2, v3, v2 dst_sel:DWORD dst_unused:UNUSED_PAD src0_sel:BYTE_1 src1_sel:DWORD
	v_sub_u16_sdwa v1, v1, v2 dst_sel:DWORD dst_unused:UNUSED_PAD src0_sel:WORD_1 src1_sel:DWORD
	s_sub_u32 s22, s24, s18
	v_and_b32_e32 v1, 0xff, v1
	s_subb_u32 s23, s25, 0
	v_cndmask_b32_e64 v1, v8, v1, s[0:1]
	s_mul_i32 s0, s23, 0x640
	s_mul_hi_u32 s1, s22, 0x640
	s_add_i32 s1, s1, s0
	s_mul_i32 s0, s22, 0x640
	s_waitcnt lgkmcnt(0)
	s_add_u32 s0, s10, s0
	s_addc_u32 s1, s11, s1
	v_add_co_u32_e32 v2, vcc, s0, v6
	s_movk_i32 s0, 0xa4
	v_mov_b32_e32 v3, s1
	v_mul_u32_u24_sdwa v4, v0, s0 dst_sel:DWORD dst_unused:UNUSED_PAD src0_sel:WORD_0 src1_sel:DWORD
	v_addc_co_u32_e32 v3, vcc, 0, v3, vcc
	v_lshrrev_b32_e32 v9, 16, v4
	v_mov_b32_e32 v4, s25
	v_add_co_u32_e32 v5, vcc, s24, v9
	v_addc_co_u32_e32 v10, vcc, 0, v4, vcc
	v_subrev_co_u32_e32 v4, vcc, s18, v5
	v_subbrev_co_u32_e32 v5, vcc, 0, v10, vcc
	v_lshlrev_b64 v[4:5], 2, v[4:5]
	v_mov_b32_e32 v10, s9
	v_add_co_u32_e32 v4, vcc, s8, v4
	v_mov_b32_e32 v7, 0
	v_addc_co_u32_e32 v5, vcc, v10, v5, vcc
	s_branch .LBB67_10
.LBB67_9:                               ;   in Loop: Header=BB67_10 Depth=1
	s_or_b64 exec, exec, s[0:1]
	s_add_u32 s22, s22, 1
	v_mov_b32_e32 v11, s5
	s_addc_u32 s23, s23, 0
	v_mov_b32_e32 v10, s4
	v_cmp_lt_i64_e32 vcc, s[22:23], v[10:11]
	v_add_co_u32_e64 v4, s[0:1], 4, v4
	v_addc_co_u32_e64 v5, s[0:1], 0, v5, s[0:1]
	s_cbranch_vccz .LBB67_12
.LBB67_10:                              ; =>This Inner Loop Header: Depth=1
	v_mov_b32_e32 v11, s23
	v_add_co_u32_e32 v10, vcc, s22, v9
	v_addc_co_u32_e32 v11, vcc, 0, v11, vcc
	v_cmp_gt_i64_e32 vcc, s[4:5], v[10:11]
	s_and_saveexec_b64 s[0:1], vcc
	s_cbranch_execz .LBB67_9
; %bb.11:                               ;   in Loop: Header=BB67_10 Depth=1
	global_load_dword v10, v[4:5], off
	v_mov_b32_e32 v13, s3
	global_load_dword v12, v[2:3], off
	s_waitcnt vmcnt(1)
	v_subrev_u32_e32 v10, s18, v10
	v_mad_u64_u32 v[10:11], s[8:9], v10, 20, v[1:2]
	v_ashrrev_i32_e32 v11, 31, v10
	v_lshlrev_b64 v[10:11], 2, v[10:11]
	v_add_co_u32_e32 v10, vcc, s2, v10
	v_addc_co_u32_e32 v11, vcc, v13, v11, vcc
	global_load_dword v10, v[10:11], off
	v_add_co_u32_e32 v2, vcc, 0x640, v2
	v_addc_co_u32_e32 v3, vcc, 0, v3, vcc
	s_waitcnt vmcnt(0)
	v_fmac_f32_e32 v7, v12, v10
	s_branch .LBB67_9
.LBB67_12:
	s_and_b64 vcc, exec, s[20:21]
	ds_write_b32 v6, v7
	s_waitcnt lgkmcnt(0)
	s_barrier
	s_cbranch_vccz .LBB67_24
; %bb.13:
	v_cmp_gt_u16_e32 vcc, 4, v8
	s_and_saveexec_b64 s[0:1], vcc
	s_cbranch_execz .LBB67_15
; %bb.14:
	ds_read2_b32 v[1:2], v6 offset1:16
	s_waitcnt lgkmcnt(0)
	v_add_f32_e32 v1, v2, v1
	ds_write_b32 v6, v1
.LBB67_15:
	s_or_b64 exec, exec, s[0:1]
	v_cmp_gt_u16_e64 s[0:1], 8, v8
	s_waitcnt lgkmcnt(0)
	s_barrier
	s_and_saveexec_b64 s[2:3], s[0:1]
	s_cbranch_execz .LBB67_17
; %bb.16:
	ds_read2_b32 v[1:2], v6 offset1:8
	s_waitcnt lgkmcnt(0)
	v_add_f32_e32 v1, v2, v1
	ds_write_b32 v6, v1
.LBB67_17:
	s_or_b64 exec, exec, s[2:3]
	s_waitcnt lgkmcnt(0)
	s_barrier
	s_and_saveexec_b64 s[0:1], vcc
	s_cbranch_execz .LBB67_19
; %bb.18:
	ds_read2_b32 v[1:2], v6 offset1:4
	s_waitcnt lgkmcnt(0)
	v_add_f32_e32 v1, v2, v1
	ds_write_b32 v6, v1
.LBB67_19:
	s_or_b64 exec, exec, s[0:1]
	v_cmp_gt_u16_e32 vcc, 2, v8
	s_waitcnt lgkmcnt(0)
	s_barrier
	s_and_saveexec_b64 s[0:1], vcc
	s_cbranch_execz .LBB67_21
; %bb.20:
	ds_read2_b32 v[1:2], v6 offset1:2
	s_waitcnt lgkmcnt(0)
	v_add_f32_e32 v1, v2, v1
	ds_write_b32 v6, v1
.LBB67_21:
	s_or_b64 exec, exec, s[0:1]
	v_cmp_gt_u32_e32 vcc, 20, v0
	v_mov_b32_e32 v1, v7
	s_waitcnt lgkmcnt(0)
	s_barrier
	s_and_saveexec_b64 s[0:1], vcc
	s_cbranch_execz .LBB67_23
; %bb.22:
	s_movk_i32 s2, 0x4c
	v_mad_u32_u24 v1, v0, s2, v6
	ds_read_b64 v[1:2], v1
	s_waitcnt lgkmcnt(0)
	v_add_f32_e32 v1, v1, v2
.LBB67_23:
	s_or_b64 exec, exec, s[0:1]
	s_branch .LBB67_36
.LBB67_24:
                                        ; implicit-def: $vgpr1
	s_cbranch_execz .LBB67_36
; %bb.25:
	s_movk_i32 s0, 0x50
	v_cmp_gt_u32_e32 vcc, s0, v0
	s_and_saveexec_b64 s[0:1], vcc
	s_cbranch_execz .LBB67_27
; %bb.26:
	ds_read2st64_b32 v[1:2], v6 offset1:5
	s_waitcnt lgkmcnt(0)
	v_add_f32_e32 v1, v2, v1
	ds_write_b32 v6, v1
.LBB67_27:
	s_or_b64 exec, exec, s[0:1]
	s_movk_i32 s0, 0xa0
	v_cmp_gt_u32_e64 s[0:1], s0, v0
	s_waitcnt lgkmcnt(0)
	s_barrier
	s_and_saveexec_b64 s[2:3], s[0:1]
	s_cbranch_execz .LBB67_29
; %bb.28:
	ds_read2_b32 v[1:2], v6 offset1:160
	s_waitcnt lgkmcnt(0)
	v_add_f32_e32 v1, v2, v1
	ds_write_b32 v6, v1
.LBB67_29:
	s_or_b64 exec, exec, s[2:3]
	s_waitcnt lgkmcnt(0)
	s_barrier
	s_and_saveexec_b64 s[0:1], vcc
	s_cbranch_execz .LBB67_31
; %bb.30:
	ds_read2_b32 v[1:2], v6 offset1:80
	s_waitcnt lgkmcnt(0)
	v_add_f32_e32 v1, v2, v1
	ds_write_b32 v6, v1
.LBB67_31:
	s_or_b64 exec, exec, s[0:1]
	v_cmp_gt_u32_e32 vcc, 40, v0
	s_waitcnt lgkmcnt(0)
	s_barrier
	s_and_saveexec_b64 s[0:1], vcc
	s_cbranch_execz .LBB67_33
; %bb.32:
	ds_read2_b32 v[1:2], v6 offset1:40
	s_waitcnt lgkmcnt(0)
	v_add_f32_e32 v1, v2, v1
	ds_write_b32 v6, v1
.LBB67_33:
	s_or_b64 exec, exec, s[0:1]
	v_cmp_gt_u32_e32 vcc, 20, v0
	s_waitcnt lgkmcnt(0)
	s_and_saveexec_b64 s[0:1], vcc
	s_cbranch_execz .LBB67_35
; %bb.34:
	ds_read2_b32 v[1:2], v6 offset1:20
	s_waitcnt lgkmcnt(0)
	v_add_f32_e32 v7, v1, v2
.LBB67_35:
	s_or_b64 exec, exec, s[0:1]
	v_mov_b32_e32 v1, v7
.LBB67_36:
	v_cmp_gt_u32_e32 vcc, 20, v0
	s_and_saveexec_b64 s[0:1], vcc
	s_cbranch_execz .LBB67_40
; %bb.37:
	v_cmp_eq_f32_e64 s[0:1], s12, 0
	s_and_b64 vcc, exec, s[0:1]
	v_mul_f32_e32 v1, s14, v1
	s_cbranch_vccz .LBB67_41
; %bb.38:
	v_mad_u64_u32 v[2:3], s[0:1], s6, 20, v[0:1]
	v_mov_b32_e32 v3, 0
	v_mov_b32_e32 v4, s17
	v_lshlrev_b64 v[2:3], 2, v[2:3]
	v_add_co_u32_e32 v2, vcc, s16, v2
	v_addc_co_u32_e32 v3, vcc, v4, v3, vcc
	global_store_dword v[2:3], v1, off
	s_cbranch_execnz .LBB67_40
.LBB67_39:
	v_mad_u64_u32 v[2:3], s[0:1], s6, 20, v[0:1]
	v_mov_b32_e32 v3, 0
	v_mov_b32_e32 v0, s17
	v_lshlrev_b64 v[2:3], 2, v[2:3]
	v_add_co_u32_e32 v2, vcc, s16, v2
	v_addc_co_u32_e32 v3, vcc, v0, v3, vcc
	global_load_dword v0, v[2:3], off
	s_waitcnt vmcnt(0)
	v_fmac_f32_e32 v1, s12, v0
	global_store_dword v[2:3], v1, off
.LBB67_40:
	s_endpgm
.LBB67_41:
	s_branch .LBB67_39
	.section	.rodata,"a",@progbits
	.p2align	6, 0x0
	.amdhsa_kernel _ZN9rocsparseL20bsrxmvn_17_32_kernelILj20EflifffEEvT2_20rocsparse_direction_NS_24const_host_device_scalarIT0_EES1_PKS1_PKT1_SA_S7_PKT3_PKT4_S5_PT5_21rocsparse_index_base_b
		.amdhsa_group_segment_fixed_size 1600
		.amdhsa_private_segment_fixed_size 0
		.amdhsa_kernarg_size 96
		.amdhsa_user_sgpr_count 6
		.amdhsa_user_sgpr_private_segment_buffer 1
		.amdhsa_user_sgpr_dispatch_ptr 0
		.amdhsa_user_sgpr_queue_ptr 0
		.amdhsa_user_sgpr_kernarg_segment_ptr 1
		.amdhsa_user_sgpr_dispatch_id 0
		.amdhsa_user_sgpr_flat_scratch_init 0
		.amdhsa_user_sgpr_private_segment_size 0
		.amdhsa_uses_dynamic_stack 0
		.amdhsa_system_sgpr_private_segment_wavefront_offset 0
		.amdhsa_system_sgpr_workgroup_id_x 1
		.amdhsa_system_sgpr_workgroup_id_y 0
		.amdhsa_system_sgpr_workgroup_id_z 0
		.amdhsa_system_sgpr_workgroup_info 0
		.amdhsa_system_vgpr_workitem_id 0
		.amdhsa_next_free_vgpr 14
		.amdhsa_next_free_sgpr 26
		.amdhsa_reserve_vcc 1
		.amdhsa_reserve_flat_scratch 0
		.amdhsa_float_round_mode_32 0
		.amdhsa_float_round_mode_16_64 0
		.amdhsa_float_denorm_mode_32 3
		.amdhsa_float_denorm_mode_16_64 3
		.amdhsa_dx10_clamp 1
		.amdhsa_ieee_mode 1
		.amdhsa_fp16_overflow 0
		.amdhsa_exception_fp_ieee_invalid_op 0
		.amdhsa_exception_fp_denorm_src 0
		.amdhsa_exception_fp_ieee_div_zero 0
		.amdhsa_exception_fp_ieee_overflow 0
		.amdhsa_exception_fp_ieee_underflow 0
		.amdhsa_exception_fp_ieee_inexact 0
		.amdhsa_exception_int_div_zero 0
	.end_amdhsa_kernel
	.section	.text._ZN9rocsparseL20bsrxmvn_17_32_kernelILj20EflifffEEvT2_20rocsparse_direction_NS_24const_host_device_scalarIT0_EES1_PKS1_PKT1_SA_S7_PKT3_PKT4_S5_PT5_21rocsparse_index_base_b,"axG",@progbits,_ZN9rocsparseL20bsrxmvn_17_32_kernelILj20EflifffEEvT2_20rocsparse_direction_NS_24const_host_device_scalarIT0_EES1_PKS1_PKT1_SA_S7_PKT3_PKT4_S5_PT5_21rocsparse_index_base_b,comdat
.Lfunc_end67:
	.size	_ZN9rocsparseL20bsrxmvn_17_32_kernelILj20EflifffEEvT2_20rocsparse_direction_NS_24const_host_device_scalarIT0_EES1_PKS1_PKT1_SA_S7_PKT3_PKT4_S5_PT5_21rocsparse_index_base_b, .Lfunc_end67-_ZN9rocsparseL20bsrxmvn_17_32_kernelILj20EflifffEEvT2_20rocsparse_direction_NS_24const_host_device_scalarIT0_EES1_PKS1_PKT1_SA_S7_PKT3_PKT4_S5_PT5_21rocsparse_index_base_b
                                        ; -- End function
	.set _ZN9rocsparseL20bsrxmvn_17_32_kernelILj20EflifffEEvT2_20rocsparse_direction_NS_24const_host_device_scalarIT0_EES1_PKS1_PKT1_SA_S7_PKT3_PKT4_S5_PT5_21rocsparse_index_base_b.num_vgpr, 14
	.set _ZN9rocsparseL20bsrxmvn_17_32_kernelILj20EflifffEEvT2_20rocsparse_direction_NS_24const_host_device_scalarIT0_EES1_PKS1_PKT1_SA_S7_PKT3_PKT4_S5_PT5_21rocsparse_index_base_b.num_agpr, 0
	.set _ZN9rocsparseL20bsrxmvn_17_32_kernelILj20EflifffEEvT2_20rocsparse_direction_NS_24const_host_device_scalarIT0_EES1_PKS1_PKT1_SA_S7_PKT3_PKT4_S5_PT5_21rocsparse_index_base_b.numbered_sgpr, 26
	.set _ZN9rocsparseL20bsrxmvn_17_32_kernelILj20EflifffEEvT2_20rocsparse_direction_NS_24const_host_device_scalarIT0_EES1_PKS1_PKT1_SA_S7_PKT3_PKT4_S5_PT5_21rocsparse_index_base_b.num_named_barrier, 0
	.set _ZN9rocsparseL20bsrxmvn_17_32_kernelILj20EflifffEEvT2_20rocsparse_direction_NS_24const_host_device_scalarIT0_EES1_PKS1_PKT1_SA_S7_PKT3_PKT4_S5_PT5_21rocsparse_index_base_b.private_seg_size, 0
	.set _ZN9rocsparseL20bsrxmvn_17_32_kernelILj20EflifffEEvT2_20rocsparse_direction_NS_24const_host_device_scalarIT0_EES1_PKS1_PKT1_SA_S7_PKT3_PKT4_S5_PT5_21rocsparse_index_base_b.uses_vcc, 1
	.set _ZN9rocsparseL20bsrxmvn_17_32_kernelILj20EflifffEEvT2_20rocsparse_direction_NS_24const_host_device_scalarIT0_EES1_PKS1_PKT1_SA_S7_PKT3_PKT4_S5_PT5_21rocsparse_index_base_b.uses_flat_scratch, 0
	.set _ZN9rocsparseL20bsrxmvn_17_32_kernelILj20EflifffEEvT2_20rocsparse_direction_NS_24const_host_device_scalarIT0_EES1_PKS1_PKT1_SA_S7_PKT3_PKT4_S5_PT5_21rocsparse_index_base_b.has_dyn_sized_stack, 0
	.set _ZN9rocsparseL20bsrxmvn_17_32_kernelILj20EflifffEEvT2_20rocsparse_direction_NS_24const_host_device_scalarIT0_EES1_PKS1_PKT1_SA_S7_PKT3_PKT4_S5_PT5_21rocsparse_index_base_b.has_recursion, 0
	.set _ZN9rocsparseL20bsrxmvn_17_32_kernelILj20EflifffEEvT2_20rocsparse_direction_NS_24const_host_device_scalarIT0_EES1_PKS1_PKT1_SA_S7_PKT3_PKT4_S5_PT5_21rocsparse_index_base_b.has_indirect_call, 0
	.section	.AMDGPU.csdata,"",@progbits
; Kernel info:
; codeLenInByte = 1304
; TotalNumSgprs: 30
; NumVgprs: 14
; ScratchSize: 0
; MemoryBound: 0
; FloatMode: 240
; IeeeMode: 1
; LDSByteSize: 1600 bytes/workgroup (compile time only)
; SGPRBlocks: 3
; VGPRBlocks: 3
; NumSGPRsForWavesPerEU: 30
; NumVGPRsForWavesPerEU: 14
; Occupancy: 10
; WaveLimiterHint : 1
; COMPUTE_PGM_RSRC2:SCRATCH_EN: 0
; COMPUTE_PGM_RSRC2:USER_SGPR: 6
; COMPUTE_PGM_RSRC2:TRAP_HANDLER: 0
; COMPUTE_PGM_RSRC2:TGID_X_EN: 1
; COMPUTE_PGM_RSRC2:TGID_Y_EN: 0
; COMPUTE_PGM_RSRC2:TGID_Z_EN: 0
; COMPUTE_PGM_RSRC2:TIDIG_COMP_CNT: 0
	.section	.text._ZN9rocsparseL20bsrxmvn_17_32_kernelILj21EflifffEEvT2_20rocsparse_direction_NS_24const_host_device_scalarIT0_EES1_PKS1_PKT1_SA_S7_PKT3_PKT4_S5_PT5_21rocsparse_index_base_b,"axG",@progbits,_ZN9rocsparseL20bsrxmvn_17_32_kernelILj21EflifffEEvT2_20rocsparse_direction_NS_24const_host_device_scalarIT0_EES1_PKS1_PKT1_SA_S7_PKT3_PKT4_S5_PT5_21rocsparse_index_base_b,comdat
	.globl	_ZN9rocsparseL20bsrxmvn_17_32_kernelILj21EflifffEEvT2_20rocsparse_direction_NS_24const_host_device_scalarIT0_EES1_PKS1_PKT1_SA_S7_PKT3_PKT4_S5_PT5_21rocsparse_index_base_b ; -- Begin function _ZN9rocsparseL20bsrxmvn_17_32_kernelILj21EflifffEEvT2_20rocsparse_direction_NS_24const_host_device_scalarIT0_EES1_PKS1_PKT1_SA_S7_PKT3_PKT4_S5_PT5_21rocsparse_index_base_b
	.p2align	8
	.type	_ZN9rocsparseL20bsrxmvn_17_32_kernelILj21EflifffEEvT2_20rocsparse_direction_NS_24const_host_device_scalarIT0_EES1_PKS1_PKT1_SA_S7_PKT3_PKT4_S5_PT5_21rocsparse_index_base_b,@function
_ZN9rocsparseL20bsrxmvn_17_32_kernelILj21EflifffEEvT2_20rocsparse_direction_NS_24const_host_device_scalarIT0_EES1_PKS1_PKT1_SA_S7_PKT3_PKT4_S5_PT5_21rocsparse_index_base_b: ; @_ZN9rocsparseL20bsrxmvn_17_32_kernelILj21EflifffEEvT2_20rocsparse_direction_NS_24const_host_device_scalarIT0_EES1_PKS1_PKT1_SA_S7_PKT3_PKT4_S5_PT5_21rocsparse_index_base_b
; %bb.0:
	s_load_dwordx2 s[18:19], s[4:5], 0x58
	s_load_dwordx2 s[14:15], s[4:5], 0x8
	s_load_dwordx2 s[12:13], s[4:5], 0x48
	s_waitcnt lgkmcnt(0)
	s_bitcmp1_b32 s19, 0
	s_cselect_b64 s[2:3], -1, 0
	s_xor_b64 s[0:1], s[2:3], -1
	s_and_b64 vcc, exec, s[2:3]
	s_cbranch_vccnz .LBB68_2
; %bb.1:
	s_load_dword s14, s[14:15], 0x0
.LBB68_2:
	s_andn2_b64 vcc, exec, s[0:1]
	s_cbranch_vccnz .LBB68_4
; %bb.3:
	s_load_dword s12, s[12:13], 0x0
.LBB68_4:
	s_waitcnt lgkmcnt(0)
	v_cmp_neq_f32_e64 s[0:1], s14, 0
	v_cmp_neq_f32_e64 s[2:3], s12, 1.0
	s_or_b64 s[0:1], s[0:1], s[2:3]
	s_andn2_b64 vcc, exec, s[0:1]
	s_cbranch_vccnz .LBB68_40
; %bb.5:
	s_load_dwordx4 s[0:3], s[4:5], 0x18
	s_load_dwordx2 s[8:9], s[4:5], 0x28
	s_waitcnt lgkmcnt(0)
	s_cmp_eq_u64 s[0:1], 0
	s_cbranch_scc1 .LBB68_7
; %bb.6:
	s_ashr_i32 s7, s6, 31
	s_lshl_b64 s[6:7], s[6:7], 2
	s_add_u32 s0, s0, s6
	s_addc_u32 s1, s1, s7
	s_load_dword s0, s[0:1], 0x0
	s_waitcnt lgkmcnt(0)
	s_sub_i32 s6, s0, s18
.LBB68_7:
	s_load_dword s7, s[4:5], 0x4
	s_load_dwordx2 s[16:17], s[4:5], 0x50
	v_mul_u32_u24_e32 v1, 0xc31, v0
	v_mov_b32_e32 v2, 21
	v_mul_lo_u16_sdwa v2, v1, v2 dst_sel:DWORD dst_unused:UNUSED_PAD src0_sel:WORD_1 src1_sel:DWORD
	s_waitcnt lgkmcnt(0)
	s_cmp_eq_u32 s7, 1
	s_cselect_b64 s[0:1], -1, 0
	s_cmp_lg_u32 s7, 1
	s_cselect_b64 s[20:21], -1, 0
	s_ashr_i32 s7, s6, 31
	s_lshl_b64 s[10:11], s[6:7], 3
	s_add_u32 s2, s2, s10
	s_addc_u32 s3, s3, s11
	s_add_u32 s7, s2, 8
	s_addc_u32 s13, s3, 0
	;; [unrolled: 2-line block ×3, first 2 shown]
	s_cmp_eq_u64 s[8:9], 0
	s_cselect_b32 s9, s13, s11
	s_cselect_b32 s8, s7, s10
	s_load_dwordx2 s[22:23], s[8:9], 0x0
	s_load_dwordx2 s[24:25], s[2:3], 0x0
	v_sub_u16_e32 v8, v0, v2
	v_mov_b32_e32 v7, 0
	v_lshlrev_b32_e32 v6, 2, v0
	s_waitcnt lgkmcnt(0)
	v_mov_b32_e32 v2, s22
	v_mov_b32_e32 v3, s23
	v_cmp_ge_i64_e32 vcc, s[24:25], v[2:3]
	s_cbranch_vccnz .LBB68_12
; %bb.8:
	v_mov_b32_e32 v2, 25
	v_mul_lo_u16_sdwa v2, v1, v2 dst_sel:DWORD dst_unused:UNUSED_PAD src0_sel:WORD_1 src1_sel:DWORD
	s_load_dwordx4 s[8:11], s[4:5], 0x30
	s_load_dwordx2 s[2:3], s[4:5], 0x40
	s_sub_u32 s4, s22, s18
	v_lshrrev_b16_e32 v2, 9, v2
	s_subb_u32 s5, s23, 0
	v_mul_lo_u16_e32 v2, 21, v2
	v_sub_u16_sdwa v1, v1, v2 dst_sel:DWORD dst_unused:UNUSED_PAD src0_sel:WORD_1 src1_sel:DWORD
	s_sub_u32 s22, s24, s18
	v_and_b32_e32 v1, 0xff, v1
	s_subb_u32 s23, s25, 0
	v_cndmask_b32_e64 v1, v8, v1, s[0:1]
	s_mul_i32 s0, s23, 0x6e4
	s_mul_hi_u32 s1, s22, 0x6e4
	s_add_i32 s1, s1, s0
	s_mul_i32 s0, s22, 0x6e4
	s_waitcnt lgkmcnt(0)
	s_add_u32 s0, s10, s0
	s_addc_u32 s1, s11, s1
	v_add_co_u32_e32 v2, vcc, s0, v6
	s_movk_i32 s0, 0x253
	v_mov_b32_e32 v3, s1
	v_mul_u32_u24_sdwa v4, v0, s0 dst_sel:DWORD dst_unused:UNUSED_PAD src0_sel:WORD_0 src1_sel:DWORD
	v_addc_co_u32_e32 v3, vcc, 0, v3, vcc
	v_lshrrev_b32_e32 v9, 18, v4
	v_mov_b32_e32 v4, s25
	v_add_co_u32_e32 v5, vcc, s24, v9
	v_addc_co_u32_e32 v10, vcc, 0, v4, vcc
	v_subrev_co_u32_e32 v4, vcc, s18, v5
	v_subbrev_co_u32_e32 v5, vcc, 0, v10, vcc
	v_lshlrev_b64 v[4:5], 2, v[4:5]
	v_mov_b32_e32 v10, s9
	v_add_co_u32_e32 v4, vcc, s8, v4
	v_mov_b32_e32 v7, 0
	v_addc_co_u32_e32 v5, vcc, v10, v5, vcc
	s_branch .LBB68_10
.LBB68_9:                               ;   in Loop: Header=BB68_10 Depth=1
	s_or_b64 exec, exec, s[0:1]
	s_add_u32 s22, s22, 1
	v_mov_b32_e32 v11, s5
	s_addc_u32 s23, s23, 0
	v_mov_b32_e32 v10, s4
	v_cmp_lt_i64_e32 vcc, s[22:23], v[10:11]
	v_add_co_u32_e64 v4, s[0:1], 4, v4
	v_addc_co_u32_e64 v5, s[0:1], 0, v5, s[0:1]
	s_cbranch_vccz .LBB68_12
.LBB68_10:                              ; =>This Inner Loop Header: Depth=1
	v_mov_b32_e32 v11, s23
	v_add_co_u32_e32 v10, vcc, s22, v9
	v_addc_co_u32_e32 v11, vcc, 0, v11, vcc
	v_cmp_gt_i64_e32 vcc, s[4:5], v[10:11]
	s_and_saveexec_b64 s[0:1], vcc
	s_cbranch_execz .LBB68_9
; %bb.11:                               ;   in Loop: Header=BB68_10 Depth=1
	global_load_dword v10, v[4:5], off
	v_mov_b32_e32 v13, s3
	global_load_dword v12, v[2:3], off
	s_waitcnt vmcnt(1)
	v_subrev_u32_e32 v10, s18, v10
	v_mad_u64_u32 v[10:11], s[8:9], v10, 21, v[1:2]
	v_ashrrev_i32_e32 v11, 31, v10
	v_lshlrev_b64 v[10:11], 2, v[10:11]
	v_add_co_u32_e32 v10, vcc, s2, v10
	v_addc_co_u32_e32 v11, vcc, v13, v11, vcc
	global_load_dword v10, v[10:11], off
	v_add_co_u32_e32 v2, vcc, 0x6e4, v2
	v_addc_co_u32_e32 v3, vcc, 0, v3, vcc
	s_waitcnt vmcnt(0)
	v_fmac_f32_e32 v7, v12, v10
	s_branch .LBB68_9
.LBB68_12:
	s_and_b64 vcc, exec, s[20:21]
	ds_write_b32 v6, v7
	s_waitcnt lgkmcnt(0)
	s_barrier
	s_cbranch_vccz .LBB68_24
; %bb.13:
	v_cmp_gt_u16_e32 vcc, 5, v8
	s_and_saveexec_b64 s[0:1], vcc
	s_cbranch_execz .LBB68_15
; %bb.14:
	ds_read2_b32 v[1:2], v6 offset1:16
	s_waitcnt lgkmcnt(0)
	v_add_f32_e32 v1, v2, v1
	ds_write_b32 v6, v1
.LBB68_15:
	s_or_b64 exec, exec, s[0:1]
	v_cmp_gt_u16_e32 vcc, 8, v8
	s_waitcnt lgkmcnt(0)
	s_barrier
	s_and_saveexec_b64 s[0:1], vcc
	s_cbranch_execz .LBB68_17
; %bb.16:
	ds_read2_b32 v[1:2], v6 offset1:8
	s_waitcnt lgkmcnt(0)
	v_add_f32_e32 v1, v2, v1
	ds_write_b32 v6, v1
.LBB68_17:
	s_or_b64 exec, exec, s[0:1]
	v_cmp_gt_u16_e32 vcc, 4, v8
	s_waitcnt lgkmcnt(0)
	s_barrier
	;; [unrolled: 12-line block ×3, first 2 shown]
	s_and_saveexec_b64 s[0:1], vcc
	s_cbranch_execz .LBB68_21
; %bb.20:
	ds_read2_b32 v[1:2], v6 offset1:2
	s_waitcnt lgkmcnt(0)
	v_add_f32_e32 v1, v2, v1
	ds_write_b32 v6, v1
.LBB68_21:
	s_or_b64 exec, exec, s[0:1]
	v_cmp_gt_u32_e32 vcc, 21, v0
	v_mov_b32_e32 v1, v7
	s_waitcnt lgkmcnt(0)
	s_barrier
	s_and_saveexec_b64 s[0:1], vcc
	s_cbranch_execz .LBB68_23
; %bb.22:
	s_movk_i32 s2, 0x50
	v_mad_u32_u24 v1, v0, s2, v6
	ds_read2_b32 v[1:2], v1 offset1:1
	s_waitcnt lgkmcnt(0)
	v_add_f32_e32 v1, v1, v2
.LBB68_23:
	s_or_b64 exec, exec, s[0:1]
	s_branch .LBB68_36
.LBB68_24:
                                        ; implicit-def: $vgpr1
	s_cbranch_execz .LBB68_36
; %bb.25:
	s_movk_i32 s0, 0x69
	v_cmp_gt_u32_e32 vcc, s0, v0
	s_and_saveexec_b64 s[0:1], vcc
	s_cbranch_execz .LBB68_27
; %bb.26:
	ds_read_b32 v1, v6 offset:1344
	ds_read_b32 v2, v6
	s_waitcnt lgkmcnt(0)
	v_add_f32_e32 v1, v1, v2
	ds_write_b32 v6, v1
.LBB68_27:
	s_or_b64 exec, exec, s[0:1]
	s_movk_i32 s0, 0xa8
	v_cmp_gt_u32_e32 vcc, s0, v0
	s_waitcnt lgkmcnt(0)
	s_barrier
	s_and_saveexec_b64 s[0:1], vcc
	s_cbranch_execz .LBB68_29
; %bb.28:
	ds_read2_b32 v[1:2], v6 offset1:168
	s_waitcnt lgkmcnt(0)
	v_add_f32_e32 v1, v2, v1
	ds_write_b32 v6, v1
.LBB68_29:
	s_or_b64 exec, exec, s[0:1]
	s_movk_i32 s0, 0x54
	v_cmp_gt_u32_e32 vcc, s0, v0
	s_waitcnt lgkmcnt(0)
	s_barrier
	s_and_saveexec_b64 s[0:1], vcc
	s_cbranch_execz .LBB68_31
; %bb.30:
	ds_read2_b32 v[1:2], v6 offset1:84
	s_waitcnt lgkmcnt(0)
	v_add_f32_e32 v1, v2, v1
	ds_write_b32 v6, v1
.LBB68_31:
	s_or_b64 exec, exec, s[0:1]
	v_cmp_gt_u32_e32 vcc, 42, v0
	s_waitcnt lgkmcnt(0)
	s_barrier
	s_and_saveexec_b64 s[0:1], vcc
	s_cbranch_execz .LBB68_33
; %bb.32:
	ds_read2_b32 v[1:2], v6 offset1:42
	s_waitcnt lgkmcnt(0)
	v_add_f32_e32 v1, v2, v1
	ds_write_b32 v6, v1
.LBB68_33:
	s_or_b64 exec, exec, s[0:1]
	v_cmp_gt_u32_e32 vcc, 21, v0
	s_waitcnt lgkmcnt(0)
	s_and_saveexec_b64 s[0:1], vcc
	s_cbranch_execz .LBB68_35
; %bb.34:
	ds_read2_b32 v[1:2], v6 offset1:21
	s_waitcnt lgkmcnt(0)
	v_add_f32_e32 v7, v1, v2
.LBB68_35:
	s_or_b64 exec, exec, s[0:1]
	v_mov_b32_e32 v1, v7
.LBB68_36:
	v_cmp_gt_u32_e32 vcc, 21, v0
	s_and_saveexec_b64 s[0:1], vcc
	s_cbranch_execz .LBB68_40
; %bb.37:
	v_cmp_eq_f32_e64 s[0:1], s12, 0
	s_and_b64 vcc, exec, s[0:1]
	v_mul_f32_e32 v1, s14, v1
	s_cbranch_vccz .LBB68_41
; %bb.38:
	v_mad_u64_u32 v[2:3], s[0:1], s6, 21, v[0:1]
	v_mov_b32_e32 v3, 0
	v_mov_b32_e32 v4, s17
	v_lshlrev_b64 v[2:3], 2, v[2:3]
	v_add_co_u32_e32 v2, vcc, s16, v2
	v_addc_co_u32_e32 v3, vcc, v4, v3, vcc
	global_store_dword v[2:3], v1, off
	s_cbranch_execnz .LBB68_40
.LBB68_39:
	v_mad_u64_u32 v[2:3], s[0:1], s6, 21, v[0:1]
	v_mov_b32_e32 v3, 0
	v_mov_b32_e32 v0, s17
	v_lshlrev_b64 v[2:3], 2, v[2:3]
	v_add_co_u32_e32 v2, vcc, s16, v2
	v_addc_co_u32_e32 v3, vcc, v0, v3, vcc
	global_load_dword v0, v[2:3], off
	s_waitcnt vmcnt(0)
	v_fmac_f32_e32 v1, s12, v0
	global_store_dword v[2:3], v1, off
.LBB68_40:
	s_endpgm
.LBB68_41:
	s_branch .LBB68_39
	.section	.rodata,"a",@progbits
	.p2align	6, 0x0
	.amdhsa_kernel _ZN9rocsparseL20bsrxmvn_17_32_kernelILj21EflifffEEvT2_20rocsparse_direction_NS_24const_host_device_scalarIT0_EES1_PKS1_PKT1_SA_S7_PKT3_PKT4_S5_PT5_21rocsparse_index_base_b
		.amdhsa_group_segment_fixed_size 1764
		.amdhsa_private_segment_fixed_size 0
		.amdhsa_kernarg_size 96
		.amdhsa_user_sgpr_count 6
		.amdhsa_user_sgpr_private_segment_buffer 1
		.amdhsa_user_sgpr_dispatch_ptr 0
		.amdhsa_user_sgpr_queue_ptr 0
		.amdhsa_user_sgpr_kernarg_segment_ptr 1
		.amdhsa_user_sgpr_dispatch_id 0
		.amdhsa_user_sgpr_flat_scratch_init 0
		.amdhsa_user_sgpr_private_segment_size 0
		.amdhsa_uses_dynamic_stack 0
		.amdhsa_system_sgpr_private_segment_wavefront_offset 0
		.amdhsa_system_sgpr_workgroup_id_x 1
		.amdhsa_system_sgpr_workgroup_id_y 0
		.amdhsa_system_sgpr_workgroup_id_z 0
		.amdhsa_system_sgpr_workgroup_info 0
		.amdhsa_system_vgpr_workitem_id 0
		.amdhsa_next_free_vgpr 14
		.amdhsa_next_free_sgpr 26
		.amdhsa_reserve_vcc 1
		.amdhsa_reserve_flat_scratch 0
		.amdhsa_float_round_mode_32 0
		.amdhsa_float_round_mode_16_64 0
		.amdhsa_float_denorm_mode_32 3
		.amdhsa_float_denorm_mode_16_64 3
		.amdhsa_dx10_clamp 1
		.amdhsa_ieee_mode 1
		.amdhsa_fp16_overflow 0
		.amdhsa_exception_fp_ieee_invalid_op 0
		.amdhsa_exception_fp_denorm_src 0
		.amdhsa_exception_fp_ieee_div_zero 0
		.amdhsa_exception_fp_ieee_overflow 0
		.amdhsa_exception_fp_ieee_underflow 0
		.amdhsa_exception_fp_ieee_inexact 0
		.amdhsa_exception_int_div_zero 0
	.end_amdhsa_kernel
	.section	.text._ZN9rocsparseL20bsrxmvn_17_32_kernelILj21EflifffEEvT2_20rocsparse_direction_NS_24const_host_device_scalarIT0_EES1_PKS1_PKT1_SA_S7_PKT3_PKT4_S5_PT5_21rocsparse_index_base_b,"axG",@progbits,_ZN9rocsparseL20bsrxmvn_17_32_kernelILj21EflifffEEvT2_20rocsparse_direction_NS_24const_host_device_scalarIT0_EES1_PKS1_PKT1_SA_S7_PKT3_PKT4_S5_PT5_21rocsparse_index_base_b,comdat
.Lfunc_end68:
	.size	_ZN9rocsparseL20bsrxmvn_17_32_kernelILj21EflifffEEvT2_20rocsparse_direction_NS_24const_host_device_scalarIT0_EES1_PKS1_PKT1_SA_S7_PKT3_PKT4_S5_PT5_21rocsparse_index_base_b, .Lfunc_end68-_ZN9rocsparseL20bsrxmvn_17_32_kernelILj21EflifffEEvT2_20rocsparse_direction_NS_24const_host_device_scalarIT0_EES1_PKS1_PKT1_SA_S7_PKT3_PKT4_S5_PT5_21rocsparse_index_base_b
                                        ; -- End function
	.set _ZN9rocsparseL20bsrxmvn_17_32_kernelILj21EflifffEEvT2_20rocsparse_direction_NS_24const_host_device_scalarIT0_EES1_PKS1_PKT1_SA_S7_PKT3_PKT4_S5_PT5_21rocsparse_index_base_b.num_vgpr, 14
	.set _ZN9rocsparseL20bsrxmvn_17_32_kernelILj21EflifffEEvT2_20rocsparse_direction_NS_24const_host_device_scalarIT0_EES1_PKS1_PKT1_SA_S7_PKT3_PKT4_S5_PT5_21rocsparse_index_base_b.num_agpr, 0
	.set _ZN9rocsparseL20bsrxmvn_17_32_kernelILj21EflifffEEvT2_20rocsparse_direction_NS_24const_host_device_scalarIT0_EES1_PKS1_PKT1_SA_S7_PKT3_PKT4_S5_PT5_21rocsparse_index_base_b.numbered_sgpr, 26
	.set _ZN9rocsparseL20bsrxmvn_17_32_kernelILj21EflifffEEvT2_20rocsparse_direction_NS_24const_host_device_scalarIT0_EES1_PKS1_PKT1_SA_S7_PKT3_PKT4_S5_PT5_21rocsparse_index_base_b.num_named_barrier, 0
	.set _ZN9rocsparseL20bsrxmvn_17_32_kernelILj21EflifffEEvT2_20rocsparse_direction_NS_24const_host_device_scalarIT0_EES1_PKS1_PKT1_SA_S7_PKT3_PKT4_S5_PT5_21rocsparse_index_base_b.private_seg_size, 0
	.set _ZN9rocsparseL20bsrxmvn_17_32_kernelILj21EflifffEEvT2_20rocsparse_direction_NS_24const_host_device_scalarIT0_EES1_PKS1_PKT1_SA_S7_PKT3_PKT4_S5_PT5_21rocsparse_index_base_b.uses_vcc, 1
	.set _ZN9rocsparseL20bsrxmvn_17_32_kernelILj21EflifffEEvT2_20rocsparse_direction_NS_24const_host_device_scalarIT0_EES1_PKS1_PKT1_SA_S7_PKT3_PKT4_S5_PT5_21rocsparse_index_base_b.uses_flat_scratch, 0
	.set _ZN9rocsparseL20bsrxmvn_17_32_kernelILj21EflifffEEvT2_20rocsparse_direction_NS_24const_host_device_scalarIT0_EES1_PKS1_PKT1_SA_S7_PKT3_PKT4_S5_PT5_21rocsparse_index_base_b.has_dyn_sized_stack, 0
	.set _ZN9rocsparseL20bsrxmvn_17_32_kernelILj21EflifffEEvT2_20rocsparse_direction_NS_24const_host_device_scalarIT0_EES1_PKS1_PKT1_SA_S7_PKT3_PKT4_S5_PT5_21rocsparse_index_base_b.has_recursion, 0
	.set _ZN9rocsparseL20bsrxmvn_17_32_kernelILj21EflifffEEvT2_20rocsparse_direction_NS_24const_host_device_scalarIT0_EES1_PKS1_PKT1_SA_S7_PKT3_PKT4_S5_PT5_21rocsparse_index_base_b.has_indirect_call, 0
	.section	.AMDGPU.csdata,"",@progbits
; Kernel info:
; codeLenInByte = 1316
; TotalNumSgprs: 30
; NumVgprs: 14
; ScratchSize: 0
; MemoryBound: 0
; FloatMode: 240
; IeeeMode: 1
; LDSByteSize: 1764 bytes/workgroup (compile time only)
; SGPRBlocks: 3
; VGPRBlocks: 3
; NumSGPRsForWavesPerEU: 30
; NumVGPRsForWavesPerEU: 14
; Occupancy: 10
; WaveLimiterHint : 1
; COMPUTE_PGM_RSRC2:SCRATCH_EN: 0
; COMPUTE_PGM_RSRC2:USER_SGPR: 6
; COMPUTE_PGM_RSRC2:TRAP_HANDLER: 0
; COMPUTE_PGM_RSRC2:TGID_X_EN: 1
; COMPUTE_PGM_RSRC2:TGID_Y_EN: 0
; COMPUTE_PGM_RSRC2:TGID_Z_EN: 0
; COMPUTE_PGM_RSRC2:TIDIG_COMP_CNT: 0
	.section	.text._ZN9rocsparseL20bsrxmvn_17_32_kernelILj22EflifffEEvT2_20rocsparse_direction_NS_24const_host_device_scalarIT0_EES1_PKS1_PKT1_SA_S7_PKT3_PKT4_S5_PT5_21rocsparse_index_base_b,"axG",@progbits,_ZN9rocsparseL20bsrxmvn_17_32_kernelILj22EflifffEEvT2_20rocsparse_direction_NS_24const_host_device_scalarIT0_EES1_PKS1_PKT1_SA_S7_PKT3_PKT4_S5_PT5_21rocsparse_index_base_b,comdat
	.globl	_ZN9rocsparseL20bsrxmvn_17_32_kernelILj22EflifffEEvT2_20rocsparse_direction_NS_24const_host_device_scalarIT0_EES1_PKS1_PKT1_SA_S7_PKT3_PKT4_S5_PT5_21rocsparse_index_base_b ; -- Begin function _ZN9rocsparseL20bsrxmvn_17_32_kernelILj22EflifffEEvT2_20rocsparse_direction_NS_24const_host_device_scalarIT0_EES1_PKS1_PKT1_SA_S7_PKT3_PKT4_S5_PT5_21rocsparse_index_base_b
	.p2align	8
	.type	_ZN9rocsparseL20bsrxmvn_17_32_kernelILj22EflifffEEvT2_20rocsparse_direction_NS_24const_host_device_scalarIT0_EES1_PKS1_PKT1_SA_S7_PKT3_PKT4_S5_PT5_21rocsparse_index_base_b,@function
_ZN9rocsparseL20bsrxmvn_17_32_kernelILj22EflifffEEvT2_20rocsparse_direction_NS_24const_host_device_scalarIT0_EES1_PKS1_PKT1_SA_S7_PKT3_PKT4_S5_PT5_21rocsparse_index_base_b: ; @_ZN9rocsparseL20bsrxmvn_17_32_kernelILj22EflifffEEvT2_20rocsparse_direction_NS_24const_host_device_scalarIT0_EES1_PKS1_PKT1_SA_S7_PKT3_PKT4_S5_PT5_21rocsparse_index_base_b
; %bb.0:
	s_load_dwordx2 s[18:19], s[4:5], 0x58
	s_load_dwordx2 s[14:15], s[4:5], 0x8
	;; [unrolled: 1-line block ×3, first 2 shown]
	s_waitcnt lgkmcnt(0)
	s_bitcmp1_b32 s19, 0
	s_cselect_b64 s[2:3], -1, 0
	s_xor_b64 s[0:1], s[2:3], -1
	s_and_b64 vcc, exec, s[2:3]
	s_cbranch_vccnz .LBB69_2
; %bb.1:
	s_load_dword s14, s[14:15], 0x0
.LBB69_2:
	s_andn2_b64 vcc, exec, s[0:1]
	s_cbranch_vccnz .LBB69_4
; %bb.3:
	s_load_dword s12, s[12:13], 0x0
.LBB69_4:
	s_waitcnt lgkmcnt(0)
	v_cmp_neq_f32_e64 s[0:1], s14, 0
	v_cmp_neq_f32_e64 s[2:3], s12, 1.0
	s_or_b64 s[0:1], s[0:1], s[2:3]
	s_andn2_b64 vcc, exec, s[0:1]
	s_cbranch_vccnz .LBB69_40
; %bb.5:
	s_load_dwordx4 s[0:3], s[4:5], 0x18
	s_load_dwordx2 s[8:9], s[4:5], 0x28
	s_waitcnt lgkmcnt(0)
	s_cmp_eq_u64 s[0:1], 0
	s_cbranch_scc1 .LBB69_7
; %bb.6:
	s_ashr_i32 s7, s6, 31
	s_lshl_b64 s[6:7], s[6:7], 2
	s_add_u32 s0, s0, s6
	s_addc_u32 s1, s1, s7
	s_load_dword s0, s[0:1], 0x0
	s_waitcnt lgkmcnt(0)
	s_sub_i32 s6, s0, s18
.LBB69_7:
	s_load_dword s7, s[4:5], 0x4
	s_load_dwordx2 s[16:17], s[4:5], 0x50
	v_mul_u32_u24_e32 v1, 0xba3, v0
	v_mov_b32_e32 v2, 22
	v_mul_lo_u16_sdwa v3, v1, v2 dst_sel:DWORD dst_unused:UNUSED_PAD src0_sel:WORD_1 src1_sel:DWORD
	s_waitcnt lgkmcnt(0)
	s_cmp_eq_u32 s7, 1
	s_cselect_b64 s[0:1], -1, 0
	s_cmp_lg_u32 s7, 1
	s_cselect_b64 s[20:21], -1, 0
	s_ashr_i32 s7, s6, 31
	s_lshl_b64 s[10:11], s[6:7], 3
	s_add_u32 s2, s2, s10
	s_addc_u32 s3, s3, s11
	s_add_u32 s7, s2, 8
	s_addc_u32 s13, s3, 0
	;; [unrolled: 2-line block ×3, first 2 shown]
	s_cmp_eq_u64 s[8:9], 0
	s_cselect_b32 s9, s13, s11
	s_cselect_b32 s8, s7, s10
	s_load_dwordx2 s[22:23], s[8:9], 0x0
	s_load_dwordx2 s[24:25], s[2:3], 0x0
	v_sub_u16_e32 v8, v0, v3
	v_mov_b32_e32 v7, 0
	v_lshlrev_b32_e32 v6, 2, v0
	s_waitcnt lgkmcnt(0)
	v_mov_b32_e32 v3, s22
	v_mov_b32_e32 v4, s23
	v_cmp_ge_i64_e32 vcc, s[24:25], v[3:4]
	s_cbranch_vccnz .LBB69_12
; %bb.8:
	v_mov_b32_e32 v3, 12
	s_load_dwordx4 s[8:11], s[4:5], 0x30
	s_load_dwordx2 s[2:3], s[4:5], 0x40
	s_sub_u32 s4, s22, s18
	v_mul_lo_u16_sdwa v3, v1, v3 dst_sel:DWORD dst_unused:UNUSED_PAD src0_sel:WORD_1 src1_sel:DWORD
	s_subb_u32 s5, s23, 0
	v_mul_lo_u16_sdwa v2, v3, v2 dst_sel:DWORD dst_unused:UNUSED_PAD src0_sel:BYTE_1 src1_sel:DWORD
	v_sub_u16_sdwa v1, v1, v2 dst_sel:DWORD dst_unused:UNUSED_PAD src0_sel:WORD_1 src1_sel:DWORD
	s_sub_u32 s22, s24, s18
	v_and_b32_e32 v1, 0xff, v1
	s_subb_u32 s23, s25, 0
	v_cndmask_b32_e64 v1, v8, v1, s[0:1]
	s_mul_i32 s0, s23, 0x790
	s_mul_hi_u32 s1, s22, 0x790
	s_add_i32 s1, s1, s0
	s_mul_i32 s0, s22, 0x790
	s_waitcnt lgkmcnt(0)
	s_add_u32 s0, s10, s0
	s_addc_u32 s1, s11, s1
	v_add_co_u32_e32 v2, vcc, s0, v6
	s_movk_i32 s0, 0x10f
	v_mov_b32_e32 v3, s1
	v_mul_u32_u24_sdwa v4, v0, s0 dst_sel:DWORD dst_unused:UNUSED_PAD src0_sel:WORD_0 src1_sel:DWORD
	v_addc_co_u32_e32 v3, vcc, 0, v3, vcc
	v_lshrrev_b32_e32 v9, 17, v4
	v_mov_b32_e32 v4, s25
	v_add_co_u32_e32 v5, vcc, s24, v9
	v_addc_co_u32_e32 v10, vcc, 0, v4, vcc
	v_subrev_co_u32_e32 v4, vcc, s18, v5
	v_subbrev_co_u32_e32 v5, vcc, 0, v10, vcc
	v_lshlrev_b64 v[4:5], 2, v[4:5]
	v_mov_b32_e32 v10, s9
	v_add_co_u32_e32 v4, vcc, s8, v4
	v_mov_b32_e32 v7, 0
	v_addc_co_u32_e32 v5, vcc, v10, v5, vcc
	s_branch .LBB69_10
.LBB69_9:                               ;   in Loop: Header=BB69_10 Depth=1
	s_or_b64 exec, exec, s[0:1]
	s_add_u32 s22, s22, 1
	v_mov_b32_e32 v11, s5
	s_addc_u32 s23, s23, 0
	v_mov_b32_e32 v10, s4
	v_cmp_lt_i64_e32 vcc, s[22:23], v[10:11]
	v_add_co_u32_e64 v4, s[0:1], 4, v4
	v_addc_co_u32_e64 v5, s[0:1], 0, v5, s[0:1]
	s_cbranch_vccz .LBB69_12
.LBB69_10:                              ; =>This Inner Loop Header: Depth=1
	v_mov_b32_e32 v11, s23
	v_add_co_u32_e32 v10, vcc, s22, v9
	v_addc_co_u32_e32 v11, vcc, 0, v11, vcc
	v_cmp_gt_i64_e32 vcc, s[4:5], v[10:11]
	s_and_saveexec_b64 s[0:1], vcc
	s_cbranch_execz .LBB69_9
; %bb.11:                               ;   in Loop: Header=BB69_10 Depth=1
	global_load_dword v10, v[4:5], off
	v_mov_b32_e32 v13, s3
	global_load_dword v12, v[2:3], off
	s_waitcnt vmcnt(1)
	v_subrev_u32_e32 v10, s18, v10
	v_mad_u64_u32 v[10:11], s[8:9], v10, 22, v[1:2]
	v_ashrrev_i32_e32 v11, 31, v10
	v_lshlrev_b64 v[10:11], 2, v[10:11]
	v_add_co_u32_e32 v10, vcc, s2, v10
	v_addc_co_u32_e32 v11, vcc, v13, v11, vcc
	global_load_dword v10, v[10:11], off
	v_add_co_u32_e32 v2, vcc, 0x790, v2
	v_addc_co_u32_e32 v3, vcc, 0, v3, vcc
	s_waitcnt vmcnt(0)
	v_fmac_f32_e32 v7, v12, v10
	s_branch .LBB69_9
.LBB69_12:
	s_and_b64 vcc, exec, s[20:21]
	ds_write_b32 v6, v7
	s_waitcnt lgkmcnt(0)
	s_barrier
	s_cbranch_vccz .LBB69_24
; %bb.13:
	v_cmp_gt_u16_e32 vcc, 6, v8
	s_and_saveexec_b64 s[0:1], vcc
	s_cbranch_execz .LBB69_15
; %bb.14:
	ds_read2_b32 v[1:2], v6 offset1:16
	s_waitcnt lgkmcnt(0)
	v_add_f32_e32 v1, v2, v1
	ds_write_b32 v6, v1
.LBB69_15:
	s_or_b64 exec, exec, s[0:1]
	v_cmp_gt_u16_e32 vcc, 8, v8
	s_waitcnt lgkmcnt(0)
	s_barrier
	s_and_saveexec_b64 s[0:1], vcc
	s_cbranch_execz .LBB69_17
; %bb.16:
	ds_read2_b32 v[1:2], v6 offset1:8
	s_waitcnt lgkmcnt(0)
	v_add_f32_e32 v1, v2, v1
	ds_write_b32 v6, v1
.LBB69_17:
	s_or_b64 exec, exec, s[0:1]
	v_cmp_gt_u16_e32 vcc, 4, v8
	s_waitcnt lgkmcnt(0)
	s_barrier
	;; [unrolled: 12-line block ×3, first 2 shown]
	s_and_saveexec_b64 s[0:1], vcc
	s_cbranch_execz .LBB69_21
; %bb.20:
	ds_read2_b32 v[1:2], v6 offset1:2
	s_waitcnt lgkmcnt(0)
	v_add_f32_e32 v1, v2, v1
	ds_write_b32 v6, v1
.LBB69_21:
	s_or_b64 exec, exec, s[0:1]
	v_cmp_gt_u32_e32 vcc, 22, v0
	v_mov_b32_e32 v1, v7
	s_waitcnt lgkmcnt(0)
	s_barrier
	s_and_saveexec_b64 s[0:1], vcc
	s_cbranch_execz .LBB69_23
; %bb.22:
	s_movk_i32 s2, 0x54
	v_mad_u32_u24 v1, v0, s2, v6
	ds_read_b64 v[1:2], v1
	s_waitcnt lgkmcnt(0)
	v_add_f32_e32 v1, v1, v2
.LBB69_23:
	s_or_b64 exec, exec, s[0:1]
	s_branch .LBB69_36
.LBB69_24:
                                        ; implicit-def: $vgpr1
	s_cbranch_execz .LBB69_36
; %bb.25:
	s_movk_i32 s0, 0x84
	v_cmp_gt_u32_e32 vcc, s0, v0
	s_and_saveexec_b64 s[0:1], vcc
	s_cbranch_execz .LBB69_27
; %bb.26:
	ds_read_b32 v1, v6 offset:1408
	ds_read_b32 v2, v6
	s_waitcnt lgkmcnt(0)
	v_add_f32_e32 v1, v1, v2
	ds_write_b32 v6, v1
.LBB69_27:
	s_or_b64 exec, exec, s[0:1]
	s_movk_i32 s0, 0xb0
	v_cmp_gt_u32_e32 vcc, s0, v0
	s_waitcnt lgkmcnt(0)
	s_barrier
	s_and_saveexec_b64 s[0:1], vcc
	s_cbranch_execz .LBB69_29
; %bb.28:
	ds_read2_b32 v[1:2], v6 offset1:176
	s_waitcnt lgkmcnt(0)
	v_add_f32_e32 v1, v2, v1
	ds_write_b32 v6, v1
.LBB69_29:
	s_or_b64 exec, exec, s[0:1]
	s_movk_i32 s0, 0x58
	v_cmp_gt_u32_e32 vcc, s0, v0
	s_waitcnt lgkmcnt(0)
	s_barrier
	s_and_saveexec_b64 s[0:1], vcc
	s_cbranch_execz .LBB69_31
; %bb.30:
	ds_read2_b32 v[1:2], v6 offset1:88
	s_waitcnt lgkmcnt(0)
	v_add_f32_e32 v1, v2, v1
	ds_write_b32 v6, v1
.LBB69_31:
	s_or_b64 exec, exec, s[0:1]
	v_cmp_gt_u32_e32 vcc, 44, v0
	s_waitcnt lgkmcnt(0)
	s_barrier
	s_and_saveexec_b64 s[0:1], vcc
	s_cbranch_execz .LBB69_33
; %bb.32:
	ds_read2_b32 v[1:2], v6 offset1:44
	s_waitcnt lgkmcnt(0)
	v_add_f32_e32 v1, v2, v1
	ds_write_b32 v6, v1
.LBB69_33:
	s_or_b64 exec, exec, s[0:1]
	v_cmp_gt_u32_e32 vcc, 22, v0
	s_waitcnt lgkmcnt(0)
	s_and_saveexec_b64 s[0:1], vcc
	s_cbranch_execz .LBB69_35
; %bb.34:
	ds_read2_b32 v[1:2], v6 offset1:22
	s_waitcnt lgkmcnt(0)
	v_add_f32_e32 v7, v1, v2
.LBB69_35:
	s_or_b64 exec, exec, s[0:1]
	v_mov_b32_e32 v1, v7
.LBB69_36:
	v_cmp_gt_u32_e32 vcc, 22, v0
	s_and_saveexec_b64 s[0:1], vcc
	s_cbranch_execz .LBB69_40
; %bb.37:
	v_cmp_eq_f32_e64 s[0:1], s12, 0
	s_and_b64 vcc, exec, s[0:1]
	v_mul_f32_e32 v1, s14, v1
	s_cbranch_vccz .LBB69_41
; %bb.38:
	v_mad_u64_u32 v[2:3], s[0:1], s6, 22, v[0:1]
	v_mov_b32_e32 v3, 0
	v_mov_b32_e32 v4, s17
	v_lshlrev_b64 v[2:3], 2, v[2:3]
	v_add_co_u32_e32 v2, vcc, s16, v2
	v_addc_co_u32_e32 v3, vcc, v4, v3, vcc
	global_store_dword v[2:3], v1, off
	s_cbranch_execnz .LBB69_40
.LBB69_39:
	v_mad_u64_u32 v[2:3], s[0:1], s6, 22, v[0:1]
	v_mov_b32_e32 v3, 0
	v_mov_b32_e32 v0, s17
	v_lshlrev_b64 v[2:3], 2, v[2:3]
	v_add_co_u32_e32 v2, vcc, s16, v2
	v_addc_co_u32_e32 v3, vcc, v0, v3, vcc
	global_load_dword v0, v[2:3], off
	s_waitcnt vmcnt(0)
	v_fmac_f32_e32 v1, s12, v0
	global_store_dword v[2:3], v1, off
.LBB69_40:
	s_endpgm
.LBB69_41:
	s_branch .LBB69_39
	.section	.rodata,"a",@progbits
	.p2align	6, 0x0
	.amdhsa_kernel _ZN9rocsparseL20bsrxmvn_17_32_kernelILj22EflifffEEvT2_20rocsparse_direction_NS_24const_host_device_scalarIT0_EES1_PKS1_PKT1_SA_S7_PKT3_PKT4_S5_PT5_21rocsparse_index_base_b
		.amdhsa_group_segment_fixed_size 1936
		.amdhsa_private_segment_fixed_size 0
		.amdhsa_kernarg_size 96
		.amdhsa_user_sgpr_count 6
		.amdhsa_user_sgpr_private_segment_buffer 1
		.amdhsa_user_sgpr_dispatch_ptr 0
		.amdhsa_user_sgpr_queue_ptr 0
		.amdhsa_user_sgpr_kernarg_segment_ptr 1
		.amdhsa_user_sgpr_dispatch_id 0
		.amdhsa_user_sgpr_flat_scratch_init 0
		.amdhsa_user_sgpr_private_segment_size 0
		.amdhsa_uses_dynamic_stack 0
		.amdhsa_system_sgpr_private_segment_wavefront_offset 0
		.amdhsa_system_sgpr_workgroup_id_x 1
		.amdhsa_system_sgpr_workgroup_id_y 0
		.amdhsa_system_sgpr_workgroup_id_z 0
		.amdhsa_system_sgpr_workgroup_info 0
		.amdhsa_system_vgpr_workitem_id 0
		.amdhsa_next_free_vgpr 14
		.amdhsa_next_free_sgpr 26
		.amdhsa_reserve_vcc 1
		.amdhsa_reserve_flat_scratch 0
		.amdhsa_float_round_mode_32 0
		.amdhsa_float_round_mode_16_64 0
		.amdhsa_float_denorm_mode_32 3
		.amdhsa_float_denorm_mode_16_64 3
		.amdhsa_dx10_clamp 1
		.amdhsa_ieee_mode 1
		.amdhsa_fp16_overflow 0
		.amdhsa_exception_fp_ieee_invalid_op 0
		.amdhsa_exception_fp_denorm_src 0
		.amdhsa_exception_fp_ieee_div_zero 0
		.amdhsa_exception_fp_ieee_overflow 0
		.amdhsa_exception_fp_ieee_underflow 0
		.amdhsa_exception_fp_ieee_inexact 0
		.amdhsa_exception_int_div_zero 0
	.end_amdhsa_kernel
	.section	.text._ZN9rocsparseL20bsrxmvn_17_32_kernelILj22EflifffEEvT2_20rocsparse_direction_NS_24const_host_device_scalarIT0_EES1_PKS1_PKT1_SA_S7_PKT3_PKT4_S5_PT5_21rocsparse_index_base_b,"axG",@progbits,_ZN9rocsparseL20bsrxmvn_17_32_kernelILj22EflifffEEvT2_20rocsparse_direction_NS_24const_host_device_scalarIT0_EES1_PKS1_PKT1_SA_S7_PKT3_PKT4_S5_PT5_21rocsparse_index_base_b,comdat
.Lfunc_end69:
	.size	_ZN9rocsparseL20bsrxmvn_17_32_kernelILj22EflifffEEvT2_20rocsparse_direction_NS_24const_host_device_scalarIT0_EES1_PKS1_PKT1_SA_S7_PKT3_PKT4_S5_PT5_21rocsparse_index_base_b, .Lfunc_end69-_ZN9rocsparseL20bsrxmvn_17_32_kernelILj22EflifffEEvT2_20rocsparse_direction_NS_24const_host_device_scalarIT0_EES1_PKS1_PKT1_SA_S7_PKT3_PKT4_S5_PT5_21rocsparse_index_base_b
                                        ; -- End function
	.set _ZN9rocsparseL20bsrxmvn_17_32_kernelILj22EflifffEEvT2_20rocsparse_direction_NS_24const_host_device_scalarIT0_EES1_PKS1_PKT1_SA_S7_PKT3_PKT4_S5_PT5_21rocsparse_index_base_b.num_vgpr, 14
	.set _ZN9rocsparseL20bsrxmvn_17_32_kernelILj22EflifffEEvT2_20rocsparse_direction_NS_24const_host_device_scalarIT0_EES1_PKS1_PKT1_SA_S7_PKT3_PKT4_S5_PT5_21rocsparse_index_base_b.num_agpr, 0
	.set _ZN9rocsparseL20bsrxmvn_17_32_kernelILj22EflifffEEvT2_20rocsparse_direction_NS_24const_host_device_scalarIT0_EES1_PKS1_PKT1_SA_S7_PKT3_PKT4_S5_PT5_21rocsparse_index_base_b.numbered_sgpr, 26
	.set _ZN9rocsparseL20bsrxmvn_17_32_kernelILj22EflifffEEvT2_20rocsparse_direction_NS_24const_host_device_scalarIT0_EES1_PKS1_PKT1_SA_S7_PKT3_PKT4_S5_PT5_21rocsparse_index_base_b.num_named_barrier, 0
	.set _ZN9rocsparseL20bsrxmvn_17_32_kernelILj22EflifffEEvT2_20rocsparse_direction_NS_24const_host_device_scalarIT0_EES1_PKS1_PKT1_SA_S7_PKT3_PKT4_S5_PT5_21rocsparse_index_base_b.private_seg_size, 0
	.set _ZN9rocsparseL20bsrxmvn_17_32_kernelILj22EflifffEEvT2_20rocsparse_direction_NS_24const_host_device_scalarIT0_EES1_PKS1_PKT1_SA_S7_PKT3_PKT4_S5_PT5_21rocsparse_index_base_b.uses_vcc, 1
	.set _ZN9rocsparseL20bsrxmvn_17_32_kernelILj22EflifffEEvT2_20rocsparse_direction_NS_24const_host_device_scalarIT0_EES1_PKS1_PKT1_SA_S7_PKT3_PKT4_S5_PT5_21rocsparse_index_base_b.uses_flat_scratch, 0
	.set _ZN9rocsparseL20bsrxmvn_17_32_kernelILj22EflifffEEvT2_20rocsparse_direction_NS_24const_host_device_scalarIT0_EES1_PKS1_PKT1_SA_S7_PKT3_PKT4_S5_PT5_21rocsparse_index_base_b.has_dyn_sized_stack, 0
	.set _ZN9rocsparseL20bsrxmvn_17_32_kernelILj22EflifffEEvT2_20rocsparse_direction_NS_24const_host_device_scalarIT0_EES1_PKS1_PKT1_SA_S7_PKT3_PKT4_S5_PT5_21rocsparse_index_base_b.has_recursion, 0
	.set _ZN9rocsparseL20bsrxmvn_17_32_kernelILj22EflifffEEvT2_20rocsparse_direction_NS_24const_host_device_scalarIT0_EES1_PKS1_PKT1_SA_S7_PKT3_PKT4_S5_PT5_21rocsparse_index_base_b.has_indirect_call, 0
	.section	.AMDGPU.csdata,"",@progbits
; Kernel info:
; codeLenInByte = 1316
; TotalNumSgprs: 30
; NumVgprs: 14
; ScratchSize: 0
; MemoryBound: 0
; FloatMode: 240
; IeeeMode: 1
; LDSByteSize: 1936 bytes/workgroup (compile time only)
; SGPRBlocks: 3
; VGPRBlocks: 3
; NumSGPRsForWavesPerEU: 30
; NumVGPRsForWavesPerEU: 14
; Occupancy: 10
; WaveLimiterHint : 1
; COMPUTE_PGM_RSRC2:SCRATCH_EN: 0
; COMPUTE_PGM_RSRC2:USER_SGPR: 6
; COMPUTE_PGM_RSRC2:TRAP_HANDLER: 0
; COMPUTE_PGM_RSRC2:TGID_X_EN: 1
; COMPUTE_PGM_RSRC2:TGID_Y_EN: 0
; COMPUTE_PGM_RSRC2:TGID_Z_EN: 0
; COMPUTE_PGM_RSRC2:TIDIG_COMP_CNT: 0
	.section	.text._ZN9rocsparseL20bsrxmvn_17_32_kernelILj23EflifffEEvT2_20rocsparse_direction_NS_24const_host_device_scalarIT0_EES1_PKS1_PKT1_SA_S7_PKT3_PKT4_S5_PT5_21rocsparse_index_base_b,"axG",@progbits,_ZN9rocsparseL20bsrxmvn_17_32_kernelILj23EflifffEEvT2_20rocsparse_direction_NS_24const_host_device_scalarIT0_EES1_PKS1_PKT1_SA_S7_PKT3_PKT4_S5_PT5_21rocsparse_index_base_b,comdat
	.globl	_ZN9rocsparseL20bsrxmvn_17_32_kernelILj23EflifffEEvT2_20rocsparse_direction_NS_24const_host_device_scalarIT0_EES1_PKS1_PKT1_SA_S7_PKT3_PKT4_S5_PT5_21rocsparse_index_base_b ; -- Begin function _ZN9rocsparseL20bsrxmvn_17_32_kernelILj23EflifffEEvT2_20rocsparse_direction_NS_24const_host_device_scalarIT0_EES1_PKS1_PKT1_SA_S7_PKT3_PKT4_S5_PT5_21rocsparse_index_base_b
	.p2align	8
	.type	_ZN9rocsparseL20bsrxmvn_17_32_kernelILj23EflifffEEvT2_20rocsparse_direction_NS_24const_host_device_scalarIT0_EES1_PKS1_PKT1_SA_S7_PKT3_PKT4_S5_PT5_21rocsparse_index_base_b,@function
_ZN9rocsparseL20bsrxmvn_17_32_kernelILj23EflifffEEvT2_20rocsparse_direction_NS_24const_host_device_scalarIT0_EES1_PKS1_PKT1_SA_S7_PKT3_PKT4_S5_PT5_21rocsparse_index_base_b: ; @_ZN9rocsparseL20bsrxmvn_17_32_kernelILj23EflifffEEvT2_20rocsparse_direction_NS_24const_host_device_scalarIT0_EES1_PKS1_PKT1_SA_S7_PKT3_PKT4_S5_PT5_21rocsparse_index_base_b
; %bb.0:
	s_load_dwordx2 s[18:19], s[4:5], 0x58
	s_load_dwordx2 s[14:15], s[4:5], 0x8
	;; [unrolled: 1-line block ×3, first 2 shown]
	s_waitcnt lgkmcnt(0)
	s_bitcmp1_b32 s19, 0
	s_cselect_b64 s[2:3], -1, 0
	s_xor_b64 s[0:1], s[2:3], -1
	s_and_b64 vcc, exec, s[2:3]
	s_cbranch_vccnz .LBB70_2
; %bb.1:
	s_load_dword s14, s[14:15], 0x0
.LBB70_2:
	s_andn2_b64 vcc, exec, s[0:1]
	s_cbranch_vccnz .LBB70_4
; %bb.3:
	s_load_dword s12, s[12:13], 0x0
.LBB70_4:
	s_waitcnt lgkmcnt(0)
	v_cmp_neq_f32_e64 s[0:1], s14, 0
	v_cmp_neq_f32_e64 s[2:3], s12, 1.0
	s_or_b64 s[0:1], s[0:1], s[2:3]
	s_andn2_b64 vcc, exec, s[0:1]
	s_cbranch_vccnz .LBB70_40
; %bb.5:
	s_load_dwordx4 s[0:3], s[4:5], 0x18
	s_load_dwordx2 s[8:9], s[4:5], 0x28
	s_waitcnt lgkmcnt(0)
	s_cmp_eq_u64 s[0:1], 0
	s_cbranch_scc1 .LBB70_7
; %bb.6:
	s_ashr_i32 s7, s6, 31
	s_lshl_b64 s[6:7], s[6:7], 2
	s_add_u32 s0, s0, s6
	s_addc_u32 s1, s1, s7
	s_load_dword s0, s[0:1], 0x0
	s_waitcnt lgkmcnt(0)
	s_sub_i32 s6, s0, s18
.LBB70_7:
	s_load_dword s7, s[4:5], 0x4
	s_load_dwordx2 s[16:17], s[4:5], 0x50
	v_mul_u32_u24_e32 v1, 0xb22, v0
	v_mov_b32_e32 v2, 23
	v_mul_lo_u16_sdwa v2, v1, v2 dst_sel:DWORD dst_unused:UNUSED_PAD src0_sel:WORD_1 src1_sel:DWORD
	s_waitcnt lgkmcnt(0)
	s_cmp_eq_u32 s7, 1
	s_cselect_b64 s[0:1], -1, 0
	s_cmp_lg_u32 s7, 1
	s_cselect_b64 s[20:21], -1, 0
	s_ashr_i32 s7, s6, 31
	s_lshl_b64 s[10:11], s[6:7], 3
	s_add_u32 s2, s2, s10
	s_addc_u32 s3, s3, s11
	s_add_u32 s7, s2, 8
	s_addc_u32 s13, s3, 0
	;; [unrolled: 2-line block ×3, first 2 shown]
	s_cmp_eq_u64 s[8:9], 0
	s_cselect_b32 s9, s13, s11
	s_cselect_b32 s8, s7, s10
	s_load_dwordx2 s[22:23], s[8:9], 0x0
	s_load_dwordx2 s[24:25], s[2:3], 0x0
	v_sub_u16_e32 v8, v0, v2
	v_mov_b32_e32 v7, 0
	v_lshlrev_b32_e32 v6, 2, v0
	s_waitcnt lgkmcnt(0)
	v_mov_b32_e32 v2, s22
	v_mov_b32_e32 v3, s23
	v_cmp_ge_i64_e32 vcc, s[24:25], v[2:3]
	s_cbranch_vccnz .LBB70_12
; %bb.8:
	s_load_dwordx4 s[8:11], s[4:5], 0x30
	s_load_dwordx2 s[2:3], s[4:5], 0x40
	s_sub_u32 s4, s22, s18
	s_mov_b32 s7, 0xffff
	s_subb_u32 s5, s23, 0
	s_movk_i32 s13, 0x211
	v_and_b32_sdwa v1, s7, v1 dst_sel:DWORD dst_unused:UNUSED_PAD src0_sel:DWORD src1_sel:WORD_1
	v_subrev_u32_e32 v2, 23, v1
	v_cmp_gt_u32_e32 vcc, s13, v0
	s_sub_u32 s22, s24, s18
	v_cndmask_b32_e32 v1, v2, v1, vcc
	s_subb_u32 s23, s25, 0
	v_cndmask_b32_e64 v1, v8, v1, s[0:1]
	s_mul_i32 s0, s23, 0x844
	s_mul_hi_u32 s1, s22, 0x844
	s_add_i32 s1, s1, s0
	s_mul_i32 s0, s22, 0x844
	s_waitcnt lgkmcnt(0)
	s_add_u32 s0, s10, s0
	s_addc_u32 s1, s11, s1
	v_mov_b32_e32 v3, s1
	v_add_co_u32_e32 v2, vcc, s0, v6
	v_addc_co_u32_e32 v3, vcc, 0, v3, vcc
	s_movk_i32 s0, 0x210
	v_cmp_lt_u32_e32 vcc, s0, v0
	v_cndmask_b32_e64 v9, 0, 1, vcc
	v_mov_b32_e32 v4, s25
	v_add_co_u32_e32 v5, vcc, s24, v9
	v_addc_co_u32_e32 v10, vcc, 0, v4, vcc
	v_subrev_co_u32_e32 v4, vcc, s18, v5
	v_subbrev_co_u32_e32 v5, vcc, 0, v10, vcc
	v_lshlrev_b64 v[4:5], 2, v[4:5]
	v_mov_b32_e32 v10, s9
	v_add_co_u32_e32 v4, vcc, s8, v4
	v_mov_b32_e32 v7, 0
	v_addc_co_u32_e32 v5, vcc, v10, v5, vcc
	s_branch .LBB70_10
.LBB70_9:                               ;   in Loop: Header=BB70_10 Depth=1
	s_or_b64 exec, exec, s[0:1]
	s_add_u32 s22, s22, 1
	v_mov_b32_e32 v11, s5
	s_addc_u32 s23, s23, 0
	v_mov_b32_e32 v10, s4
	v_cmp_lt_i64_e32 vcc, s[22:23], v[10:11]
	v_add_co_u32_e64 v4, s[0:1], 4, v4
	v_addc_co_u32_e64 v5, s[0:1], 0, v5, s[0:1]
	s_cbranch_vccz .LBB70_12
.LBB70_10:                              ; =>This Inner Loop Header: Depth=1
	v_mov_b32_e32 v11, s23
	v_add_co_u32_e32 v10, vcc, s22, v9
	v_addc_co_u32_e32 v11, vcc, 0, v11, vcc
	v_cmp_gt_i64_e32 vcc, s[4:5], v[10:11]
	s_and_saveexec_b64 s[0:1], vcc
	s_cbranch_execz .LBB70_9
; %bb.11:                               ;   in Loop: Header=BB70_10 Depth=1
	global_load_dword v10, v[4:5], off
	v_mov_b32_e32 v13, s3
	global_load_dword v12, v[2:3], off
	s_waitcnt vmcnt(1)
	v_subrev_u32_e32 v10, s18, v10
	v_mad_u64_u32 v[10:11], s[8:9], v10, 23, v[1:2]
	v_ashrrev_i32_e32 v11, 31, v10
	v_lshlrev_b64 v[10:11], 2, v[10:11]
	v_add_co_u32_e32 v10, vcc, s2, v10
	v_addc_co_u32_e32 v11, vcc, v13, v11, vcc
	global_load_dword v10, v[10:11], off
	v_add_co_u32_e32 v2, vcc, 0x844, v2
	v_addc_co_u32_e32 v3, vcc, 0, v3, vcc
	s_waitcnt vmcnt(0)
	v_fmac_f32_e32 v7, v12, v10
	s_branch .LBB70_9
.LBB70_12:
	s_and_b64 vcc, exec, s[20:21]
	ds_write_b32 v6, v7
	s_waitcnt lgkmcnt(0)
	s_barrier
	s_cbranch_vccz .LBB70_24
; %bb.13:
	v_cmp_gt_u16_e32 vcc, 7, v8
	s_and_saveexec_b64 s[0:1], vcc
	s_cbranch_execz .LBB70_15
; %bb.14:
	ds_read2_b32 v[1:2], v6 offset1:16
	s_waitcnt lgkmcnt(0)
	v_add_f32_e32 v1, v2, v1
	ds_write_b32 v6, v1
.LBB70_15:
	s_or_b64 exec, exec, s[0:1]
	v_cmp_gt_u16_e32 vcc, 8, v8
	s_waitcnt lgkmcnt(0)
	s_barrier
	s_and_saveexec_b64 s[0:1], vcc
	s_cbranch_execz .LBB70_17
; %bb.16:
	ds_read2_b32 v[1:2], v6 offset1:8
	s_waitcnt lgkmcnt(0)
	v_add_f32_e32 v1, v2, v1
	ds_write_b32 v6, v1
.LBB70_17:
	s_or_b64 exec, exec, s[0:1]
	v_cmp_gt_u16_e32 vcc, 4, v8
	s_waitcnt lgkmcnt(0)
	s_barrier
	;; [unrolled: 12-line block ×3, first 2 shown]
	s_and_saveexec_b64 s[0:1], vcc
	s_cbranch_execz .LBB70_21
; %bb.20:
	ds_read2_b32 v[1:2], v6 offset1:2
	s_waitcnt lgkmcnt(0)
	v_add_f32_e32 v1, v2, v1
	ds_write_b32 v6, v1
.LBB70_21:
	s_or_b64 exec, exec, s[0:1]
	v_cmp_gt_u32_e32 vcc, 23, v0
	v_mov_b32_e32 v1, v7
	s_waitcnt lgkmcnt(0)
	s_barrier
	s_and_saveexec_b64 s[0:1], vcc
	s_cbranch_execz .LBB70_23
; %bb.22:
	s_movk_i32 s2, 0x58
	v_mad_u32_u24 v1, v0, s2, v6
	ds_read2_b32 v[1:2], v1 offset1:1
	s_waitcnt lgkmcnt(0)
	v_add_f32_e32 v1, v1, v2
.LBB70_23:
	s_or_b64 exec, exec, s[0:1]
	s_branch .LBB70_36
.LBB70_24:
                                        ; implicit-def: $vgpr1
	s_cbranch_execz .LBB70_36
; %bb.25:
	s_movk_i32 s0, 0xa1
	v_cmp_gt_u32_e32 vcc, s0, v0
	s_and_saveexec_b64 s[0:1], vcc
	s_cbranch_execz .LBB70_27
; %bb.26:
	ds_read_b32 v1, v6 offset:1472
	ds_read_b32 v2, v6
	s_waitcnt lgkmcnt(0)
	v_add_f32_e32 v1, v1, v2
	ds_write_b32 v6, v1
.LBB70_27:
	s_or_b64 exec, exec, s[0:1]
	s_movk_i32 s0, 0xb8
	v_cmp_gt_u32_e32 vcc, s0, v0
	s_waitcnt lgkmcnt(0)
	s_barrier
	s_and_saveexec_b64 s[0:1], vcc
	s_cbranch_execz .LBB70_29
; %bb.28:
	ds_read2_b32 v[1:2], v6 offset1:184
	s_waitcnt lgkmcnt(0)
	v_add_f32_e32 v1, v2, v1
	ds_write_b32 v6, v1
.LBB70_29:
	s_or_b64 exec, exec, s[0:1]
	s_movk_i32 s0, 0x5c
	v_cmp_gt_u32_e32 vcc, s0, v0
	s_waitcnt lgkmcnt(0)
	s_barrier
	s_and_saveexec_b64 s[0:1], vcc
	s_cbranch_execz .LBB70_31
; %bb.30:
	ds_read2_b32 v[1:2], v6 offset1:92
	s_waitcnt lgkmcnt(0)
	v_add_f32_e32 v1, v2, v1
	ds_write_b32 v6, v1
.LBB70_31:
	s_or_b64 exec, exec, s[0:1]
	v_cmp_gt_u32_e32 vcc, 46, v0
	s_waitcnt lgkmcnt(0)
	s_barrier
	s_and_saveexec_b64 s[0:1], vcc
	s_cbranch_execz .LBB70_33
; %bb.32:
	ds_read2_b32 v[1:2], v6 offset1:46
	s_waitcnt lgkmcnt(0)
	v_add_f32_e32 v1, v2, v1
	ds_write_b32 v6, v1
.LBB70_33:
	s_or_b64 exec, exec, s[0:1]
	v_cmp_gt_u32_e32 vcc, 23, v0
	s_waitcnt lgkmcnt(0)
	s_and_saveexec_b64 s[0:1], vcc
	s_cbranch_execz .LBB70_35
; %bb.34:
	ds_read2_b32 v[1:2], v6 offset1:23
	s_waitcnt lgkmcnt(0)
	v_add_f32_e32 v7, v1, v2
.LBB70_35:
	s_or_b64 exec, exec, s[0:1]
	v_mov_b32_e32 v1, v7
.LBB70_36:
	v_cmp_gt_u32_e32 vcc, 23, v0
	s_and_saveexec_b64 s[0:1], vcc
	s_cbranch_execz .LBB70_40
; %bb.37:
	v_cmp_eq_f32_e64 s[0:1], s12, 0
	s_and_b64 vcc, exec, s[0:1]
	v_mul_f32_e32 v1, s14, v1
	s_cbranch_vccz .LBB70_41
; %bb.38:
	v_mad_u64_u32 v[2:3], s[0:1], s6, 23, v[0:1]
	v_mov_b32_e32 v3, 0
	v_mov_b32_e32 v4, s17
	v_lshlrev_b64 v[2:3], 2, v[2:3]
	v_add_co_u32_e32 v2, vcc, s16, v2
	v_addc_co_u32_e32 v3, vcc, v4, v3, vcc
	global_store_dword v[2:3], v1, off
	s_cbranch_execnz .LBB70_40
.LBB70_39:
	v_mad_u64_u32 v[2:3], s[0:1], s6, 23, v[0:1]
	v_mov_b32_e32 v3, 0
	v_mov_b32_e32 v0, s17
	v_lshlrev_b64 v[2:3], 2, v[2:3]
	v_add_co_u32_e32 v2, vcc, s16, v2
	v_addc_co_u32_e32 v3, vcc, v0, v3, vcc
	global_load_dword v0, v[2:3], off
	s_waitcnt vmcnt(0)
	v_fmac_f32_e32 v1, s12, v0
	global_store_dword v[2:3], v1, off
.LBB70_40:
	s_endpgm
.LBB70_41:
	s_branch .LBB70_39
	.section	.rodata,"a",@progbits
	.p2align	6, 0x0
	.amdhsa_kernel _ZN9rocsparseL20bsrxmvn_17_32_kernelILj23EflifffEEvT2_20rocsparse_direction_NS_24const_host_device_scalarIT0_EES1_PKS1_PKT1_SA_S7_PKT3_PKT4_S5_PT5_21rocsparse_index_base_b
		.amdhsa_group_segment_fixed_size 2116
		.amdhsa_private_segment_fixed_size 0
		.amdhsa_kernarg_size 96
		.amdhsa_user_sgpr_count 6
		.amdhsa_user_sgpr_private_segment_buffer 1
		.amdhsa_user_sgpr_dispatch_ptr 0
		.amdhsa_user_sgpr_queue_ptr 0
		.amdhsa_user_sgpr_kernarg_segment_ptr 1
		.amdhsa_user_sgpr_dispatch_id 0
		.amdhsa_user_sgpr_flat_scratch_init 0
		.amdhsa_user_sgpr_private_segment_size 0
		.amdhsa_uses_dynamic_stack 0
		.amdhsa_system_sgpr_private_segment_wavefront_offset 0
		.amdhsa_system_sgpr_workgroup_id_x 1
		.amdhsa_system_sgpr_workgroup_id_y 0
		.amdhsa_system_sgpr_workgroup_id_z 0
		.amdhsa_system_sgpr_workgroup_info 0
		.amdhsa_system_vgpr_workitem_id 0
		.amdhsa_next_free_vgpr 25
		.amdhsa_next_free_sgpr 61
		.amdhsa_reserve_vcc 1
		.amdhsa_reserve_flat_scratch 0
		.amdhsa_float_round_mode_32 0
		.amdhsa_float_round_mode_16_64 0
		.amdhsa_float_denorm_mode_32 3
		.amdhsa_float_denorm_mode_16_64 3
		.amdhsa_dx10_clamp 1
		.amdhsa_ieee_mode 1
		.amdhsa_fp16_overflow 0
		.amdhsa_exception_fp_ieee_invalid_op 0
		.amdhsa_exception_fp_denorm_src 0
		.amdhsa_exception_fp_ieee_div_zero 0
		.amdhsa_exception_fp_ieee_overflow 0
		.amdhsa_exception_fp_ieee_underflow 0
		.amdhsa_exception_fp_ieee_inexact 0
		.amdhsa_exception_int_div_zero 0
	.end_amdhsa_kernel
	.section	.text._ZN9rocsparseL20bsrxmvn_17_32_kernelILj23EflifffEEvT2_20rocsparse_direction_NS_24const_host_device_scalarIT0_EES1_PKS1_PKT1_SA_S7_PKT3_PKT4_S5_PT5_21rocsparse_index_base_b,"axG",@progbits,_ZN9rocsparseL20bsrxmvn_17_32_kernelILj23EflifffEEvT2_20rocsparse_direction_NS_24const_host_device_scalarIT0_EES1_PKS1_PKT1_SA_S7_PKT3_PKT4_S5_PT5_21rocsparse_index_base_b,comdat
.Lfunc_end70:
	.size	_ZN9rocsparseL20bsrxmvn_17_32_kernelILj23EflifffEEvT2_20rocsparse_direction_NS_24const_host_device_scalarIT0_EES1_PKS1_PKT1_SA_S7_PKT3_PKT4_S5_PT5_21rocsparse_index_base_b, .Lfunc_end70-_ZN9rocsparseL20bsrxmvn_17_32_kernelILj23EflifffEEvT2_20rocsparse_direction_NS_24const_host_device_scalarIT0_EES1_PKS1_PKT1_SA_S7_PKT3_PKT4_S5_PT5_21rocsparse_index_base_b
                                        ; -- End function
	.set _ZN9rocsparseL20bsrxmvn_17_32_kernelILj23EflifffEEvT2_20rocsparse_direction_NS_24const_host_device_scalarIT0_EES1_PKS1_PKT1_SA_S7_PKT3_PKT4_S5_PT5_21rocsparse_index_base_b.num_vgpr, 14
	.set _ZN9rocsparseL20bsrxmvn_17_32_kernelILj23EflifffEEvT2_20rocsparse_direction_NS_24const_host_device_scalarIT0_EES1_PKS1_PKT1_SA_S7_PKT3_PKT4_S5_PT5_21rocsparse_index_base_b.num_agpr, 0
	.set _ZN9rocsparseL20bsrxmvn_17_32_kernelILj23EflifffEEvT2_20rocsparse_direction_NS_24const_host_device_scalarIT0_EES1_PKS1_PKT1_SA_S7_PKT3_PKT4_S5_PT5_21rocsparse_index_base_b.numbered_sgpr, 26
	.set _ZN9rocsparseL20bsrxmvn_17_32_kernelILj23EflifffEEvT2_20rocsparse_direction_NS_24const_host_device_scalarIT0_EES1_PKS1_PKT1_SA_S7_PKT3_PKT4_S5_PT5_21rocsparse_index_base_b.num_named_barrier, 0
	.set _ZN9rocsparseL20bsrxmvn_17_32_kernelILj23EflifffEEvT2_20rocsparse_direction_NS_24const_host_device_scalarIT0_EES1_PKS1_PKT1_SA_S7_PKT3_PKT4_S5_PT5_21rocsparse_index_base_b.private_seg_size, 0
	.set _ZN9rocsparseL20bsrxmvn_17_32_kernelILj23EflifffEEvT2_20rocsparse_direction_NS_24const_host_device_scalarIT0_EES1_PKS1_PKT1_SA_S7_PKT3_PKT4_S5_PT5_21rocsparse_index_base_b.uses_vcc, 1
	.set _ZN9rocsparseL20bsrxmvn_17_32_kernelILj23EflifffEEvT2_20rocsparse_direction_NS_24const_host_device_scalarIT0_EES1_PKS1_PKT1_SA_S7_PKT3_PKT4_S5_PT5_21rocsparse_index_base_b.uses_flat_scratch, 0
	.set _ZN9rocsparseL20bsrxmvn_17_32_kernelILj23EflifffEEvT2_20rocsparse_direction_NS_24const_host_device_scalarIT0_EES1_PKS1_PKT1_SA_S7_PKT3_PKT4_S5_PT5_21rocsparse_index_base_b.has_dyn_sized_stack, 0
	.set _ZN9rocsparseL20bsrxmvn_17_32_kernelILj23EflifffEEvT2_20rocsparse_direction_NS_24const_host_device_scalarIT0_EES1_PKS1_PKT1_SA_S7_PKT3_PKT4_S5_PT5_21rocsparse_index_base_b.has_recursion, 0
	.set _ZN9rocsparseL20bsrxmvn_17_32_kernelILj23EflifffEEvT2_20rocsparse_direction_NS_24const_host_device_scalarIT0_EES1_PKS1_PKT1_SA_S7_PKT3_PKT4_S5_PT5_21rocsparse_index_base_b.has_indirect_call, 0
	.section	.AMDGPU.csdata,"",@progbits
; Kernel info:
; codeLenInByte = 1312
; TotalNumSgprs: 30
; NumVgprs: 14
; ScratchSize: 0
; MemoryBound: 0
; FloatMode: 240
; IeeeMode: 1
; LDSByteSize: 2116 bytes/workgroup (compile time only)
; SGPRBlocks: 8
; VGPRBlocks: 6
; NumSGPRsForWavesPerEU: 65
; NumVGPRsForWavesPerEU: 25
; Occupancy: 9
; WaveLimiterHint : 1
; COMPUTE_PGM_RSRC2:SCRATCH_EN: 0
; COMPUTE_PGM_RSRC2:USER_SGPR: 6
; COMPUTE_PGM_RSRC2:TRAP_HANDLER: 0
; COMPUTE_PGM_RSRC2:TGID_X_EN: 1
; COMPUTE_PGM_RSRC2:TGID_Y_EN: 0
; COMPUTE_PGM_RSRC2:TGID_Z_EN: 0
; COMPUTE_PGM_RSRC2:TIDIG_COMP_CNT: 0
	.section	.text._ZN9rocsparseL20bsrxmvn_17_32_kernelILj24EflifffEEvT2_20rocsparse_direction_NS_24const_host_device_scalarIT0_EES1_PKS1_PKT1_SA_S7_PKT3_PKT4_S5_PT5_21rocsparse_index_base_b,"axG",@progbits,_ZN9rocsparseL20bsrxmvn_17_32_kernelILj24EflifffEEvT2_20rocsparse_direction_NS_24const_host_device_scalarIT0_EES1_PKS1_PKT1_SA_S7_PKT3_PKT4_S5_PT5_21rocsparse_index_base_b,comdat
	.globl	_ZN9rocsparseL20bsrxmvn_17_32_kernelILj24EflifffEEvT2_20rocsparse_direction_NS_24const_host_device_scalarIT0_EES1_PKS1_PKT1_SA_S7_PKT3_PKT4_S5_PT5_21rocsparse_index_base_b ; -- Begin function _ZN9rocsparseL20bsrxmvn_17_32_kernelILj24EflifffEEvT2_20rocsparse_direction_NS_24const_host_device_scalarIT0_EES1_PKS1_PKT1_SA_S7_PKT3_PKT4_S5_PT5_21rocsparse_index_base_b
	.p2align	8
	.type	_ZN9rocsparseL20bsrxmvn_17_32_kernelILj24EflifffEEvT2_20rocsparse_direction_NS_24const_host_device_scalarIT0_EES1_PKS1_PKT1_SA_S7_PKT3_PKT4_S5_PT5_21rocsparse_index_base_b,@function
_ZN9rocsparseL20bsrxmvn_17_32_kernelILj24EflifffEEvT2_20rocsparse_direction_NS_24const_host_device_scalarIT0_EES1_PKS1_PKT1_SA_S7_PKT3_PKT4_S5_PT5_21rocsparse_index_base_b: ; @_ZN9rocsparseL20bsrxmvn_17_32_kernelILj24EflifffEEvT2_20rocsparse_direction_NS_24const_host_device_scalarIT0_EES1_PKS1_PKT1_SA_S7_PKT3_PKT4_S5_PT5_21rocsparse_index_base_b
; %bb.0:
	s_load_dwordx2 s[18:19], s[4:5], 0x58
	s_load_dwordx2 s[14:15], s[4:5], 0x8
	;; [unrolled: 1-line block ×3, first 2 shown]
	s_waitcnt lgkmcnt(0)
	s_bitcmp1_b32 s19, 0
	s_cselect_b64 s[2:3], -1, 0
	s_xor_b64 s[0:1], s[2:3], -1
	s_and_b64 vcc, exec, s[2:3]
	s_cbranch_vccnz .LBB71_2
; %bb.1:
	s_load_dword s14, s[14:15], 0x0
.LBB71_2:
	s_andn2_b64 vcc, exec, s[0:1]
	s_cbranch_vccnz .LBB71_4
; %bb.3:
	s_load_dword s12, s[12:13], 0x0
.LBB71_4:
	s_waitcnt lgkmcnt(0)
	v_cmp_neq_f32_e64 s[0:1], s14, 0
	v_cmp_neq_f32_e64 s[2:3], s12, 1.0
	s_or_b64 s[0:1], s[0:1], s[2:3]
	s_andn2_b64 vcc, exec, s[0:1]
	s_cbranch_vccnz .LBB71_40
; %bb.5:
	s_load_dwordx4 s[0:3], s[4:5], 0x18
	s_load_dwordx2 s[8:9], s[4:5], 0x28
	s_waitcnt lgkmcnt(0)
	s_cmp_eq_u64 s[0:1], 0
	s_cbranch_scc1 .LBB71_7
; %bb.6:
	s_ashr_i32 s7, s6, 31
	s_lshl_b64 s[6:7], s[6:7], 2
	s_add_u32 s0, s0, s6
	s_addc_u32 s1, s1, s7
	s_load_dword s0, s[0:1], 0x0
	s_waitcnt lgkmcnt(0)
	s_sub_i32 s6, s0, s18
.LBB71_7:
	s_load_dword s7, s[4:5], 0x4
	s_load_dwordx2 s[16:17], s[4:5], 0x50
	v_mul_u32_u24_e32 v1, 0xaab, v0
	v_mov_b32_e32 v2, 24
	v_mul_lo_u16_sdwa v2, v1, v2 dst_sel:DWORD dst_unused:UNUSED_PAD src0_sel:WORD_1 src1_sel:DWORD
	s_waitcnt lgkmcnt(0)
	s_cmp_eq_u32 s7, 1
	s_cselect_b64 s[0:1], -1, 0
	s_cmp_lg_u32 s7, 1
	s_cselect_b64 s[20:21], -1, 0
	s_ashr_i32 s7, s6, 31
	s_lshl_b64 s[10:11], s[6:7], 3
	s_add_u32 s2, s2, s10
	s_addc_u32 s3, s3, s11
	s_add_u32 s7, s2, 8
	s_addc_u32 s13, s3, 0
	;; [unrolled: 2-line block ×3, first 2 shown]
	s_cmp_eq_u64 s[8:9], 0
	s_cselect_b32 s9, s13, s11
	s_cselect_b32 s8, s7, s10
	s_load_dwordx2 s[22:23], s[8:9], 0x0
	s_load_dwordx2 s[24:25], s[2:3], 0x0
	v_sub_u16_e32 v8, v0, v2
	v_mov_b32_e32 v7, 0
	v_lshlrev_b32_e32 v6, 2, v0
	s_waitcnt lgkmcnt(0)
	v_mov_b32_e32 v2, s22
	v_mov_b32_e32 v3, s23
	v_cmp_ge_i64_e32 vcc, s[24:25], v[2:3]
	s_cbranch_vccnz .LBB71_12
; %bb.8:
	s_load_dwordx4 s[8:11], s[4:5], 0x30
	s_load_dwordx2 s[2:3], s[4:5], 0x40
	s_sub_u32 s4, s22, s18
	s_mov_b32 s7, 0xffff
	s_subb_u32 s5, s23, 0
	s_movk_i32 s13, 0x240
	v_and_b32_sdwa v1, s7, v1 dst_sel:DWORD dst_unused:UNUSED_PAD src0_sel:DWORD src1_sel:WORD_1
	v_subrev_u32_e32 v2, 24, v1
	v_cmp_gt_u32_e32 vcc, s13, v0
	s_sub_u32 s22, s24, s18
	v_cndmask_b32_e32 v1, v2, v1, vcc
	s_subb_u32 s23, s25, 0
	v_cndmask_b32_e64 v1, v8, v1, s[0:1]
	s_mul_i32 s0, s23, 0x900
	s_mul_hi_u32 s1, s22, 0x900
	s_add_i32 s1, s1, s0
	s_mul_i32 s0, s22, 0x900
	s_waitcnt lgkmcnt(0)
	s_add_u32 s0, s10, s0
	s_addc_u32 s1, s11, s1
	v_mov_b32_e32 v3, s1
	v_add_co_u32_e32 v2, vcc, s0, v6
	v_addc_co_u32_e32 v3, vcc, 0, v3, vcc
	s_movk_i32 s0, 0x23f
	v_cmp_lt_u32_e32 vcc, s0, v0
	v_cndmask_b32_e64 v9, 0, 1, vcc
	v_mov_b32_e32 v4, s25
	v_add_co_u32_e32 v5, vcc, s24, v9
	v_addc_co_u32_e32 v10, vcc, 0, v4, vcc
	v_subrev_co_u32_e32 v4, vcc, s18, v5
	v_subbrev_co_u32_e32 v5, vcc, 0, v10, vcc
	v_lshlrev_b64 v[4:5], 2, v[4:5]
	v_mov_b32_e32 v10, s9
	v_add_co_u32_e32 v4, vcc, s8, v4
	v_mov_b32_e32 v7, 0
	v_addc_co_u32_e32 v5, vcc, v10, v5, vcc
	s_branch .LBB71_10
.LBB71_9:                               ;   in Loop: Header=BB71_10 Depth=1
	s_or_b64 exec, exec, s[0:1]
	s_add_u32 s22, s22, 1
	v_mov_b32_e32 v11, s5
	s_addc_u32 s23, s23, 0
	v_mov_b32_e32 v10, s4
	v_cmp_lt_i64_e32 vcc, s[22:23], v[10:11]
	v_add_co_u32_e64 v4, s[0:1], 4, v4
	v_addc_co_u32_e64 v5, s[0:1], 0, v5, s[0:1]
	s_cbranch_vccz .LBB71_12
.LBB71_10:                              ; =>This Inner Loop Header: Depth=1
	v_mov_b32_e32 v11, s23
	v_add_co_u32_e32 v10, vcc, s22, v9
	v_addc_co_u32_e32 v11, vcc, 0, v11, vcc
	v_cmp_gt_i64_e32 vcc, s[4:5], v[10:11]
	s_and_saveexec_b64 s[0:1], vcc
	s_cbranch_execz .LBB71_9
; %bb.11:                               ;   in Loop: Header=BB71_10 Depth=1
	global_load_dword v10, v[4:5], off
	v_mov_b32_e32 v13, s3
	global_load_dword v12, v[2:3], off
	s_waitcnt vmcnt(1)
	v_subrev_u32_e32 v10, s18, v10
	v_mad_u64_u32 v[10:11], s[8:9], v10, 24, v[1:2]
	v_ashrrev_i32_e32 v11, 31, v10
	v_lshlrev_b64 v[10:11], 2, v[10:11]
	v_add_co_u32_e32 v10, vcc, s2, v10
	v_addc_co_u32_e32 v11, vcc, v13, v11, vcc
	global_load_dword v10, v[10:11], off
	v_add_co_u32_e32 v2, vcc, 0x900, v2
	v_addc_co_u32_e32 v3, vcc, 0, v3, vcc
	s_waitcnt vmcnt(0)
	v_fmac_f32_e32 v7, v12, v10
	s_branch .LBB71_9
.LBB71_12:
	s_and_b64 vcc, exec, s[20:21]
	ds_write_b32 v6, v7
	s_waitcnt lgkmcnt(0)
	s_barrier
	s_cbranch_vccz .LBB71_24
; %bb.13:
	v_cmp_gt_u16_e32 vcc, 8, v8
	s_and_saveexec_b64 s[0:1], vcc
	s_cbranch_execz .LBB71_15
; %bb.14:
	ds_read2_b32 v[1:2], v6 offset1:16
	s_waitcnt lgkmcnt(0)
	v_add_f32_e32 v1, v2, v1
	ds_write_b32 v6, v1
.LBB71_15:
	s_or_b64 exec, exec, s[0:1]
	s_waitcnt lgkmcnt(0)
	s_barrier
	s_and_saveexec_b64 s[0:1], vcc
	s_cbranch_execz .LBB71_17
; %bb.16:
	ds_read2_b32 v[1:2], v6 offset1:8
	s_waitcnt lgkmcnt(0)
	v_add_f32_e32 v1, v2, v1
	ds_write_b32 v6, v1
.LBB71_17:
	s_or_b64 exec, exec, s[0:1]
	v_cmp_gt_u16_e32 vcc, 4, v8
	s_waitcnt lgkmcnt(0)
	s_barrier
	s_and_saveexec_b64 s[0:1], vcc
	s_cbranch_execz .LBB71_19
; %bb.18:
	ds_read2_b32 v[1:2], v6 offset1:4
	s_waitcnt lgkmcnt(0)
	v_add_f32_e32 v1, v2, v1
	ds_write_b32 v6, v1
.LBB71_19:
	s_or_b64 exec, exec, s[0:1]
	v_cmp_gt_u16_e32 vcc, 2, v8
	s_waitcnt lgkmcnt(0)
	s_barrier
	s_and_saveexec_b64 s[0:1], vcc
	s_cbranch_execz .LBB71_21
; %bb.20:
	ds_read2_b32 v[1:2], v6 offset1:2
	s_waitcnt lgkmcnt(0)
	v_add_f32_e32 v1, v2, v1
	ds_write_b32 v6, v1
.LBB71_21:
	s_or_b64 exec, exec, s[0:1]
	v_cmp_gt_u32_e32 vcc, 24, v0
	v_mov_b32_e32 v1, v7
	s_waitcnt lgkmcnt(0)
	s_barrier
	s_and_saveexec_b64 s[0:1], vcc
	s_cbranch_execz .LBB71_23
; %bb.22:
	s_movk_i32 s2, 0x5c
	v_mad_u32_u24 v1, v0, s2, v6
	ds_read_b64 v[1:2], v1
	s_waitcnt lgkmcnt(0)
	v_add_f32_e32 v1, v1, v2
.LBB71_23:
	s_or_b64 exec, exec, s[0:1]
	s_branch .LBB71_36
.LBB71_24:
                                        ; implicit-def: $vgpr1
	s_cbranch_execz .LBB71_36
; %bb.25:
	s_movk_i32 s0, 0xc0
	v_cmp_gt_u32_e32 vcc, s0, v0
	s_and_saveexec_b64 s[0:1], vcc
	s_cbranch_execz .LBB71_27
; %bb.26:
	ds_read2st64_b32 v[1:2], v6 offset1:6
	s_waitcnt lgkmcnt(0)
	v_add_f32_e32 v1, v2, v1
	ds_write_b32 v6, v1
.LBB71_27:
	s_or_b64 exec, exec, s[0:1]
	s_waitcnt lgkmcnt(0)
	s_barrier
	s_and_saveexec_b64 s[0:1], vcc
	s_cbranch_execz .LBB71_29
; %bb.28:
	ds_read2st64_b32 v[1:2], v6 offset1:3
	s_waitcnt lgkmcnt(0)
	v_add_f32_e32 v1, v2, v1
	ds_write_b32 v6, v1
.LBB71_29:
	s_or_b64 exec, exec, s[0:1]
	s_movk_i32 s0, 0x60
	v_cmp_gt_u32_e32 vcc, s0, v0
	s_waitcnt lgkmcnt(0)
	s_barrier
	s_and_saveexec_b64 s[0:1], vcc
	s_cbranch_execz .LBB71_31
; %bb.30:
	ds_read2_b32 v[1:2], v6 offset1:96
	s_waitcnt lgkmcnt(0)
	v_add_f32_e32 v1, v2, v1
	ds_write_b32 v6, v1
.LBB71_31:
	s_or_b64 exec, exec, s[0:1]
	v_cmp_gt_u32_e32 vcc, 48, v0
	s_waitcnt lgkmcnt(0)
	s_barrier
	s_and_saveexec_b64 s[0:1], vcc
	s_cbranch_execz .LBB71_33
; %bb.32:
	ds_read2_b32 v[1:2], v6 offset1:48
	s_waitcnt lgkmcnt(0)
	v_add_f32_e32 v1, v2, v1
	ds_write_b32 v6, v1
.LBB71_33:
	s_or_b64 exec, exec, s[0:1]
	v_cmp_gt_u32_e32 vcc, 24, v0
	s_waitcnt lgkmcnt(0)
	s_and_saveexec_b64 s[0:1], vcc
	s_cbranch_execz .LBB71_35
; %bb.34:
	ds_read2_b32 v[1:2], v6 offset1:24
	s_waitcnt lgkmcnt(0)
	v_add_f32_e32 v7, v1, v2
.LBB71_35:
	s_or_b64 exec, exec, s[0:1]
	v_mov_b32_e32 v1, v7
.LBB71_36:
	v_cmp_gt_u32_e32 vcc, 24, v0
	s_and_saveexec_b64 s[0:1], vcc
	s_cbranch_execz .LBB71_40
; %bb.37:
	v_cmp_eq_f32_e64 s[0:1], s12, 0
	s_and_b64 vcc, exec, s[0:1]
	v_mul_f32_e32 v1, s14, v1
	s_cbranch_vccz .LBB71_41
; %bb.38:
	v_mad_u64_u32 v[2:3], s[0:1], s6, 24, v[0:1]
	v_mov_b32_e32 v3, 0
	v_mov_b32_e32 v4, s17
	v_lshlrev_b64 v[2:3], 2, v[2:3]
	v_add_co_u32_e32 v2, vcc, s16, v2
	v_addc_co_u32_e32 v3, vcc, v4, v3, vcc
	global_store_dword v[2:3], v1, off
	s_cbranch_execnz .LBB71_40
.LBB71_39:
	v_mad_u64_u32 v[2:3], s[0:1], s6, 24, v[0:1]
	v_mov_b32_e32 v3, 0
	v_mov_b32_e32 v0, s17
	v_lshlrev_b64 v[2:3], 2, v[2:3]
	v_add_co_u32_e32 v2, vcc, s16, v2
	v_addc_co_u32_e32 v3, vcc, v0, v3, vcc
	global_load_dword v0, v[2:3], off
	s_waitcnt vmcnt(0)
	v_fmac_f32_e32 v1, s12, v0
	global_store_dword v[2:3], v1, off
.LBB71_40:
	s_endpgm
.LBB71_41:
	s_branch .LBB71_39
	.section	.rodata,"a",@progbits
	.p2align	6, 0x0
	.amdhsa_kernel _ZN9rocsparseL20bsrxmvn_17_32_kernelILj24EflifffEEvT2_20rocsparse_direction_NS_24const_host_device_scalarIT0_EES1_PKS1_PKT1_SA_S7_PKT3_PKT4_S5_PT5_21rocsparse_index_base_b
		.amdhsa_group_segment_fixed_size 2304
		.amdhsa_private_segment_fixed_size 0
		.amdhsa_kernarg_size 96
		.amdhsa_user_sgpr_count 6
		.amdhsa_user_sgpr_private_segment_buffer 1
		.amdhsa_user_sgpr_dispatch_ptr 0
		.amdhsa_user_sgpr_queue_ptr 0
		.amdhsa_user_sgpr_kernarg_segment_ptr 1
		.amdhsa_user_sgpr_dispatch_id 0
		.amdhsa_user_sgpr_flat_scratch_init 0
		.amdhsa_user_sgpr_private_segment_size 0
		.amdhsa_uses_dynamic_stack 0
		.amdhsa_system_sgpr_private_segment_wavefront_offset 0
		.amdhsa_system_sgpr_workgroup_id_x 1
		.amdhsa_system_sgpr_workgroup_id_y 0
		.amdhsa_system_sgpr_workgroup_id_z 0
		.amdhsa_system_sgpr_workgroup_info 0
		.amdhsa_system_vgpr_workitem_id 0
		.amdhsa_next_free_vgpr 25
		.amdhsa_next_free_sgpr 61
		.amdhsa_reserve_vcc 1
		.amdhsa_reserve_flat_scratch 0
		.amdhsa_float_round_mode_32 0
		.amdhsa_float_round_mode_16_64 0
		.amdhsa_float_denorm_mode_32 3
		.amdhsa_float_denorm_mode_16_64 3
		.amdhsa_dx10_clamp 1
		.amdhsa_ieee_mode 1
		.amdhsa_fp16_overflow 0
		.amdhsa_exception_fp_ieee_invalid_op 0
		.amdhsa_exception_fp_denorm_src 0
		.amdhsa_exception_fp_ieee_div_zero 0
		.amdhsa_exception_fp_ieee_overflow 0
		.amdhsa_exception_fp_ieee_underflow 0
		.amdhsa_exception_fp_ieee_inexact 0
		.amdhsa_exception_int_div_zero 0
	.end_amdhsa_kernel
	.section	.text._ZN9rocsparseL20bsrxmvn_17_32_kernelILj24EflifffEEvT2_20rocsparse_direction_NS_24const_host_device_scalarIT0_EES1_PKS1_PKT1_SA_S7_PKT3_PKT4_S5_PT5_21rocsparse_index_base_b,"axG",@progbits,_ZN9rocsparseL20bsrxmvn_17_32_kernelILj24EflifffEEvT2_20rocsparse_direction_NS_24const_host_device_scalarIT0_EES1_PKS1_PKT1_SA_S7_PKT3_PKT4_S5_PT5_21rocsparse_index_base_b,comdat
.Lfunc_end71:
	.size	_ZN9rocsparseL20bsrxmvn_17_32_kernelILj24EflifffEEvT2_20rocsparse_direction_NS_24const_host_device_scalarIT0_EES1_PKS1_PKT1_SA_S7_PKT3_PKT4_S5_PT5_21rocsparse_index_base_b, .Lfunc_end71-_ZN9rocsparseL20bsrxmvn_17_32_kernelILj24EflifffEEvT2_20rocsparse_direction_NS_24const_host_device_scalarIT0_EES1_PKS1_PKT1_SA_S7_PKT3_PKT4_S5_PT5_21rocsparse_index_base_b
                                        ; -- End function
	.set _ZN9rocsparseL20bsrxmvn_17_32_kernelILj24EflifffEEvT2_20rocsparse_direction_NS_24const_host_device_scalarIT0_EES1_PKS1_PKT1_SA_S7_PKT3_PKT4_S5_PT5_21rocsparse_index_base_b.num_vgpr, 14
	.set _ZN9rocsparseL20bsrxmvn_17_32_kernelILj24EflifffEEvT2_20rocsparse_direction_NS_24const_host_device_scalarIT0_EES1_PKS1_PKT1_SA_S7_PKT3_PKT4_S5_PT5_21rocsparse_index_base_b.num_agpr, 0
	.set _ZN9rocsparseL20bsrxmvn_17_32_kernelILj24EflifffEEvT2_20rocsparse_direction_NS_24const_host_device_scalarIT0_EES1_PKS1_PKT1_SA_S7_PKT3_PKT4_S5_PT5_21rocsparse_index_base_b.numbered_sgpr, 26
	.set _ZN9rocsparseL20bsrxmvn_17_32_kernelILj24EflifffEEvT2_20rocsparse_direction_NS_24const_host_device_scalarIT0_EES1_PKS1_PKT1_SA_S7_PKT3_PKT4_S5_PT5_21rocsparse_index_base_b.num_named_barrier, 0
	.set _ZN9rocsparseL20bsrxmvn_17_32_kernelILj24EflifffEEvT2_20rocsparse_direction_NS_24const_host_device_scalarIT0_EES1_PKS1_PKT1_SA_S7_PKT3_PKT4_S5_PT5_21rocsparse_index_base_b.private_seg_size, 0
	.set _ZN9rocsparseL20bsrxmvn_17_32_kernelILj24EflifffEEvT2_20rocsparse_direction_NS_24const_host_device_scalarIT0_EES1_PKS1_PKT1_SA_S7_PKT3_PKT4_S5_PT5_21rocsparse_index_base_b.uses_vcc, 1
	.set _ZN9rocsparseL20bsrxmvn_17_32_kernelILj24EflifffEEvT2_20rocsparse_direction_NS_24const_host_device_scalarIT0_EES1_PKS1_PKT1_SA_S7_PKT3_PKT4_S5_PT5_21rocsparse_index_base_b.uses_flat_scratch, 0
	.set _ZN9rocsparseL20bsrxmvn_17_32_kernelILj24EflifffEEvT2_20rocsparse_direction_NS_24const_host_device_scalarIT0_EES1_PKS1_PKT1_SA_S7_PKT3_PKT4_S5_PT5_21rocsparse_index_base_b.has_dyn_sized_stack, 0
	.set _ZN9rocsparseL20bsrxmvn_17_32_kernelILj24EflifffEEvT2_20rocsparse_direction_NS_24const_host_device_scalarIT0_EES1_PKS1_PKT1_SA_S7_PKT3_PKT4_S5_PT5_21rocsparse_index_base_b.has_recursion, 0
	.set _ZN9rocsparseL20bsrxmvn_17_32_kernelILj24EflifffEEvT2_20rocsparse_direction_NS_24const_host_device_scalarIT0_EES1_PKS1_PKT1_SA_S7_PKT3_PKT4_S5_PT5_21rocsparse_index_base_b.has_indirect_call, 0
	.section	.AMDGPU.csdata,"",@progbits
; Kernel info:
; codeLenInByte = 1292
; TotalNumSgprs: 30
; NumVgprs: 14
; ScratchSize: 0
; MemoryBound: 0
; FloatMode: 240
; IeeeMode: 1
; LDSByteSize: 2304 bytes/workgroup (compile time only)
; SGPRBlocks: 8
; VGPRBlocks: 6
; NumSGPRsForWavesPerEU: 65
; NumVGPRsForWavesPerEU: 25
; Occupancy: 9
; WaveLimiterHint : 1
; COMPUTE_PGM_RSRC2:SCRATCH_EN: 0
; COMPUTE_PGM_RSRC2:USER_SGPR: 6
; COMPUTE_PGM_RSRC2:TRAP_HANDLER: 0
; COMPUTE_PGM_RSRC2:TGID_X_EN: 1
; COMPUTE_PGM_RSRC2:TGID_Y_EN: 0
; COMPUTE_PGM_RSRC2:TGID_Z_EN: 0
; COMPUTE_PGM_RSRC2:TIDIG_COMP_CNT: 0
	.section	.text._ZN9rocsparseL20bsrxmvn_17_32_kernelILj25EflifffEEvT2_20rocsparse_direction_NS_24const_host_device_scalarIT0_EES1_PKS1_PKT1_SA_S7_PKT3_PKT4_S5_PT5_21rocsparse_index_base_b,"axG",@progbits,_ZN9rocsparseL20bsrxmvn_17_32_kernelILj25EflifffEEvT2_20rocsparse_direction_NS_24const_host_device_scalarIT0_EES1_PKS1_PKT1_SA_S7_PKT3_PKT4_S5_PT5_21rocsparse_index_base_b,comdat
	.globl	_ZN9rocsparseL20bsrxmvn_17_32_kernelILj25EflifffEEvT2_20rocsparse_direction_NS_24const_host_device_scalarIT0_EES1_PKS1_PKT1_SA_S7_PKT3_PKT4_S5_PT5_21rocsparse_index_base_b ; -- Begin function _ZN9rocsparseL20bsrxmvn_17_32_kernelILj25EflifffEEvT2_20rocsparse_direction_NS_24const_host_device_scalarIT0_EES1_PKS1_PKT1_SA_S7_PKT3_PKT4_S5_PT5_21rocsparse_index_base_b
	.p2align	8
	.type	_ZN9rocsparseL20bsrxmvn_17_32_kernelILj25EflifffEEvT2_20rocsparse_direction_NS_24const_host_device_scalarIT0_EES1_PKS1_PKT1_SA_S7_PKT3_PKT4_S5_PT5_21rocsparse_index_base_b,@function
_ZN9rocsparseL20bsrxmvn_17_32_kernelILj25EflifffEEvT2_20rocsparse_direction_NS_24const_host_device_scalarIT0_EES1_PKS1_PKT1_SA_S7_PKT3_PKT4_S5_PT5_21rocsparse_index_base_b: ; @_ZN9rocsparseL20bsrxmvn_17_32_kernelILj25EflifffEEvT2_20rocsparse_direction_NS_24const_host_device_scalarIT0_EES1_PKS1_PKT1_SA_S7_PKT3_PKT4_S5_PT5_21rocsparse_index_base_b
; %bb.0:
	s_load_dwordx2 s[18:19], s[4:5], 0x58
	s_load_dwordx2 s[14:15], s[4:5], 0x8
	;; [unrolled: 1-line block ×3, first 2 shown]
	s_waitcnt lgkmcnt(0)
	s_bitcmp1_b32 s19, 0
	s_cselect_b64 s[2:3], -1, 0
	s_xor_b64 s[0:1], s[2:3], -1
	s_and_b64 vcc, exec, s[2:3]
	s_cbranch_vccnz .LBB72_2
; %bb.1:
	s_load_dword s14, s[14:15], 0x0
.LBB72_2:
	s_andn2_b64 vcc, exec, s[0:1]
	s_cbranch_vccnz .LBB72_4
; %bb.3:
	s_load_dword s12, s[12:13], 0x0
.LBB72_4:
	s_waitcnt lgkmcnt(0)
	v_cmp_neq_f32_e64 s[0:1], s14, 0
	v_cmp_neq_f32_e64 s[2:3], s12, 1.0
	s_or_b64 s[0:1], s[0:1], s[2:3]
	s_andn2_b64 vcc, exec, s[0:1]
	s_cbranch_vccnz .LBB72_40
; %bb.5:
	s_load_dwordx4 s[0:3], s[4:5], 0x18
	s_load_dwordx2 s[8:9], s[4:5], 0x28
	s_waitcnt lgkmcnt(0)
	s_cmp_eq_u64 s[0:1], 0
	s_cbranch_scc1 .LBB72_7
; %bb.6:
	s_ashr_i32 s7, s6, 31
	s_lshl_b64 s[6:7], s[6:7], 2
	s_add_u32 s0, s0, s6
	s_addc_u32 s1, s1, s7
	s_load_dword s0, s[0:1], 0x0
	s_waitcnt lgkmcnt(0)
	s_sub_i32 s6, s0, s18
.LBB72_7:
	s_load_dword s7, s[4:5], 0x4
	s_load_dwordx2 s[16:17], s[4:5], 0x50
	v_mul_u32_u24_e32 v1, 0xa3e, v0
	v_mov_b32_e32 v2, 25
	v_mul_lo_u16_sdwa v2, v1, v2 dst_sel:DWORD dst_unused:UNUSED_PAD src0_sel:WORD_1 src1_sel:DWORD
	s_waitcnt lgkmcnt(0)
	s_cmp_eq_u32 s7, 1
	s_cselect_b64 s[0:1], -1, 0
	s_cmp_lg_u32 s7, 1
	s_cselect_b64 s[20:21], -1, 0
	s_ashr_i32 s7, s6, 31
	s_lshl_b64 s[10:11], s[6:7], 3
	s_add_u32 s2, s2, s10
	s_addc_u32 s3, s3, s11
	s_add_u32 s7, s2, 8
	s_addc_u32 s13, s3, 0
	;; [unrolled: 2-line block ×3, first 2 shown]
	s_cmp_eq_u64 s[8:9], 0
	s_cselect_b32 s9, s13, s11
	s_cselect_b32 s8, s7, s10
	s_load_dwordx2 s[22:23], s[8:9], 0x0
	s_load_dwordx2 s[24:25], s[2:3], 0x0
	v_sub_u16_e32 v10, v0, v2
	v_mov_b32_e32 v9, 0
	v_lshlrev_b32_e32 v8, 2, v0
	s_waitcnt lgkmcnt(0)
	v_mov_b32_e32 v2, s22
	v_mov_b32_e32 v3, s23
	v_cmp_ge_i64_e32 vcc, s[24:25], v[2:3]
	s_cbranch_vccnz .LBB72_12
; %bb.8:
	s_load_dwordx4 s[8:11], s[4:5], 0x30
	s_load_dwordx2 s[2:3], s[4:5], 0x40
	s_sub_u32 s4, s22, s18
	s_mov_b32 s7, 0xffff
	s_subb_u32 s5, s23, 0
	s_movk_i32 s13, 0x271
	v_and_b32_sdwa v1, s7, v1 dst_sel:DWORD dst_unused:UNUSED_PAD src0_sel:DWORD src1_sel:WORD_1
	v_subrev_u32_e32 v2, 25, v1
	v_cmp_gt_u32_e32 vcc, s13, v0
	s_sub_u32 s22, s24, s18
	v_cndmask_b32_e32 v1, v2, v1, vcc
	s_subb_u32 s23, s25, 0
	v_cndmask_b32_e64 v1, v10, v1, s[0:1]
	s_mul_i32 s0, s23, 0x9c4
	s_mul_hi_u32 s1, s22, 0x9c4
	s_add_i32 s1, s1, s0
	s_mul_i32 s0, s22, 0x9c4
	s_waitcnt lgkmcnt(0)
	s_add_u32 s0, s10, s0
	s_addc_u32 s1, s11, s1
	v_mov_b32_e32 v3, s1
	v_add_co_u32_e32 v2, vcc, s0, v8
	v_addc_co_u32_e32 v3, vcc, 0, v3, vcc
	s_movk_i32 s0, 0x270
	v_cmp_lt_u32_e32 vcc, s0, v0
	v_cndmask_b32_e64 v11, 0, 1, vcc
	v_mov_b32_e32 v4, s25
	v_add_co_u32_e32 v5, vcc, s24, v11
	v_addc_co_u32_e32 v6, vcc, 0, v4, vcc
	v_subrev_co_u32_e32 v4, vcc, s18, v5
	v_subbrev_co_u32_e32 v5, vcc, 0, v6, vcc
	v_lshlrev_b64 v[4:5], 2, v[4:5]
	v_mov_b32_e32 v6, s9
	v_add_co_u32_e32 v4, vcc, s8, v4
	v_addc_co_u32_e32 v5, vcc, v6, v5, vcc
	v_mov_b32_e32 v7, s5
	v_mov_b32_e32 v9, 0
	;; [unrolled: 1-line block ×3, first 2 shown]
	s_branch .LBB72_10
.LBB72_9:                               ;   in Loop: Header=BB72_10 Depth=1
	s_or_b64 exec, exec, s[0:1]
	s_add_u32 s22, s22, 1
	s_addc_u32 s23, s23, 0
	v_cmp_lt_i64_e32 vcc, s[22:23], v[6:7]
	v_add_co_u32_e64 v4, s[0:1], 4, v4
	v_addc_co_u32_e64 v5, s[0:1], 0, v5, s[0:1]
	s_cbranch_vccz .LBB72_12
.LBB72_10:                              ; =>This Inner Loop Header: Depth=1
	v_mov_b32_e32 v13, s23
	v_add_co_u32_e32 v12, vcc, s22, v11
	v_addc_co_u32_e32 v13, vcc, 0, v13, vcc
	v_cmp_gt_i64_e32 vcc, s[4:5], v[12:13]
	s_and_saveexec_b64 s[0:1], vcc
	s_cbranch_execz .LBB72_9
; %bb.11:                               ;   in Loop: Header=BB72_10 Depth=1
	global_load_dword v12, v[4:5], off
	v_mov_b32_e32 v15, s3
	global_load_dword v14, v[2:3], off
	s_waitcnt vmcnt(1)
	v_subrev_u32_e32 v12, s18, v12
	v_mad_u64_u32 v[12:13], s[8:9], v12, 25, v[1:2]
	v_ashrrev_i32_e32 v13, 31, v12
	v_lshlrev_b64 v[12:13], 2, v[12:13]
	v_add_co_u32_e32 v12, vcc, s2, v12
	v_addc_co_u32_e32 v13, vcc, v15, v13, vcc
	global_load_dword v12, v[12:13], off
	v_add_co_u32_e32 v2, vcc, 0x9c4, v2
	v_addc_co_u32_e32 v3, vcc, 0, v3, vcc
	s_waitcnt vmcnt(0)
	v_fmac_f32_e32 v9, v14, v12
	s_branch .LBB72_9
.LBB72_12:
	s_and_b64 vcc, exec, s[20:21]
	ds_write_b32 v8, v9
	s_waitcnt lgkmcnt(0)
	s_barrier
	s_cbranch_vccz .LBB72_24
; %bb.13:
	v_cmp_gt_u16_e32 vcc, 9, v10
	s_and_saveexec_b64 s[0:1], vcc
	s_cbranch_execz .LBB72_15
; %bb.14:
	ds_read2_b32 v[1:2], v8 offset1:16
	s_waitcnt lgkmcnt(0)
	v_add_f32_e32 v1, v2, v1
	ds_write_b32 v8, v1
.LBB72_15:
	s_or_b64 exec, exec, s[0:1]
	v_cmp_gt_u16_e32 vcc, 8, v10
	s_waitcnt lgkmcnt(0)
	s_barrier
	s_and_saveexec_b64 s[0:1], vcc
	s_cbranch_execz .LBB72_17
; %bb.16:
	ds_read2_b32 v[1:2], v8 offset1:8
	s_waitcnt lgkmcnt(0)
	v_add_f32_e32 v1, v2, v1
	ds_write_b32 v8, v1
.LBB72_17:
	s_or_b64 exec, exec, s[0:1]
	v_cmp_gt_u16_e32 vcc, 4, v10
	s_waitcnt lgkmcnt(0)
	s_barrier
	;; [unrolled: 12-line block ×3, first 2 shown]
	s_and_saveexec_b64 s[0:1], vcc
	s_cbranch_execz .LBB72_21
; %bb.20:
	ds_read2_b32 v[1:2], v8 offset1:2
	s_waitcnt lgkmcnt(0)
	v_add_f32_e32 v1, v2, v1
	ds_write_b32 v8, v1
.LBB72_21:
	s_or_b64 exec, exec, s[0:1]
	v_cmp_gt_u32_e32 vcc, 25, v0
	v_mov_b32_e32 v1, v9
	s_waitcnt lgkmcnt(0)
	s_barrier
	s_and_saveexec_b64 s[0:1], vcc
	s_cbranch_execz .LBB72_23
; %bb.22:
	s_movk_i32 s2, 0x60
	v_mad_u32_u24 v1, v0, s2, v8
	ds_read2_b32 v[1:2], v1 offset1:1
	s_waitcnt lgkmcnt(0)
	v_add_f32_e32 v1, v1, v2
.LBB72_23:
	s_or_b64 exec, exec, s[0:1]
	s_branch .LBB72_36
.LBB72_24:
                                        ; implicit-def: $vgpr1
	s_cbranch_execz .LBB72_36
; %bb.25:
	s_movk_i32 s0, 0xe1
	v_cmp_gt_u32_e32 vcc, s0, v0
	s_and_saveexec_b64 s[0:1], vcc
	s_cbranch_execz .LBB72_27
; %bb.26:
	ds_read_b32 v1, v8 offset:1600
	ds_read_b32 v2, v8
	s_waitcnt lgkmcnt(0)
	v_add_f32_e32 v1, v1, v2
	ds_write_b32 v8, v1
.LBB72_27:
	s_or_b64 exec, exec, s[0:1]
	s_movk_i32 s0, 0xc8
	v_cmp_gt_u32_e32 vcc, s0, v0
	s_waitcnt lgkmcnt(0)
	s_barrier
	s_and_saveexec_b64 s[0:1], vcc
	s_cbranch_execz .LBB72_29
; %bb.28:
	ds_read2_b32 v[1:2], v8 offset1:200
	s_waitcnt lgkmcnt(0)
	v_add_f32_e32 v1, v2, v1
	ds_write_b32 v8, v1
.LBB72_29:
	s_or_b64 exec, exec, s[0:1]
	s_movk_i32 s0, 0x64
	v_cmp_gt_u32_e32 vcc, s0, v0
	s_waitcnt lgkmcnt(0)
	s_barrier
	s_and_saveexec_b64 s[0:1], vcc
	s_cbranch_execz .LBB72_31
; %bb.30:
	ds_read2_b32 v[1:2], v8 offset1:100
	s_waitcnt lgkmcnt(0)
	v_add_f32_e32 v1, v2, v1
	ds_write_b32 v8, v1
.LBB72_31:
	s_or_b64 exec, exec, s[0:1]
	v_cmp_gt_u32_e32 vcc, 50, v0
	s_waitcnt lgkmcnt(0)
	s_barrier
	s_and_saveexec_b64 s[0:1], vcc
	s_cbranch_execz .LBB72_33
; %bb.32:
	ds_read2_b32 v[1:2], v8 offset1:50
	s_waitcnt lgkmcnt(0)
	v_add_f32_e32 v1, v2, v1
	ds_write_b32 v8, v1
.LBB72_33:
	s_or_b64 exec, exec, s[0:1]
	v_cmp_gt_u32_e32 vcc, 25, v0
	s_waitcnt lgkmcnt(0)
	s_and_saveexec_b64 s[0:1], vcc
	s_cbranch_execz .LBB72_35
; %bb.34:
	ds_read2_b32 v[1:2], v8 offset1:25
	s_waitcnt lgkmcnt(0)
	v_add_f32_e32 v9, v1, v2
.LBB72_35:
	s_or_b64 exec, exec, s[0:1]
	v_mov_b32_e32 v1, v9
.LBB72_36:
	v_cmp_gt_u32_e32 vcc, 25, v0
	s_and_saveexec_b64 s[0:1], vcc
	s_cbranch_execz .LBB72_40
; %bb.37:
	v_cmp_eq_f32_e64 s[0:1], s12, 0
	s_and_b64 vcc, exec, s[0:1]
	v_mul_f32_e32 v1, s14, v1
	s_cbranch_vccz .LBB72_41
; %bb.38:
	v_mad_u64_u32 v[2:3], s[0:1], s6, 25, v[0:1]
	v_mov_b32_e32 v3, 0
	v_mov_b32_e32 v4, s17
	v_lshlrev_b64 v[2:3], 2, v[2:3]
	v_add_co_u32_e32 v2, vcc, s16, v2
	v_addc_co_u32_e32 v3, vcc, v4, v3, vcc
	global_store_dword v[2:3], v1, off
	s_cbranch_execnz .LBB72_40
.LBB72_39:
	v_mad_u64_u32 v[2:3], s[0:1], s6, 25, v[0:1]
	v_mov_b32_e32 v3, 0
	v_mov_b32_e32 v0, s17
	v_lshlrev_b64 v[2:3], 2, v[2:3]
	v_add_co_u32_e32 v2, vcc, s16, v2
	v_addc_co_u32_e32 v3, vcc, v0, v3, vcc
	global_load_dword v0, v[2:3], off
	s_waitcnt vmcnt(0)
	v_fmac_f32_e32 v1, s12, v0
	global_store_dword v[2:3], v1, off
.LBB72_40:
	s_endpgm
.LBB72_41:
	s_branch .LBB72_39
	.section	.rodata,"a",@progbits
	.p2align	6, 0x0
	.amdhsa_kernel _ZN9rocsparseL20bsrxmvn_17_32_kernelILj25EflifffEEvT2_20rocsparse_direction_NS_24const_host_device_scalarIT0_EES1_PKS1_PKT1_SA_S7_PKT3_PKT4_S5_PT5_21rocsparse_index_base_b
		.amdhsa_group_segment_fixed_size 2500
		.amdhsa_private_segment_fixed_size 0
		.amdhsa_kernarg_size 96
		.amdhsa_user_sgpr_count 6
		.amdhsa_user_sgpr_private_segment_buffer 1
		.amdhsa_user_sgpr_dispatch_ptr 0
		.amdhsa_user_sgpr_queue_ptr 0
		.amdhsa_user_sgpr_kernarg_segment_ptr 1
		.amdhsa_user_sgpr_dispatch_id 0
		.amdhsa_user_sgpr_flat_scratch_init 0
		.amdhsa_user_sgpr_private_segment_size 0
		.amdhsa_uses_dynamic_stack 0
		.amdhsa_system_sgpr_private_segment_wavefront_offset 0
		.amdhsa_system_sgpr_workgroup_id_x 1
		.amdhsa_system_sgpr_workgroup_id_y 0
		.amdhsa_system_sgpr_workgroup_id_z 0
		.amdhsa_system_sgpr_workgroup_info 0
		.amdhsa_system_vgpr_workitem_id 0
		.amdhsa_next_free_vgpr 16
		.amdhsa_next_free_sgpr 26
		.amdhsa_reserve_vcc 1
		.amdhsa_reserve_flat_scratch 0
		.amdhsa_float_round_mode_32 0
		.amdhsa_float_round_mode_16_64 0
		.amdhsa_float_denorm_mode_32 3
		.amdhsa_float_denorm_mode_16_64 3
		.amdhsa_dx10_clamp 1
		.amdhsa_ieee_mode 1
		.amdhsa_fp16_overflow 0
		.amdhsa_exception_fp_ieee_invalid_op 0
		.amdhsa_exception_fp_denorm_src 0
		.amdhsa_exception_fp_ieee_div_zero 0
		.amdhsa_exception_fp_ieee_overflow 0
		.amdhsa_exception_fp_ieee_underflow 0
		.amdhsa_exception_fp_ieee_inexact 0
		.amdhsa_exception_int_div_zero 0
	.end_amdhsa_kernel
	.section	.text._ZN9rocsparseL20bsrxmvn_17_32_kernelILj25EflifffEEvT2_20rocsparse_direction_NS_24const_host_device_scalarIT0_EES1_PKS1_PKT1_SA_S7_PKT3_PKT4_S5_PT5_21rocsparse_index_base_b,"axG",@progbits,_ZN9rocsparseL20bsrxmvn_17_32_kernelILj25EflifffEEvT2_20rocsparse_direction_NS_24const_host_device_scalarIT0_EES1_PKS1_PKT1_SA_S7_PKT3_PKT4_S5_PT5_21rocsparse_index_base_b,comdat
.Lfunc_end72:
	.size	_ZN9rocsparseL20bsrxmvn_17_32_kernelILj25EflifffEEvT2_20rocsparse_direction_NS_24const_host_device_scalarIT0_EES1_PKS1_PKT1_SA_S7_PKT3_PKT4_S5_PT5_21rocsparse_index_base_b, .Lfunc_end72-_ZN9rocsparseL20bsrxmvn_17_32_kernelILj25EflifffEEvT2_20rocsparse_direction_NS_24const_host_device_scalarIT0_EES1_PKS1_PKT1_SA_S7_PKT3_PKT4_S5_PT5_21rocsparse_index_base_b
                                        ; -- End function
	.set _ZN9rocsparseL20bsrxmvn_17_32_kernelILj25EflifffEEvT2_20rocsparse_direction_NS_24const_host_device_scalarIT0_EES1_PKS1_PKT1_SA_S7_PKT3_PKT4_S5_PT5_21rocsparse_index_base_b.num_vgpr, 16
	.set _ZN9rocsparseL20bsrxmvn_17_32_kernelILj25EflifffEEvT2_20rocsparse_direction_NS_24const_host_device_scalarIT0_EES1_PKS1_PKT1_SA_S7_PKT3_PKT4_S5_PT5_21rocsparse_index_base_b.num_agpr, 0
	.set _ZN9rocsparseL20bsrxmvn_17_32_kernelILj25EflifffEEvT2_20rocsparse_direction_NS_24const_host_device_scalarIT0_EES1_PKS1_PKT1_SA_S7_PKT3_PKT4_S5_PT5_21rocsparse_index_base_b.numbered_sgpr, 26
	.set _ZN9rocsparseL20bsrxmvn_17_32_kernelILj25EflifffEEvT2_20rocsparse_direction_NS_24const_host_device_scalarIT0_EES1_PKS1_PKT1_SA_S7_PKT3_PKT4_S5_PT5_21rocsparse_index_base_b.num_named_barrier, 0
	.set _ZN9rocsparseL20bsrxmvn_17_32_kernelILj25EflifffEEvT2_20rocsparse_direction_NS_24const_host_device_scalarIT0_EES1_PKS1_PKT1_SA_S7_PKT3_PKT4_S5_PT5_21rocsparse_index_base_b.private_seg_size, 0
	.set _ZN9rocsparseL20bsrxmvn_17_32_kernelILj25EflifffEEvT2_20rocsparse_direction_NS_24const_host_device_scalarIT0_EES1_PKS1_PKT1_SA_S7_PKT3_PKT4_S5_PT5_21rocsparse_index_base_b.uses_vcc, 1
	.set _ZN9rocsparseL20bsrxmvn_17_32_kernelILj25EflifffEEvT2_20rocsparse_direction_NS_24const_host_device_scalarIT0_EES1_PKS1_PKT1_SA_S7_PKT3_PKT4_S5_PT5_21rocsparse_index_base_b.uses_flat_scratch, 0
	.set _ZN9rocsparseL20bsrxmvn_17_32_kernelILj25EflifffEEvT2_20rocsparse_direction_NS_24const_host_device_scalarIT0_EES1_PKS1_PKT1_SA_S7_PKT3_PKT4_S5_PT5_21rocsparse_index_base_b.has_dyn_sized_stack, 0
	.set _ZN9rocsparseL20bsrxmvn_17_32_kernelILj25EflifffEEvT2_20rocsparse_direction_NS_24const_host_device_scalarIT0_EES1_PKS1_PKT1_SA_S7_PKT3_PKT4_S5_PT5_21rocsparse_index_base_b.has_recursion, 0
	.set _ZN9rocsparseL20bsrxmvn_17_32_kernelILj25EflifffEEvT2_20rocsparse_direction_NS_24const_host_device_scalarIT0_EES1_PKS1_PKT1_SA_S7_PKT3_PKT4_S5_PT5_21rocsparse_index_base_b.has_indirect_call, 0
	.section	.AMDGPU.csdata,"",@progbits
; Kernel info:
; codeLenInByte = 1312
; TotalNumSgprs: 30
; NumVgprs: 16
; ScratchSize: 0
; MemoryBound: 0
; FloatMode: 240
; IeeeMode: 1
; LDSByteSize: 2500 bytes/workgroup (compile time only)
; SGPRBlocks: 3
; VGPRBlocks: 3
; NumSGPRsForWavesPerEU: 30
; NumVGPRsForWavesPerEU: 16
; Occupancy: 10
; WaveLimiterHint : 1
; COMPUTE_PGM_RSRC2:SCRATCH_EN: 0
; COMPUTE_PGM_RSRC2:USER_SGPR: 6
; COMPUTE_PGM_RSRC2:TRAP_HANDLER: 0
; COMPUTE_PGM_RSRC2:TGID_X_EN: 1
; COMPUTE_PGM_RSRC2:TGID_Y_EN: 0
; COMPUTE_PGM_RSRC2:TGID_Z_EN: 0
; COMPUTE_PGM_RSRC2:TIDIG_COMP_CNT: 0
	.section	.text._ZN9rocsparseL20bsrxmvn_17_32_kernelILj26EflifffEEvT2_20rocsparse_direction_NS_24const_host_device_scalarIT0_EES1_PKS1_PKT1_SA_S7_PKT3_PKT4_S5_PT5_21rocsparse_index_base_b,"axG",@progbits,_ZN9rocsparseL20bsrxmvn_17_32_kernelILj26EflifffEEvT2_20rocsparse_direction_NS_24const_host_device_scalarIT0_EES1_PKS1_PKT1_SA_S7_PKT3_PKT4_S5_PT5_21rocsparse_index_base_b,comdat
	.globl	_ZN9rocsparseL20bsrxmvn_17_32_kernelILj26EflifffEEvT2_20rocsparse_direction_NS_24const_host_device_scalarIT0_EES1_PKS1_PKT1_SA_S7_PKT3_PKT4_S5_PT5_21rocsparse_index_base_b ; -- Begin function _ZN9rocsparseL20bsrxmvn_17_32_kernelILj26EflifffEEvT2_20rocsparse_direction_NS_24const_host_device_scalarIT0_EES1_PKS1_PKT1_SA_S7_PKT3_PKT4_S5_PT5_21rocsparse_index_base_b
	.p2align	8
	.type	_ZN9rocsparseL20bsrxmvn_17_32_kernelILj26EflifffEEvT2_20rocsparse_direction_NS_24const_host_device_scalarIT0_EES1_PKS1_PKT1_SA_S7_PKT3_PKT4_S5_PT5_21rocsparse_index_base_b,@function
_ZN9rocsparseL20bsrxmvn_17_32_kernelILj26EflifffEEvT2_20rocsparse_direction_NS_24const_host_device_scalarIT0_EES1_PKS1_PKT1_SA_S7_PKT3_PKT4_S5_PT5_21rocsparse_index_base_b: ; @_ZN9rocsparseL20bsrxmvn_17_32_kernelILj26EflifffEEvT2_20rocsparse_direction_NS_24const_host_device_scalarIT0_EES1_PKS1_PKT1_SA_S7_PKT3_PKT4_S5_PT5_21rocsparse_index_base_b
; %bb.0:
	s_load_dwordx2 s[18:19], s[4:5], 0x58
	s_load_dwordx2 s[14:15], s[4:5], 0x8
	;; [unrolled: 1-line block ×3, first 2 shown]
	s_waitcnt lgkmcnt(0)
	s_bitcmp1_b32 s19, 0
	s_cselect_b64 s[2:3], -1, 0
	s_xor_b64 s[0:1], s[2:3], -1
	s_and_b64 vcc, exec, s[2:3]
	s_cbranch_vccnz .LBB73_2
; %bb.1:
	s_load_dword s14, s[14:15], 0x0
.LBB73_2:
	s_andn2_b64 vcc, exec, s[0:1]
	s_cbranch_vccnz .LBB73_4
; %bb.3:
	s_load_dword s12, s[12:13], 0x0
.LBB73_4:
	s_waitcnt lgkmcnt(0)
	v_cmp_neq_f32_e64 s[0:1], s14, 0
	v_cmp_neq_f32_e64 s[2:3], s12, 1.0
	s_or_b64 s[0:1], s[0:1], s[2:3]
	s_andn2_b64 vcc, exec, s[0:1]
	s_cbranch_vccnz .LBB73_40
; %bb.5:
	s_load_dwordx4 s[0:3], s[4:5], 0x18
	s_load_dwordx2 s[8:9], s[4:5], 0x28
	s_waitcnt lgkmcnt(0)
	s_cmp_eq_u64 s[0:1], 0
	s_cbranch_scc1 .LBB73_7
; %bb.6:
	s_ashr_i32 s7, s6, 31
	s_lshl_b64 s[6:7], s[6:7], 2
	s_add_u32 s0, s0, s6
	s_addc_u32 s1, s1, s7
	s_load_dword s0, s[0:1], 0x0
	s_waitcnt lgkmcnt(0)
	s_sub_i32 s6, s0, s18
.LBB73_7:
	s_load_dword s7, s[4:5], 0x4
	s_load_dwordx2 s[16:17], s[4:5], 0x50
	v_mul_u32_u24_e32 v1, 0x9d9, v0
	v_mov_b32_e32 v2, 26
	v_mul_lo_u16_sdwa v2, v1, v2 dst_sel:DWORD dst_unused:UNUSED_PAD src0_sel:WORD_1 src1_sel:DWORD
	s_waitcnt lgkmcnt(0)
	s_cmp_eq_u32 s7, 1
	s_cselect_b64 s[0:1], -1, 0
	s_cmp_lg_u32 s7, 1
	s_cselect_b64 s[20:21], -1, 0
	s_ashr_i32 s7, s6, 31
	s_lshl_b64 s[10:11], s[6:7], 3
	s_add_u32 s2, s2, s10
	s_addc_u32 s3, s3, s11
	s_add_u32 s7, s2, 8
	s_addc_u32 s13, s3, 0
	;; [unrolled: 2-line block ×3, first 2 shown]
	s_cmp_eq_u64 s[8:9], 0
	s_cselect_b32 s9, s13, s11
	s_cselect_b32 s8, s7, s10
	s_load_dwordx2 s[22:23], s[8:9], 0x0
	s_load_dwordx2 s[24:25], s[2:3], 0x0
	v_sub_u16_e32 v10, v0, v2
	v_mov_b32_e32 v9, 0
	v_lshlrev_b32_e32 v8, 2, v0
	s_waitcnt lgkmcnt(0)
	v_mov_b32_e32 v2, s22
	v_mov_b32_e32 v3, s23
	v_cmp_ge_i64_e32 vcc, s[24:25], v[2:3]
	s_cbranch_vccnz .LBB73_12
; %bb.8:
	s_load_dwordx4 s[8:11], s[4:5], 0x30
	s_load_dwordx2 s[2:3], s[4:5], 0x40
	s_sub_u32 s4, s22, s18
	s_mov_b32 s7, 0xffff
	s_subb_u32 s5, s23, 0
	s_movk_i32 s13, 0x2a4
	v_and_b32_sdwa v1, s7, v1 dst_sel:DWORD dst_unused:UNUSED_PAD src0_sel:DWORD src1_sel:WORD_1
	v_subrev_u32_e32 v2, 26, v1
	v_cmp_gt_u32_e32 vcc, s13, v0
	s_sub_u32 s22, s24, s18
	v_cndmask_b32_e32 v1, v2, v1, vcc
	s_subb_u32 s23, s25, 0
	v_cndmask_b32_e64 v1, v10, v1, s[0:1]
	s_mul_i32 s0, s23, 0xa90
	s_mul_hi_u32 s1, s22, 0xa90
	s_add_i32 s1, s1, s0
	s_mul_i32 s0, s22, 0xa90
	s_waitcnt lgkmcnt(0)
	s_add_u32 s0, s10, s0
	s_addc_u32 s1, s11, s1
	v_mov_b32_e32 v3, s1
	v_add_co_u32_e32 v2, vcc, s0, v8
	v_addc_co_u32_e32 v3, vcc, 0, v3, vcc
	s_movk_i32 s0, 0x2a3
	v_cmp_lt_u32_e32 vcc, s0, v0
	v_cndmask_b32_e64 v11, 0, 1, vcc
	v_mov_b32_e32 v4, s25
	v_add_co_u32_e32 v5, vcc, s24, v11
	v_addc_co_u32_e32 v6, vcc, 0, v4, vcc
	v_subrev_co_u32_e32 v4, vcc, s18, v5
	v_subbrev_co_u32_e32 v5, vcc, 0, v6, vcc
	v_lshlrev_b64 v[4:5], 2, v[4:5]
	v_mov_b32_e32 v6, s9
	v_add_co_u32_e32 v4, vcc, s8, v4
	v_addc_co_u32_e32 v5, vcc, v6, v5, vcc
	v_mov_b32_e32 v7, s5
	v_mov_b32_e32 v9, 0
	;; [unrolled: 1-line block ×3, first 2 shown]
	s_branch .LBB73_10
.LBB73_9:                               ;   in Loop: Header=BB73_10 Depth=1
	s_or_b64 exec, exec, s[0:1]
	s_add_u32 s22, s22, 1
	s_addc_u32 s23, s23, 0
	v_cmp_lt_i64_e32 vcc, s[22:23], v[6:7]
	v_add_co_u32_e64 v4, s[0:1], 4, v4
	v_addc_co_u32_e64 v5, s[0:1], 0, v5, s[0:1]
	s_cbranch_vccz .LBB73_12
.LBB73_10:                              ; =>This Inner Loop Header: Depth=1
	v_mov_b32_e32 v13, s23
	v_add_co_u32_e32 v12, vcc, s22, v11
	v_addc_co_u32_e32 v13, vcc, 0, v13, vcc
	v_cmp_gt_i64_e32 vcc, s[4:5], v[12:13]
	s_and_saveexec_b64 s[0:1], vcc
	s_cbranch_execz .LBB73_9
; %bb.11:                               ;   in Loop: Header=BB73_10 Depth=1
	global_load_dword v12, v[4:5], off
	v_mov_b32_e32 v15, s3
	global_load_dword v14, v[2:3], off
	s_waitcnt vmcnt(1)
	v_subrev_u32_e32 v12, s18, v12
	v_mad_u64_u32 v[12:13], s[8:9], v12, 26, v[1:2]
	v_ashrrev_i32_e32 v13, 31, v12
	v_lshlrev_b64 v[12:13], 2, v[12:13]
	v_add_co_u32_e32 v12, vcc, s2, v12
	v_addc_co_u32_e32 v13, vcc, v15, v13, vcc
	global_load_dword v12, v[12:13], off
	v_add_co_u32_e32 v2, vcc, 0xa90, v2
	v_addc_co_u32_e32 v3, vcc, 0, v3, vcc
	s_waitcnt vmcnt(0)
	v_fmac_f32_e32 v9, v14, v12
	s_branch .LBB73_9
.LBB73_12:
	s_and_b64 vcc, exec, s[20:21]
	ds_write_b32 v8, v9
	s_waitcnt lgkmcnt(0)
	s_barrier
	s_cbranch_vccz .LBB73_24
; %bb.13:
	v_cmp_gt_u16_e32 vcc, 10, v10
	s_and_saveexec_b64 s[0:1], vcc
	s_cbranch_execz .LBB73_15
; %bb.14:
	ds_read2_b32 v[1:2], v8 offset1:16
	s_waitcnt lgkmcnt(0)
	v_add_f32_e32 v1, v2, v1
	ds_write_b32 v8, v1
.LBB73_15:
	s_or_b64 exec, exec, s[0:1]
	v_cmp_gt_u16_e32 vcc, 8, v10
	s_waitcnt lgkmcnt(0)
	s_barrier
	s_and_saveexec_b64 s[0:1], vcc
	s_cbranch_execz .LBB73_17
; %bb.16:
	ds_read2_b32 v[1:2], v8 offset1:8
	s_waitcnt lgkmcnt(0)
	v_add_f32_e32 v1, v2, v1
	ds_write_b32 v8, v1
.LBB73_17:
	s_or_b64 exec, exec, s[0:1]
	v_cmp_gt_u16_e32 vcc, 4, v10
	s_waitcnt lgkmcnt(0)
	s_barrier
	;; [unrolled: 12-line block ×3, first 2 shown]
	s_and_saveexec_b64 s[0:1], vcc
	s_cbranch_execz .LBB73_21
; %bb.20:
	ds_read2_b32 v[1:2], v8 offset1:2
	s_waitcnt lgkmcnt(0)
	v_add_f32_e32 v1, v2, v1
	ds_write_b32 v8, v1
.LBB73_21:
	s_or_b64 exec, exec, s[0:1]
	v_cmp_gt_u32_e32 vcc, 26, v0
	v_mov_b32_e32 v1, v9
	s_waitcnt lgkmcnt(0)
	s_barrier
	s_and_saveexec_b64 s[0:1], vcc
	s_cbranch_execz .LBB73_23
; %bb.22:
	s_movk_i32 s2, 0x64
	v_mad_u32_u24 v1, v0, s2, v8
	ds_read_b64 v[1:2], v1
	s_waitcnt lgkmcnt(0)
	v_add_f32_e32 v1, v1, v2
.LBB73_23:
	s_or_b64 exec, exec, s[0:1]
	s_branch .LBB73_36
.LBB73_24:
                                        ; implicit-def: $vgpr1
	s_cbranch_execz .LBB73_36
; %bb.25:
	s_movk_i32 s0, 0x104
	v_cmp_gt_u32_e32 vcc, s0, v0
	s_and_saveexec_b64 s[0:1], vcc
	s_cbranch_execz .LBB73_27
; %bb.26:
	ds_read_b32 v1, v8 offset:1664
	ds_read_b32 v2, v8
	s_waitcnt lgkmcnt(0)
	v_add_f32_e32 v1, v1, v2
	ds_write_b32 v8, v1
.LBB73_27:
	s_or_b64 exec, exec, s[0:1]
	s_movk_i32 s0, 0xd0
	v_cmp_gt_u32_e32 vcc, s0, v0
	s_waitcnt lgkmcnt(0)
	s_barrier
	s_and_saveexec_b64 s[0:1], vcc
	s_cbranch_execz .LBB73_29
; %bb.28:
	ds_read2_b32 v[1:2], v8 offset1:208
	s_waitcnt lgkmcnt(0)
	v_add_f32_e32 v1, v2, v1
	ds_write_b32 v8, v1
.LBB73_29:
	s_or_b64 exec, exec, s[0:1]
	s_movk_i32 s0, 0x68
	v_cmp_gt_u32_e32 vcc, s0, v0
	s_waitcnt lgkmcnt(0)
	s_barrier
	s_and_saveexec_b64 s[0:1], vcc
	s_cbranch_execz .LBB73_31
; %bb.30:
	ds_read2_b32 v[1:2], v8 offset1:104
	s_waitcnt lgkmcnt(0)
	v_add_f32_e32 v1, v2, v1
	ds_write_b32 v8, v1
.LBB73_31:
	s_or_b64 exec, exec, s[0:1]
	v_cmp_gt_u32_e32 vcc, 52, v0
	s_waitcnt lgkmcnt(0)
	s_barrier
	s_and_saveexec_b64 s[0:1], vcc
	s_cbranch_execz .LBB73_33
; %bb.32:
	ds_read2_b32 v[1:2], v8 offset1:52
	s_waitcnt lgkmcnt(0)
	v_add_f32_e32 v1, v2, v1
	ds_write_b32 v8, v1
.LBB73_33:
	s_or_b64 exec, exec, s[0:1]
	v_cmp_gt_u32_e32 vcc, 26, v0
	s_waitcnt lgkmcnt(0)
	s_and_saveexec_b64 s[0:1], vcc
	s_cbranch_execz .LBB73_35
; %bb.34:
	ds_read2_b32 v[1:2], v8 offset1:26
	s_waitcnt lgkmcnt(0)
	v_add_f32_e32 v9, v1, v2
.LBB73_35:
	s_or_b64 exec, exec, s[0:1]
	v_mov_b32_e32 v1, v9
.LBB73_36:
	v_cmp_gt_u32_e32 vcc, 26, v0
	s_and_saveexec_b64 s[0:1], vcc
	s_cbranch_execz .LBB73_40
; %bb.37:
	v_cmp_eq_f32_e64 s[0:1], s12, 0
	s_and_b64 vcc, exec, s[0:1]
	v_mul_f32_e32 v1, s14, v1
	s_cbranch_vccz .LBB73_41
; %bb.38:
	v_mad_u64_u32 v[2:3], s[0:1], s6, 26, v[0:1]
	v_mov_b32_e32 v3, 0
	v_mov_b32_e32 v4, s17
	v_lshlrev_b64 v[2:3], 2, v[2:3]
	v_add_co_u32_e32 v2, vcc, s16, v2
	v_addc_co_u32_e32 v3, vcc, v4, v3, vcc
	global_store_dword v[2:3], v1, off
	s_cbranch_execnz .LBB73_40
.LBB73_39:
	v_mad_u64_u32 v[2:3], s[0:1], s6, 26, v[0:1]
	v_mov_b32_e32 v3, 0
	v_mov_b32_e32 v0, s17
	v_lshlrev_b64 v[2:3], 2, v[2:3]
	v_add_co_u32_e32 v2, vcc, s16, v2
	v_addc_co_u32_e32 v3, vcc, v0, v3, vcc
	global_load_dword v0, v[2:3], off
	s_waitcnt vmcnt(0)
	v_fmac_f32_e32 v1, s12, v0
	global_store_dword v[2:3], v1, off
.LBB73_40:
	s_endpgm
.LBB73_41:
	s_branch .LBB73_39
	.section	.rodata,"a",@progbits
	.p2align	6, 0x0
	.amdhsa_kernel _ZN9rocsparseL20bsrxmvn_17_32_kernelILj26EflifffEEvT2_20rocsparse_direction_NS_24const_host_device_scalarIT0_EES1_PKS1_PKT1_SA_S7_PKT3_PKT4_S5_PT5_21rocsparse_index_base_b
		.amdhsa_group_segment_fixed_size 2704
		.amdhsa_private_segment_fixed_size 0
		.amdhsa_kernarg_size 96
		.amdhsa_user_sgpr_count 6
		.amdhsa_user_sgpr_private_segment_buffer 1
		.amdhsa_user_sgpr_dispatch_ptr 0
		.amdhsa_user_sgpr_queue_ptr 0
		.amdhsa_user_sgpr_kernarg_segment_ptr 1
		.amdhsa_user_sgpr_dispatch_id 0
		.amdhsa_user_sgpr_flat_scratch_init 0
		.amdhsa_user_sgpr_private_segment_size 0
		.amdhsa_uses_dynamic_stack 0
		.amdhsa_system_sgpr_private_segment_wavefront_offset 0
		.amdhsa_system_sgpr_workgroup_id_x 1
		.amdhsa_system_sgpr_workgroup_id_y 0
		.amdhsa_system_sgpr_workgroup_id_z 0
		.amdhsa_system_sgpr_workgroup_info 0
		.amdhsa_system_vgpr_workitem_id 0
		.amdhsa_next_free_vgpr 25
		.amdhsa_next_free_sgpr 61
		.amdhsa_reserve_vcc 1
		.amdhsa_reserve_flat_scratch 0
		.amdhsa_float_round_mode_32 0
		.amdhsa_float_round_mode_16_64 0
		.amdhsa_float_denorm_mode_32 3
		.amdhsa_float_denorm_mode_16_64 3
		.amdhsa_dx10_clamp 1
		.amdhsa_ieee_mode 1
		.amdhsa_fp16_overflow 0
		.amdhsa_exception_fp_ieee_invalid_op 0
		.amdhsa_exception_fp_denorm_src 0
		.amdhsa_exception_fp_ieee_div_zero 0
		.amdhsa_exception_fp_ieee_overflow 0
		.amdhsa_exception_fp_ieee_underflow 0
		.amdhsa_exception_fp_ieee_inexact 0
		.amdhsa_exception_int_div_zero 0
	.end_amdhsa_kernel
	.section	.text._ZN9rocsparseL20bsrxmvn_17_32_kernelILj26EflifffEEvT2_20rocsparse_direction_NS_24const_host_device_scalarIT0_EES1_PKS1_PKT1_SA_S7_PKT3_PKT4_S5_PT5_21rocsparse_index_base_b,"axG",@progbits,_ZN9rocsparseL20bsrxmvn_17_32_kernelILj26EflifffEEvT2_20rocsparse_direction_NS_24const_host_device_scalarIT0_EES1_PKS1_PKT1_SA_S7_PKT3_PKT4_S5_PT5_21rocsparse_index_base_b,comdat
.Lfunc_end73:
	.size	_ZN9rocsparseL20bsrxmvn_17_32_kernelILj26EflifffEEvT2_20rocsparse_direction_NS_24const_host_device_scalarIT0_EES1_PKS1_PKT1_SA_S7_PKT3_PKT4_S5_PT5_21rocsparse_index_base_b, .Lfunc_end73-_ZN9rocsparseL20bsrxmvn_17_32_kernelILj26EflifffEEvT2_20rocsparse_direction_NS_24const_host_device_scalarIT0_EES1_PKS1_PKT1_SA_S7_PKT3_PKT4_S5_PT5_21rocsparse_index_base_b
                                        ; -- End function
	.set _ZN9rocsparseL20bsrxmvn_17_32_kernelILj26EflifffEEvT2_20rocsparse_direction_NS_24const_host_device_scalarIT0_EES1_PKS1_PKT1_SA_S7_PKT3_PKT4_S5_PT5_21rocsparse_index_base_b.num_vgpr, 16
	.set _ZN9rocsparseL20bsrxmvn_17_32_kernelILj26EflifffEEvT2_20rocsparse_direction_NS_24const_host_device_scalarIT0_EES1_PKS1_PKT1_SA_S7_PKT3_PKT4_S5_PT5_21rocsparse_index_base_b.num_agpr, 0
	.set _ZN9rocsparseL20bsrxmvn_17_32_kernelILj26EflifffEEvT2_20rocsparse_direction_NS_24const_host_device_scalarIT0_EES1_PKS1_PKT1_SA_S7_PKT3_PKT4_S5_PT5_21rocsparse_index_base_b.numbered_sgpr, 26
	.set _ZN9rocsparseL20bsrxmvn_17_32_kernelILj26EflifffEEvT2_20rocsparse_direction_NS_24const_host_device_scalarIT0_EES1_PKS1_PKT1_SA_S7_PKT3_PKT4_S5_PT5_21rocsparse_index_base_b.num_named_barrier, 0
	.set _ZN9rocsparseL20bsrxmvn_17_32_kernelILj26EflifffEEvT2_20rocsparse_direction_NS_24const_host_device_scalarIT0_EES1_PKS1_PKT1_SA_S7_PKT3_PKT4_S5_PT5_21rocsparse_index_base_b.private_seg_size, 0
	.set _ZN9rocsparseL20bsrxmvn_17_32_kernelILj26EflifffEEvT2_20rocsparse_direction_NS_24const_host_device_scalarIT0_EES1_PKS1_PKT1_SA_S7_PKT3_PKT4_S5_PT5_21rocsparse_index_base_b.uses_vcc, 1
	.set _ZN9rocsparseL20bsrxmvn_17_32_kernelILj26EflifffEEvT2_20rocsparse_direction_NS_24const_host_device_scalarIT0_EES1_PKS1_PKT1_SA_S7_PKT3_PKT4_S5_PT5_21rocsparse_index_base_b.uses_flat_scratch, 0
	.set _ZN9rocsparseL20bsrxmvn_17_32_kernelILj26EflifffEEvT2_20rocsparse_direction_NS_24const_host_device_scalarIT0_EES1_PKS1_PKT1_SA_S7_PKT3_PKT4_S5_PT5_21rocsparse_index_base_b.has_dyn_sized_stack, 0
	.set _ZN9rocsparseL20bsrxmvn_17_32_kernelILj26EflifffEEvT2_20rocsparse_direction_NS_24const_host_device_scalarIT0_EES1_PKS1_PKT1_SA_S7_PKT3_PKT4_S5_PT5_21rocsparse_index_base_b.has_recursion, 0
	.set _ZN9rocsparseL20bsrxmvn_17_32_kernelILj26EflifffEEvT2_20rocsparse_direction_NS_24const_host_device_scalarIT0_EES1_PKS1_PKT1_SA_S7_PKT3_PKT4_S5_PT5_21rocsparse_index_base_b.has_indirect_call, 0
	.section	.AMDGPU.csdata,"",@progbits
; Kernel info:
; codeLenInByte = 1312
; TotalNumSgprs: 30
; NumVgprs: 16
; ScratchSize: 0
; MemoryBound: 0
; FloatMode: 240
; IeeeMode: 1
; LDSByteSize: 2704 bytes/workgroup (compile time only)
; SGPRBlocks: 8
; VGPRBlocks: 6
; NumSGPRsForWavesPerEU: 65
; NumVGPRsForWavesPerEU: 25
; Occupancy: 9
; WaveLimiterHint : 1
; COMPUTE_PGM_RSRC2:SCRATCH_EN: 0
; COMPUTE_PGM_RSRC2:USER_SGPR: 6
; COMPUTE_PGM_RSRC2:TRAP_HANDLER: 0
; COMPUTE_PGM_RSRC2:TGID_X_EN: 1
; COMPUTE_PGM_RSRC2:TGID_Y_EN: 0
; COMPUTE_PGM_RSRC2:TGID_Z_EN: 0
; COMPUTE_PGM_RSRC2:TIDIG_COMP_CNT: 0
	.section	.text._ZN9rocsparseL20bsrxmvn_17_32_kernelILj27EflifffEEvT2_20rocsparse_direction_NS_24const_host_device_scalarIT0_EES1_PKS1_PKT1_SA_S7_PKT3_PKT4_S5_PT5_21rocsparse_index_base_b,"axG",@progbits,_ZN9rocsparseL20bsrxmvn_17_32_kernelILj27EflifffEEvT2_20rocsparse_direction_NS_24const_host_device_scalarIT0_EES1_PKS1_PKT1_SA_S7_PKT3_PKT4_S5_PT5_21rocsparse_index_base_b,comdat
	.globl	_ZN9rocsparseL20bsrxmvn_17_32_kernelILj27EflifffEEvT2_20rocsparse_direction_NS_24const_host_device_scalarIT0_EES1_PKS1_PKT1_SA_S7_PKT3_PKT4_S5_PT5_21rocsparse_index_base_b ; -- Begin function _ZN9rocsparseL20bsrxmvn_17_32_kernelILj27EflifffEEvT2_20rocsparse_direction_NS_24const_host_device_scalarIT0_EES1_PKS1_PKT1_SA_S7_PKT3_PKT4_S5_PT5_21rocsparse_index_base_b
	.p2align	8
	.type	_ZN9rocsparseL20bsrxmvn_17_32_kernelILj27EflifffEEvT2_20rocsparse_direction_NS_24const_host_device_scalarIT0_EES1_PKS1_PKT1_SA_S7_PKT3_PKT4_S5_PT5_21rocsparse_index_base_b,@function
_ZN9rocsparseL20bsrxmvn_17_32_kernelILj27EflifffEEvT2_20rocsparse_direction_NS_24const_host_device_scalarIT0_EES1_PKS1_PKT1_SA_S7_PKT3_PKT4_S5_PT5_21rocsparse_index_base_b: ; @_ZN9rocsparseL20bsrxmvn_17_32_kernelILj27EflifffEEvT2_20rocsparse_direction_NS_24const_host_device_scalarIT0_EES1_PKS1_PKT1_SA_S7_PKT3_PKT4_S5_PT5_21rocsparse_index_base_b
; %bb.0:
	s_load_dwordx2 s[18:19], s[4:5], 0x58
	s_load_dwordx2 s[14:15], s[4:5], 0x8
	;; [unrolled: 1-line block ×3, first 2 shown]
	s_waitcnt lgkmcnt(0)
	s_bitcmp1_b32 s19, 0
	s_cselect_b64 s[2:3], -1, 0
	s_xor_b64 s[0:1], s[2:3], -1
	s_and_b64 vcc, exec, s[2:3]
	s_cbranch_vccnz .LBB74_2
; %bb.1:
	s_load_dword s14, s[14:15], 0x0
.LBB74_2:
	s_andn2_b64 vcc, exec, s[0:1]
	s_cbranch_vccnz .LBB74_4
; %bb.3:
	s_load_dword s12, s[12:13], 0x0
.LBB74_4:
	s_waitcnt lgkmcnt(0)
	v_cmp_neq_f32_e64 s[0:1], s14, 0
	v_cmp_neq_f32_e64 s[2:3], s12, 1.0
	s_or_b64 s[0:1], s[0:1], s[2:3]
	s_andn2_b64 vcc, exec, s[0:1]
	s_cbranch_vccnz .LBB74_40
; %bb.5:
	s_load_dwordx4 s[0:3], s[4:5], 0x18
	s_load_dwordx2 s[8:9], s[4:5], 0x28
	s_waitcnt lgkmcnt(0)
	s_cmp_eq_u64 s[0:1], 0
	s_cbranch_scc1 .LBB74_7
; %bb.6:
	s_ashr_i32 s7, s6, 31
	s_lshl_b64 s[6:7], s[6:7], 2
	s_add_u32 s0, s0, s6
	s_addc_u32 s1, s1, s7
	s_load_dword s0, s[0:1], 0x0
	s_waitcnt lgkmcnt(0)
	s_sub_i32 s6, s0, s18
.LBB74_7:
	s_load_dword s7, s[4:5], 0x4
	s_load_dwordx2 s[16:17], s[4:5], 0x50
	v_mul_u32_u24_e32 v1, 0x97c, v0
	v_mov_b32_e32 v2, 27
	v_mul_lo_u16_sdwa v2, v1, v2 dst_sel:DWORD dst_unused:UNUSED_PAD src0_sel:WORD_1 src1_sel:DWORD
	s_waitcnt lgkmcnt(0)
	s_cmp_eq_u32 s7, 1
	s_cselect_b64 s[0:1], -1, 0
	s_cmp_lg_u32 s7, 1
	s_cselect_b64 s[20:21], -1, 0
	s_ashr_i32 s7, s6, 31
	s_lshl_b64 s[10:11], s[6:7], 3
	s_add_u32 s2, s2, s10
	s_addc_u32 s3, s3, s11
	s_add_u32 s7, s2, 8
	s_addc_u32 s13, s3, 0
	;; [unrolled: 2-line block ×3, first 2 shown]
	s_cmp_eq_u64 s[8:9], 0
	s_cselect_b32 s9, s13, s11
	s_cselect_b32 s8, s7, s10
	s_load_dwordx2 s[22:23], s[8:9], 0x0
	s_load_dwordx2 s[24:25], s[2:3], 0x0
	v_sub_u16_e32 v10, v0, v2
	v_mov_b32_e32 v9, 0
	v_lshlrev_b32_e32 v8, 2, v0
	s_waitcnt lgkmcnt(0)
	v_mov_b32_e32 v2, s22
	v_mov_b32_e32 v3, s23
	v_cmp_ge_i64_e32 vcc, s[24:25], v[2:3]
	s_cbranch_vccnz .LBB74_12
; %bb.8:
	s_load_dwordx4 s[8:11], s[4:5], 0x30
	s_load_dwordx2 s[2:3], s[4:5], 0x40
	s_sub_u32 s4, s22, s18
	s_mov_b32 s7, 0xffff
	s_subb_u32 s5, s23, 0
	s_movk_i32 s13, 0x2d9
	v_and_b32_sdwa v1, s7, v1 dst_sel:DWORD dst_unused:UNUSED_PAD src0_sel:DWORD src1_sel:WORD_1
	v_subrev_u32_e32 v2, 27, v1
	v_cmp_gt_u32_e32 vcc, s13, v0
	s_sub_u32 s22, s24, s18
	v_cndmask_b32_e32 v1, v2, v1, vcc
	s_subb_u32 s23, s25, 0
	v_cndmask_b32_e64 v1, v10, v1, s[0:1]
	s_mul_i32 s0, s23, 0xb64
	s_mul_hi_u32 s1, s22, 0xb64
	s_add_i32 s1, s1, s0
	s_mul_i32 s0, s22, 0xb64
	s_waitcnt lgkmcnt(0)
	s_add_u32 s0, s10, s0
	s_addc_u32 s1, s11, s1
	v_mov_b32_e32 v3, s1
	v_add_co_u32_e32 v2, vcc, s0, v8
	v_addc_co_u32_e32 v3, vcc, 0, v3, vcc
	s_movk_i32 s0, 0x2d8
	v_cmp_lt_u32_e32 vcc, s0, v0
	v_cndmask_b32_e64 v11, 0, 1, vcc
	v_mov_b32_e32 v4, s25
	v_add_co_u32_e32 v5, vcc, s24, v11
	v_addc_co_u32_e32 v6, vcc, 0, v4, vcc
	v_subrev_co_u32_e32 v4, vcc, s18, v5
	v_subbrev_co_u32_e32 v5, vcc, 0, v6, vcc
	v_lshlrev_b64 v[4:5], 2, v[4:5]
	v_mov_b32_e32 v6, s9
	v_add_co_u32_e32 v4, vcc, s8, v4
	v_addc_co_u32_e32 v5, vcc, v6, v5, vcc
	v_mov_b32_e32 v7, s5
	v_mov_b32_e32 v9, 0
	;; [unrolled: 1-line block ×3, first 2 shown]
	s_branch .LBB74_10
.LBB74_9:                               ;   in Loop: Header=BB74_10 Depth=1
	s_or_b64 exec, exec, s[0:1]
	s_add_u32 s22, s22, 1
	s_addc_u32 s23, s23, 0
	v_cmp_lt_i64_e32 vcc, s[22:23], v[6:7]
	v_add_co_u32_e64 v4, s[0:1], 4, v4
	v_addc_co_u32_e64 v5, s[0:1], 0, v5, s[0:1]
	s_cbranch_vccz .LBB74_12
.LBB74_10:                              ; =>This Inner Loop Header: Depth=1
	v_mov_b32_e32 v13, s23
	v_add_co_u32_e32 v12, vcc, s22, v11
	v_addc_co_u32_e32 v13, vcc, 0, v13, vcc
	v_cmp_gt_i64_e32 vcc, s[4:5], v[12:13]
	s_and_saveexec_b64 s[0:1], vcc
	s_cbranch_execz .LBB74_9
; %bb.11:                               ;   in Loop: Header=BB74_10 Depth=1
	global_load_dword v12, v[4:5], off
	v_mov_b32_e32 v15, s3
	global_load_dword v14, v[2:3], off
	s_waitcnt vmcnt(1)
	v_subrev_u32_e32 v12, s18, v12
	v_mad_u64_u32 v[12:13], s[8:9], v12, 27, v[1:2]
	v_ashrrev_i32_e32 v13, 31, v12
	v_lshlrev_b64 v[12:13], 2, v[12:13]
	v_add_co_u32_e32 v12, vcc, s2, v12
	v_addc_co_u32_e32 v13, vcc, v15, v13, vcc
	global_load_dword v12, v[12:13], off
	v_add_co_u32_e32 v2, vcc, 0xb64, v2
	v_addc_co_u32_e32 v3, vcc, 0, v3, vcc
	s_waitcnt vmcnt(0)
	v_fmac_f32_e32 v9, v14, v12
	s_branch .LBB74_9
.LBB74_12:
	s_and_b64 vcc, exec, s[20:21]
	ds_write_b32 v8, v9
	s_waitcnt lgkmcnt(0)
	s_barrier
	s_cbranch_vccz .LBB74_24
; %bb.13:
	v_cmp_gt_u16_e32 vcc, 11, v10
	s_and_saveexec_b64 s[0:1], vcc
	s_cbranch_execz .LBB74_15
; %bb.14:
	ds_read2_b32 v[1:2], v8 offset1:16
	s_waitcnt lgkmcnt(0)
	v_add_f32_e32 v1, v2, v1
	ds_write_b32 v8, v1
.LBB74_15:
	s_or_b64 exec, exec, s[0:1]
	v_cmp_gt_u16_e32 vcc, 8, v10
	s_waitcnt lgkmcnt(0)
	s_barrier
	s_and_saveexec_b64 s[0:1], vcc
	s_cbranch_execz .LBB74_17
; %bb.16:
	ds_read2_b32 v[1:2], v8 offset1:8
	s_waitcnt lgkmcnt(0)
	v_add_f32_e32 v1, v2, v1
	ds_write_b32 v8, v1
.LBB74_17:
	s_or_b64 exec, exec, s[0:1]
	v_cmp_gt_u16_e32 vcc, 4, v10
	s_waitcnt lgkmcnt(0)
	s_barrier
	;; [unrolled: 12-line block ×3, first 2 shown]
	s_and_saveexec_b64 s[0:1], vcc
	s_cbranch_execz .LBB74_21
; %bb.20:
	ds_read2_b32 v[1:2], v8 offset1:2
	s_waitcnt lgkmcnt(0)
	v_add_f32_e32 v1, v2, v1
	ds_write_b32 v8, v1
.LBB74_21:
	s_or_b64 exec, exec, s[0:1]
	v_cmp_gt_u32_e32 vcc, 27, v0
	v_mov_b32_e32 v1, v9
	s_waitcnt lgkmcnt(0)
	s_barrier
	s_and_saveexec_b64 s[0:1], vcc
	s_cbranch_execz .LBB74_23
; %bb.22:
	s_movk_i32 s2, 0x68
	v_mad_u32_u24 v1, v0, s2, v8
	ds_read2_b32 v[1:2], v1 offset1:1
	s_waitcnt lgkmcnt(0)
	v_add_f32_e32 v1, v1, v2
.LBB74_23:
	s_or_b64 exec, exec, s[0:1]
	s_branch .LBB74_36
.LBB74_24:
                                        ; implicit-def: $vgpr1
	s_cbranch_execz .LBB74_36
; %bb.25:
	s_movk_i32 s0, 0x129
	v_cmp_gt_u32_e32 vcc, s0, v0
	s_and_saveexec_b64 s[0:1], vcc
	s_cbranch_execz .LBB74_27
; %bb.26:
	ds_read_b32 v1, v8 offset:1728
	ds_read_b32 v2, v8
	s_waitcnt lgkmcnt(0)
	v_add_f32_e32 v1, v1, v2
	ds_write_b32 v8, v1
.LBB74_27:
	s_or_b64 exec, exec, s[0:1]
	s_movk_i32 s0, 0xd8
	v_cmp_gt_u32_e32 vcc, s0, v0
	s_waitcnt lgkmcnt(0)
	s_barrier
	s_and_saveexec_b64 s[0:1], vcc
	s_cbranch_execz .LBB74_29
; %bb.28:
	ds_read2_b32 v[1:2], v8 offset1:216
	s_waitcnt lgkmcnt(0)
	v_add_f32_e32 v1, v2, v1
	ds_write_b32 v8, v1
.LBB74_29:
	s_or_b64 exec, exec, s[0:1]
	s_movk_i32 s0, 0x6c
	v_cmp_gt_u32_e32 vcc, s0, v0
	s_waitcnt lgkmcnt(0)
	s_barrier
	s_and_saveexec_b64 s[0:1], vcc
	s_cbranch_execz .LBB74_31
; %bb.30:
	ds_read2_b32 v[1:2], v8 offset1:108
	s_waitcnt lgkmcnt(0)
	v_add_f32_e32 v1, v2, v1
	ds_write_b32 v8, v1
.LBB74_31:
	s_or_b64 exec, exec, s[0:1]
	v_cmp_gt_u32_e32 vcc, 54, v0
	s_waitcnt lgkmcnt(0)
	s_barrier
	s_and_saveexec_b64 s[0:1], vcc
	s_cbranch_execz .LBB74_33
; %bb.32:
	ds_read2_b32 v[1:2], v8 offset1:54
	s_waitcnt lgkmcnt(0)
	v_add_f32_e32 v1, v2, v1
	ds_write_b32 v8, v1
.LBB74_33:
	s_or_b64 exec, exec, s[0:1]
	v_cmp_gt_u32_e32 vcc, 27, v0
	s_waitcnt lgkmcnt(0)
	s_and_saveexec_b64 s[0:1], vcc
	s_cbranch_execz .LBB74_35
; %bb.34:
	ds_read2_b32 v[1:2], v8 offset1:27
	s_waitcnt lgkmcnt(0)
	v_add_f32_e32 v9, v1, v2
.LBB74_35:
	s_or_b64 exec, exec, s[0:1]
	v_mov_b32_e32 v1, v9
.LBB74_36:
	v_cmp_gt_u32_e32 vcc, 27, v0
	s_and_saveexec_b64 s[0:1], vcc
	s_cbranch_execz .LBB74_40
; %bb.37:
	v_cmp_eq_f32_e64 s[0:1], s12, 0
	s_and_b64 vcc, exec, s[0:1]
	v_mul_f32_e32 v1, s14, v1
	s_cbranch_vccz .LBB74_41
; %bb.38:
	v_mad_u64_u32 v[2:3], s[0:1], s6, 27, v[0:1]
	v_mov_b32_e32 v3, 0
	v_mov_b32_e32 v4, s17
	v_lshlrev_b64 v[2:3], 2, v[2:3]
	v_add_co_u32_e32 v2, vcc, s16, v2
	v_addc_co_u32_e32 v3, vcc, v4, v3, vcc
	global_store_dword v[2:3], v1, off
	s_cbranch_execnz .LBB74_40
.LBB74_39:
	v_mad_u64_u32 v[2:3], s[0:1], s6, 27, v[0:1]
	v_mov_b32_e32 v3, 0
	v_mov_b32_e32 v0, s17
	v_lshlrev_b64 v[2:3], 2, v[2:3]
	v_add_co_u32_e32 v2, vcc, s16, v2
	v_addc_co_u32_e32 v3, vcc, v0, v3, vcc
	global_load_dword v0, v[2:3], off
	s_waitcnt vmcnt(0)
	v_fmac_f32_e32 v1, s12, v0
	global_store_dword v[2:3], v1, off
.LBB74_40:
	s_endpgm
.LBB74_41:
	s_branch .LBB74_39
	.section	.rodata,"a",@progbits
	.p2align	6, 0x0
	.amdhsa_kernel _ZN9rocsparseL20bsrxmvn_17_32_kernelILj27EflifffEEvT2_20rocsparse_direction_NS_24const_host_device_scalarIT0_EES1_PKS1_PKT1_SA_S7_PKT3_PKT4_S5_PT5_21rocsparse_index_base_b
		.amdhsa_group_segment_fixed_size 2916
		.amdhsa_private_segment_fixed_size 0
		.amdhsa_kernarg_size 96
		.amdhsa_user_sgpr_count 6
		.amdhsa_user_sgpr_private_segment_buffer 1
		.amdhsa_user_sgpr_dispatch_ptr 0
		.amdhsa_user_sgpr_queue_ptr 0
		.amdhsa_user_sgpr_kernarg_segment_ptr 1
		.amdhsa_user_sgpr_dispatch_id 0
		.amdhsa_user_sgpr_flat_scratch_init 0
		.amdhsa_user_sgpr_private_segment_size 0
		.amdhsa_uses_dynamic_stack 0
		.amdhsa_system_sgpr_private_segment_wavefront_offset 0
		.amdhsa_system_sgpr_workgroup_id_x 1
		.amdhsa_system_sgpr_workgroup_id_y 0
		.amdhsa_system_sgpr_workgroup_id_z 0
		.amdhsa_system_sgpr_workgroup_info 0
		.amdhsa_system_vgpr_workitem_id 0
		.amdhsa_next_free_vgpr 25
		.amdhsa_next_free_sgpr 61
		.amdhsa_reserve_vcc 1
		.amdhsa_reserve_flat_scratch 0
		.amdhsa_float_round_mode_32 0
		.amdhsa_float_round_mode_16_64 0
		.amdhsa_float_denorm_mode_32 3
		.amdhsa_float_denorm_mode_16_64 3
		.amdhsa_dx10_clamp 1
		.amdhsa_ieee_mode 1
		.amdhsa_fp16_overflow 0
		.amdhsa_exception_fp_ieee_invalid_op 0
		.amdhsa_exception_fp_denorm_src 0
		.amdhsa_exception_fp_ieee_div_zero 0
		.amdhsa_exception_fp_ieee_overflow 0
		.amdhsa_exception_fp_ieee_underflow 0
		.amdhsa_exception_fp_ieee_inexact 0
		.amdhsa_exception_int_div_zero 0
	.end_amdhsa_kernel
	.section	.text._ZN9rocsparseL20bsrxmvn_17_32_kernelILj27EflifffEEvT2_20rocsparse_direction_NS_24const_host_device_scalarIT0_EES1_PKS1_PKT1_SA_S7_PKT3_PKT4_S5_PT5_21rocsparse_index_base_b,"axG",@progbits,_ZN9rocsparseL20bsrxmvn_17_32_kernelILj27EflifffEEvT2_20rocsparse_direction_NS_24const_host_device_scalarIT0_EES1_PKS1_PKT1_SA_S7_PKT3_PKT4_S5_PT5_21rocsparse_index_base_b,comdat
.Lfunc_end74:
	.size	_ZN9rocsparseL20bsrxmvn_17_32_kernelILj27EflifffEEvT2_20rocsparse_direction_NS_24const_host_device_scalarIT0_EES1_PKS1_PKT1_SA_S7_PKT3_PKT4_S5_PT5_21rocsparse_index_base_b, .Lfunc_end74-_ZN9rocsparseL20bsrxmvn_17_32_kernelILj27EflifffEEvT2_20rocsparse_direction_NS_24const_host_device_scalarIT0_EES1_PKS1_PKT1_SA_S7_PKT3_PKT4_S5_PT5_21rocsparse_index_base_b
                                        ; -- End function
	.set _ZN9rocsparseL20bsrxmvn_17_32_kernelILj27EflifffEEvT2_20rocsparse_direction_NS_24const_host_device_scalarIT0_EES1_PKS1_PKT1_SA_S7_PKT3_PKT4_S5_PT5_21rocsparse_index_base_b.num_vgpr, 16
	.set _ZN9rocsparseL20bsrxmvn_17_32_kernelILj27EflifffEEvT2_20rocsparse_direction_NS_24const_host_device_scalarIT0_EES1_PKS1_PKT1_SA_S7_PKT3_PKT4_S5_PT5_21rocsparse_index_base_b.num_agpr, 0
	.set _ZN9rocsparseL20bsrxmvn_17_32_kernelILj27EflifffEEvT2_20rocsparse_direction_NS_24const_host_device_scalarIT0_EES1_PKS1_PKT1_SA_S7_PKT3_PKT4_S5_PT5_21rocsparse_index_base_b.numbered_sgpr, 26
	.set _ZN9rocsparseL20bsrxmvn_17_32_kernelILj27EflifffEEvT2_20rocsparse_direction_NS_24const_host_device_scalarIT0_EES1_PKS1_PKT1_SA_S7_PKT3_PKT4_S5_PT5_21rocsparse_index_base_b.num_named_barrier, 0
	.set _ZN9rocsparseL20bsrxmvn_17_32_kernelILj27EflifffEEvT2_20rocsparse_direction_NS_24const_host_device_scalarIT0_EES1_PKS1_PKT1_SA_S7_PKT3_PKT4_S5_PT5_21rocsparse_index_base_b.private_seg_size, 0
	.set _ZN9rocsparseL20bsrxmvn_17_32_kernelILj27EflifffEEvT2_20rocsparse_direction_NS_24const_host_device_scalarIT0_EES1_PKS1_PKT1_SA_S7_PKT3_PKT4_S5_PT5_21rocsparse_index_base_b.uses_vcc, 1
	.set _ZN9rocsparseL20bsrxmvn_17_32_kernelILj27EflifffEEvT2_20rocsparse_direction_NS_24const_host_device_scalarIT0_EES1_PKS1_PKT1_SA_S7_PKT3_PKT4_S5_PT5_21rocsparse_index_base_b.uses_flat_scratch, 0
	.set _ZN9rocsparseL20bsrxmvn_17_32_kernelILj27EflifffEEvT2_20rocsparse_direction_NS_24const_host_device_scalarIT0_EES1_PKS1_PKT1_SA_S7_PKT3_PKT4_S5_PT5_21rocsparse_index_base_b.has_dyn_sized_stack, 0
	.set _ZN9rocsparseL20bsrxmvn_17_32_kernelILj27EflifffEEvT2_20rocsparse_direction_NS_24const_host_device_scalarIT0_EES1_PKS1_PKT1_SA_S7_PKT3_PKT4_S5_PT5_21rocsparse_index_base_b.has_recursion, 0
	.set _ZN9rocsparseL20bsrxmvn_17_32_kernelILj27EflifffEEvT2_20rocsparse_direction_NS_24const_host_device_scalarIT0_EES1_PKS1_PKT1_SA_S7_PKT3_PKT4_S5_PT5_21rocsparse_index_base_b.has_indirect_call, 0
	.section	.AMDGPU.csdata,"",@progbits
; Kernel info:
; codeLenInByte = 1312
; TotalNumSgprs: 30
; NumVgprs: 16
; ScratchSize: 0
; MemoryBound: 0
; FloatMode: 240
; IeeeMode: 1
; LDSByteSize: 2916 bytes/workgroup (compile time only)
; SGPRBlocks: 8
; VGPRBlocks: 6
; NumSGPRsForWavesPerEU: 65
; NumVGPRsForWavesPerEU: 25
; Occupancy: 9
; WaveLimiterHint : 1
; COMPUTE_PGM_RSRC2:SCRATCH_EN: 0
; COMPUTE_PGM_RSRC2:USER_SGPR: 6
; COMPUTE_PGM_RSRC2:TRAP_HANDLER: 0
; COMPUTE_PGM_RSRC2:TGID_X_EN: 1
; COMPUTE_PGM_RSRC2:TGID_Y_EN: 0
; COMPUTE_PGM_RSRC2:TGID_Z_EN: 0
; COMPUTE_PGM_RSRC2:TIDIG_COMP_CNT: 0
	.section	.text._ZN9rocsparseL20bsrxmvn_17_32_kernelILj28EflifffEEvT2_20rocsparse_direction_NS_24const_host_device_scalarIT0_EES1_PKS1_PKT1_SA_S7_PKT3_PKT4_S5_PT5_21rocsparse_index_base_b,"axG",@progbits,_ZN9rocsparseL20bsrxmvn_17_32_kernelILj28EflifffEEvT2_20rocsparse_direction_NS_24const_host_device_scalarIT0_EES1_PKS1_PKT1_SA_S7_PKT3_PKT4_S5_PT5_21rocsparse_index_base_b,comdat
	.globl	_ZN9rocsparseL20bsrxmvn_17_32_kernelILj28EflifffEEvT2_20rocsparse_direction_NS_24const_host_device_scalarIT0_EES1_PKS1_PKT1_SA_S7_PKT3_PKT4_S5_PT5_21rocsparse_index_base_b ; -- Begin function _ZN9rocsparseL20bsrxmvn_17_32_kernelILj28EflifffEEvT2_20rocsparse_direction_NS_24const_host_device_scalarIT0_EES1_PKS1_PKT1_SA_S7_PKT3_PKT4_S5_PT5_21rocsparse_index_base_b
	.p2align	8
	.type	_ZN9rocsparseL20bsrxmvn_17_32_kernelILj28EflifffEEvT2_20rocsparse_direction_NS_24const_host_device_scalarIT0_EES1_PKS1_PKT1_SA_S7_PKT3_PKT4_S5_PT5_21rocsparse_index_base_b,@function
_ZN9rocsparseL20bsrxmvn_17_32_kernelILj28EflifffEEvT2_20rocsparse_direction_NS_24const_host_device_scalarIT0_EES1_PKS1_PKT1_SA_S7_PKT3_PKT4_S5_PT5_21rocsparse_index_base_b: ; @_ZN9rocsparseL20bsrxmvn_17_32_kernelILj28EflifffEEvT2_20rocsparse_direction_NS_24const_host_device_scalarIT0_EES1_PKS1_PKT1_SA_S7_PKT3_PKT4_S5_PT5_21rocsparse_index_base_b
; %bb.0:
	s_load_dwordx2 s[18:19], s[4:5], 0x58
	s_load_dwordx2 s[14:15], s[4:5], 0x8
	;; [unrolled: 1-line block ×3, first 2 shown]
	s_waitcnt lgkmcnt(0)
	s_bitcmp1_b32 s19, 0
	s_cselect_b64 s[2:3], -1, 0
	s_xor_b64 s[0:1], s[2:3], -1
	s_and_b64 vcc, exec, s[2:3]
	s_cbranch_vccnz .LBB75_2
; %bb.1:
	s_load_dword s14, s[14:15], 0x0
.LBB75_2:
	s_andn2_b64 vcc, exec, s[0:1]
	s_cbranch_vccnz .LBB75_4
; %bb.3:
	s_load_dword s12, s[12:13], 0x0
.LBB75_4:
	s_waitcnt lgkmcnt(0)
	v_cmp_neq_f32_e64 s[0:1], s14, 0
	v_cmp_neq_f32_e64 s[2:3], s12, 1.0
	s_or_b64 s[0:1], s[0:1], s[2:3]
	s_andn2_b64 vcc, exec, s[0:1]
	s_cbranch_vccnz .LBB75_40
; %bb.5:
	s_load_dwordx4 s[0:3], s[4:5], 0x18
	s_load_dwordx2 s[8:9], s[4:5], 0x28
	s_waitcnt lgkmcnt(0)
	s_cmp_eq_u64 s[0:1], 0
	s_cbranch_scc1 .LBB75_7
; %bb.6:
	s_ashr_i32 s7, s6, 31
	s_lshl_b64 s[6:7], s[6:7], 2
	s_add_u32 s0, s0, s6
	s_addc_u32 s1, s1, s7
	s_load_dword s0, s[0:1], 0x0
	s_waitcnt lgkmcnt(0)
	s_sub_i32 s6, s0, s18
.LBB75_7:
	s_load_dword s7, s[4:5], 0x4
	s_load_dwordx2 s[16:17], s[4:5], 0x50
	v_mul_u32_u24_e32 v1, 0x925, v0
	v_mov_b32_e32 v2, 28
	v_mul_lo_u16_sdwa v2, v1, v2 dst_sel:DWORD dst_unused:UNUSED_PAD src0_sel:WORD_1 src1_sel:DWORD
	s_waitcnt lgkmcnt(0)
	s_cmp_eq_u32 s7, 1
	s_cselect_b64 s[0:1], -1, 0
	s_cmp_lg_u32 s7, 1
	s_cselect_b64 s[20:21], -1, 0
	s_ashr_i32 s7, s6, 31
	s_lshl_b64 s[10:11], s[6:7], 3
	s_add_u32 s2, s2, s10
	s_addc_u32 s3, s3, s11
	s_add_u32 s7, s2, 8
	s_addc_u32 s13, s3, 0
	;; [unrolled: 2-line block ×3, first 2 shown]
	s_cmp_eq_u64 s[8:9], 0
	s_cselect_b32 s9, s13, s11
	s_cselect_b32 s8, s7, s10
	s_load_dwordx2 s[22:23], s[8:9], 0x0
	s_load_dwordx2 s[24:25], s[2:3], 0x0
	v_sub_u16_e32 v10, v0, v2
	v_mov_b32_e32 v9, 0
	v_lshlrev_b32_e32 v8, 2, v0
	s_waitcnt lgkmcnt(0)
	v_mov_b32_e32 v2, s22
	v_mov_b32_e32 v3, s23
	v_cmp_ge_i64_e32 vcc, s[24:25], v[2:3]
	s_cbranch_vccnz .LBB75_12
; %bb.8:
	s_load_dwordx4 s[8:11], s[4:5], 0x30
	s_load_dwordx2 s[2:3], s[4:5], 0x40
	s_sub_u32 s4, s22, s18
	s_mov_b32 s7, 0xffff
	s_subb_u32 s5, s23, 0
	s_movk_i32 s13, 0x310
	v_and_b32_sdwa v1, s7, v1 dst_sel:DWORD dst_unused:UNUSED_PAD src0_sel:DWORD src1_sel:WORD_1
	v_subrev_u32_e32 v2, 28, v1
	v_cmp_gt_u32_e32 vcc, s13, v0
	s_sub_u32 s22, s24, s18
	v_cndmask_b32_e32 v1, v2, v1, vcc
	s_subb_u32 s23, s25, 0
	v_cndmask_b32_e64 v1, v10, v1, s[0:1]
	s_mul_i32 s0, s23, 0xc40
	s_mul_hi_u32 s1, s22, 0xc40
	s_add_i32 s1, s1, s0
	s_mul_i32 s0, s22, 0xc40
	s_waitcnt lgkmcnt(0)
	s_add_u32 s0, s10, s0
	s_addc_u32 s1, s11, s1
	v_mov_b32_e32 v3, s1
	v_add_co_u32_e32 v2, vcc, s0, v8
	v_addc_co_u32_e32 v3, vcc, 0, v3, vcc
	s_movk_i32 s0, 0x30f
	v_cmp_lt_u32_e32 vcc, s0, v0
	v_cndmask_b32_e64 v11, 0, 1, vcc
	v_mov_b32_e32 v4, s25
	v_add_co_u32_e32 v5, vcc, s24, v11
	v_addc_co_u32_e32 v6, vcc, 0, v4, vcc
	v_subrev_co_u32_e32 v4, vcc, s18, v5
	v_subbrev_co_u32_e32 v5, vcc, 0, v6, vcc
	v_lshlrev_b64 v[4:5], 2, v[4:5]
	v_mov_b32_e32 v6, s9
	v_add_co_u32_e32 v4, vcc, s8, v4
	v_addc_co_u32_e32 v5, vcc, v6, v5, vcc
	v_mov_b32_e32 v7, s5
	v_mov_b32_e32 v9, 0
	;; [unrolled: 1-line block ×3, first 2 shown]
	s_branch .LBB75_10
.LBB75_9:                               ;   in Loop: Header=BB75_10 Depth=1
	s_or_b64 exec, exec, s[0:1]
	s_add_u32 s22, s22, 1
	s_addc_u32 s23, s23, 0
	v_cmp_lt_i64_e32 vcc, s[22:23], v[6:7]
	v_add_co_u32_e64 v4, s[0:1], 4, v4
	v_addc_co_u32_e64 v5, s[0:1], 0, v5, s[0:1]
	s_cbranch_vccz .LBB75_12
.LBB75_10:                              ; =>This Inner Loop Header: Depth=1
	v_mov_b32_e32 v13, s23
	v_add_co_u32_e32 v12, vcc, s22, v11
	v_addc_co_u32_e32 v13, vcc, 0, v13, vcc
	v_cmp_gt_i64_e32 vcc, s[4:5], v[12:13]
	s_and_saveexec_b64 s[0:1], vcc
	s_cbranch_execz .LBB75_9
; %bb.11:                               ;   in Loop: Header=BB75_10 Depth=1
	global_load_dword v12, v[4:5], off
	v_mov_b32_e32 v15, s3
	global_load_dword v14, v[2:3], off
	s_waitcnt vmcnt(1)
	v_subrev_u32_e32 v12, s18, v12
	v_mad_u64_u32 v[12:13], s[8:9], v12, 28, v[1:2]
	v_ashrrev_i32_e32 v13, 31, v12
	v_lshlrev_b64 v[12:13], 2, v[12:13]
	v_add_co_u32_e32 v12, vcc, s2, v12
	v_addc_co_u32_e32 v13, vcc, v15, v13, vcc
	global_load_dword v12, v[12:13], off
	v_add_co_u32_e32 v2, vcc, 0xc40, v2
	v_addc_co_u32_e32 v3, vcc, 0, v3, vcc
	s_waitcnt vmcnt(0)
	v_fmac_f32_e32 v9, v14, v12
	s_branch .LBB75_9
.LBB75_12:
	s_and_b64 vcc, exec, s[20:21]
	ds_write_b32 v8, v9
	s_waitcnt lgkmcnt(0)
	s_barrier
	s_cbranch_vccz .LBB75_24
; %bb.13:
	v_cmp_gt_u16_e32 vcc, 12, v10
	s_and_saveexec_b64 s[0:1], vcc
	s_cbranch_execz .LBB75_15
; %bb.14:
	ds_read2_b32 v[1:2], v8 offset1:16
	s_waitcnt lgkmcnt(0)
	v_add_f32_e32 v1, v2, v1
	ds_write_b32 v8, v1
.LBB75_15:
	s_or_b64 exec, exec, s[0:1]
	v_cmp_gt_u16_e32 vcc, 8, v10
	s_waitcnt lgkmcnt(0)
	s_barrier
	s_and_saveexec_b64 s[0:1], vcc
	s_cbranch_execz .LBB75_17
; %bb.16:
	ds_read2_b32 v[1:2], v8 offset1:8
	s_waitcnt lgkmcnt(0)
	v_add_f32_e32 v1, v2, v1
	ds_write_b32 v8, v1
.LBB75_17:
	s_or_b64 exec, exec, s[0:1]
	v_cmp_gt_u16_e32 vcc, 4, v10
	s_waitcnt lgkmcnt(0)
	s_barrier
	;; [unrolled: 12-line block ×3, first 2 shown]
	s_and_saveexec_b64 s[0:1], vcc
	s_cbranch_execz .LBB75_21
; %bb.20:
	ds_read2_b32 v[1:2], v8 offset1:2
	s_waitcnt lgkmcnt(0)
	v_add_f32_e32 v1, v2, v1
	ds_write_b32 v8, v1
.LBB75_21:
	s_or_b64 exec, exec, s[0:1]
	v_cmp_gt_u32_e32 vcc, 28, v0
	v_mov_b32_e32 v1, v9
	s_waitcnt lgkmcnt(0)
	s_barrier
	s_and_saveexec_b64 s[0:1], vcc
	s_cbranch_execz .LBB75_23
; %bb.22:
	s_movk_i32 s2, 0x6c
	v_mad_u32_u24 v1, v0, s2, v8
	ds_read_b64 v[1:2], v1
	s_waitcnt lgkmcnt(0)
	v_add_f32_e32 v1, v1, v2
.LBB75_23:
	s_or_b64 exec, exec, s[0:1]
	s_branch .LBB75_36
.LBB75_24:
                                        ; implicit-def: $vgpr1
	s_cbranch_execz .LBB75_36
; %bb.25:
	s_movk_i32 s0, 0x150
	v_cmp_gt_u32_e32 vcc, s0, v0
	s_and_saveexec_b64 s[0:1], vcc
	s_cbranch_execz .LBB75_27
; %bb.26:
	ds_read2st64_b32 v[1:2], v8 offset1:7
	s_waitcnt lgkmcnt(0)
	v_add_f32_e32 v1, v2, v1
	ds_write_b32 v8, v1
.LBB75_27:
	s_or_b64 exec, exec, s[0:1]
	s_movk_i32 s0, 0xe0
	v_cmp_gt_u32_e32 vcc, s0, v0
	s_waitcnt lgkmcnt(0)
	s_barrier
	s_and_saveexec_b64 s[0:1], vcc
	s_cbranch_execz .LBB75_29
; %bb.28:
	ds_read2_b32 v[1:2], v8 offset1:224
	s_waitcnt lgkmcnt(0)
	v_add_f32_e32 v1, v2, v1
	ds_write_b32 v8, v1
.LBB75_29:
	s_or_b64 exec, exec, s[0:1]
	s_movk_i32 s0, 0x70
	v_cmp_gt_u32_e32 vcc, s0, v0
	s_waitcnt lgkmcnt(0)
	s_barrier
	s_and_saveexec_b64 s[0:1], vcc
	s_cbranch_execz .LBB75_31
; %bb.30:
	ds_read2_b32 v[1:2], v8 offset1:112
	s_waitcnt lgkmcnt(0)
	v_add_f32_e32 v1, v2, v1
	ds_write_b32 v8, v1
.LBB75_31:
	s_or_b64 exec, exec, s[0:1]
	v_cmp_gt_u32_e32 vcc, 56, v0
	s_waitcnt lgkmcnt(0)
	s_barrier
	s_and_saveexec_b64 s[0:1], vcc
	s_cbranch_execz .LBB75_33
; %bb.32:
	ds_read2_b32 v[1:2], v8 offset1:56
	s_waitcnt lgkmcnt(0)
	v_add_f32_e32 v1, v2, v1
	ds_write_b32 v8, v1
.LBB75_33:
	s_or_b64 exec, exec, s[0:1]
	v_cmp_gt_u32_e32 vcc, 28, v0
	s_waitcnt lgkmcnt(0)
	s_and_saveexec_b64 s[0:1], vcc
	s_cbranch_execz .LBB75_35
; %bb.34:
	ds_read2_b32 v[1:2], v8 offset1:28
	s_waitcnt lgkmcnt(0)
	v_add_f32_e32 v9, v1, v2
.LBB75_35:
	s_or_b64 exec, exec, s[0:1]
	v_mov_b32_e32 v1, v9
.LBB75_36:
	v_cmp_gt_u32_e32 vcc, 28, v0
	s_and_saveexec_b64 s[0:1], vcc
	s_cbranch_execz .LBB75_40
; %bb.37:
	v_cmp_eq_f32_e64 s[0:1], s12, 0
	s_and_b64 vcc, exec, s[0:1]
	v_mul_f32_e32 v1, s14, v1
	s_cbranch_vccz .LBB75_41
; %bb.38:
	v_mad_u64_u32 v[2:3], s[0:1], s6, 28, v[0:1]
	v_mov_b32_e32 v3, 0
	v_mov_b32_e32 v4, s17
	v_lshlrev_b64 v[2:3], 2, v[2:3]
	v_add_co_u32_e32 v2, vcc, s16, v2
	v_addc_co_u32_e32 v3, vcc, v4, v3, vcc
	global_store_dword v[2:3], v1, off
	s_cbranch_execnz .LBB75_40
.LBB75_39:
	v_mad_u64_u32 v[2:3], s[0:1], s6, 28, v[0:1]
	v_mov_b32_e32 v3, 0
	v_mov_b32_e32 v0, s17
	v_lshlrev_b64 v[2:3], 2, v[2:3]
	v_add_co_u32_e32 v2, vcc, s16, v2
	v_addc_co_u32_e32 v3, vcc, v0, v3, vcc
	global_load_dword v0, v[2:3], off
	s_waitcnt vmcnt(0)
	v_fmac_f32_e32 v1, s12, v0
	global_store_dword v[2:3], v1, off
.LBB75_40:
	s_endpgm
.LBB75_41:
	s_branch .LBB75_39
	.section	.rodata,"a",@progbits
	.p2align	6, 0x0
	.amdhsa_kernel _ZN9rocsparseL20bsrxmvn_17_32_kernelILj28EflifffEEvT2_20rocsparse_direction_NS_24const_host_device_scalarIT0_EES1_PKS1_PKT1_SA_S7_PKT3_PKT4_S5_PT5_21rocsparse_index_base_b
		.amdhsa_group_segment_fixed_size 3136
		.amdhsa_private_segment_fixed_size 0
		.amdhsa_kernarg_size 96
		.amdhsa_user_sgpr_count 6
		.amdhsa_user_sgpr_private_segment_buffer 1
		.amdhsa_user_sgpr_dispatch_ptr 0
		.amdhsa_user_sgpr_queue_ptr 0
		.amdhsa_user_sgpr_kernarg_segment_ptr 1
		.amdhsa_user_sgpr_dispatch_id 0
		.amdhsa_user_sgpr_flat_scratch_init 0
		.amdhsa_user_sgpr_private_segment_size 0
		.amdhsa_uses_dynamic_stack 0
		.amdhsa_system_sgpr_private_segment_wavefront_offset 0
		.amdhsa_system_sgpr_workgroup_id_x 1
		.amdhsa_system_sgpr_workgroup_id_y 0
		.amdhsa_system_sgpr_workgroup_id_z 0
		.amdhsa_system_sgpr_workgroup_info 0
		.amdhsa_system_vgpr_workitem_id 0
		.amdhsa_next_free_vgpr 16
		.amdhsa_next_free_sgpr 26
		.amdhsa_reserve_vcc 1
		.amdhsa_reserve_flat_scratch 0
		.amdhsa_float_round_mode_32 0
		.amdhsa_float_round_mode_16_64 0
		.amdhsa_float_denorm_mode_32 3
		.amdhsa_float_denorm_mode_16_64 3
		.amdhsa_dx10_clamp 1
		.amdhsa_ieee_mode 1
		.amdhsa_fp16_overflow 0
		.amdhsa_exception_fp_ieee_invalid_op 0
		.amdhsa_exception_fp_denorm_src 0
		.amdhsa_exception_fp_ieee_div_zero 0
		.amdhsa_exception_fp_ieee_overflow 0
		.amdhsa_exception_fp_ieee_underflow 0
		.amdhsa_exception_fp_ieee_inexact 0
		.amdhsa_exception_int_div_zero 0
	.end_amdhsa_kernel
	.section	.text._ZN9rocsparseL20bsrxmvn_17_32_kernelILj28EflifffEEvT2_20rocsparse_direction_NS_24const_host_device_scalarIT0_EES1_PKS1_PKT1_SA_S7_PKT3_PKT4_S5_PT5_21rocsparse_index_base_b,"axG",@progbits,_ZN9rocsparseL20bsrxmvn_17_32_kernelILj28EflifffEEvT2_20rocsparse_direction_NS_24const_host_device_scalarIT0_EES1_PKS1_PKT1_SA_S7_PKT3_PKT4_S5_PT5_21rocsparse_index_base_b,comdat
.Lfunc_end75:
	.size	_ZN9rocsparseL20bsrxmvn_17_32_kernelILj28EflifffEEvT2_20rocsparse_direction_NS_24const_host_device_scalarIT0_EES1_PKS1_PKT1_SA_S7_PKT3_PKT4_S5_PT5_21rocsparse_index_base_b, .Lfunc_end75-_ZN9rocsparseL20bsrxmvn_17_32_kernelILj28EflifffEEvT2_20rocsparse_direction_NS_24const_host_device_scalarIT0_EES1_PKS1_PKT1_SA_S7_PKT3_PKT4_S5_PT5_21rocsparse_index_base_b
                                        ; -- End function
	.set _ZN9rocsparseL20bsrxmvn_17_32_kernelILj28EflifffEEvT2_20rocsparse_direction_NS_24const_host_device_scalarIT0_EES1_PKS1_PKT1_SA_S7_PKT3_PKT4_S5_PT5_21rocsparse_index_base_b.num_vgpr, 16
	.set _ZN9rocsparseL20bsrxmvn_17_32_kernelILj28EflifffEEvT2_20rocsparse_direction_NS_24const_host_device_scalarIT0_EES1_PKS1_PKT1_SA_S7_PKT3_PKT4_S5_PT5_21rocsparse_index_base_b.num_agpr, 0
	.set _ZN9rocsparseL20bsrxmvn_17_32_kernelILj28EflifffEEvT2_20rocsparse_direction_NS_24const_host_device_scalarIT0_EES1_PKS1_PKT1_SA_S7_PKT3_PKT4_S5_PT5_21rocsparse_index_base_b.numbered_sgpr, 26
	.set _ZN9rocsparseL20bsrxmvn_17_32_kernelILj28EflifffEEvT2_20rocsparse_direction_NS_24const_host_device_scalarIT0_EES1_PKS1_PKT1_SA_S7_PKT3_PKT4_S5_PT5_21rocsparse_index_base_b.num_named_barrier, 0
	.set _ZN9rocsparseL20bsrxmvn_17_32_kernelILj28EflifffEEvT2_20rocsparse_direction_NS_24const_host_device_scalarIT0_EES1_PKS1_PKT1_SA_S7_PKT3_PKT4_S5_PT5_21rocsparse_index_base_b.private_seg_size, 0
	.set _ZN9rocsparseL20bsrxmvn_17_32_kernelILj28EflifffEEvT2_20rocsparse_direction_NS_24const_host_device_scalarIT0_EES1_PKS1_PKT1_SA_S7_PKT3_PKT4_S5_PT5_21rocsparse_index_base_b.uses_vcc, 1
	.set _ZN9rocsparseL20bsrxmvn_17_32_kernelILj28EflifffEEvT2_20rocsparse_direction_NS_24const_host_device_scalarIT0_EES1_PKS1_PKT1_SA_S7_PKT3_PKT4_S5_PT5_21rocsparse_index_base_b.uses_flat_scratch, 0
	.set _ZN9rocsparseL20bsrxmvn_17_32_kernelILj28EflifffEEvT2_20rocsparse_direction_NS_24const_host_device_scalarIT0_EES1_PKS1_PKT1_SA_S7_PKT3_PKT4_S5_PT5_21rocsparse_index_base_b.has_dyn_sized_stack, 0
	.set _ZN9rocsparseL20bsrxmvn_17_32_kernelILj28EflifffEEvT2_20rocsparse_direction_NS_24const_host_device_scalarIT0_EES1_PKS1_PKT1_SA_S7_PKT3_PKT4_S5_PT5_21rocsparse_index_base_b.has_recursion, 0
	.set _ZN9rocsparseL20bsrxmvn_17_32_kernelILj28EflifffEEvT2_20rocsparse_direction_NS_24const_host_device_scalarIT0_EES1_PKS1_PKT1_SA_S7_PKT3_PKT4_S5_PT5_21rocsparse_index_base_b.has_indirect_call, 0
	.section	.AMDGPU.csdata,"",@progbits
; Kernel info:
; codeLenInByte = 1304
; TotalNumSgprs: 30
; NumVgprs: 16
; ScratchSize: 0
; MemoryBound: 0
; FloatMode: 240
; IeeeMode: 1
; LDSByteSize: 3136 bytes/workgroup (compile time only)
; SGPRBlocks: 3
; VGPRBlocks: 3
; NumSGPRsForWavesPerEU: 30
; NumVGPRsForWavesPerEU: 16
; Occupancy: 10
; WaveLimiterHint : 1
; COMPUTE_PGM_RSRC2:SCRATCH_EN: 0
; COMPUTE_PGM_RSRC2:USER_SGPR: 6
; COMPUTE_PGM_RSRC2:TRAP_HANDLER: 0
; COMPUTE_PGM_RSRC2:TGID_X_EN: 1
; COMPUTE_PGM_RSRC2:TGID_Y_EN: 0
; COMPUTE_PGM_RSRC2:TGID_Z_EN: 0
; COMPUTE_PGM_RSRC2:TIDIG_COMP_CNT: 0
	.section	.text._ZN9rocsparseL20bsrxmvn_17_32_kernelILj29EflifffEEvT2_20rocsparse_direction_NS_24const_host_device_scalarIT0_EES1_PKS1_PKT1_SA_S7_PKT3_PKT4_S5_PT5_21rocsparse_index_base_b,"axG",@progbits,_ZN9rocsparseL20bsrxmvn_17_32_kernelILj29EflifffEEvT2_20rocsparse_direction_NS_24const_host_device_scalarIT0_EES1_PKS1_PKT1_SA_S7_PKT3_PKT4_S5_PT5_21rocsparse_index_base_b,comdat
	.globl	_ZN9rocsparseL20bsrxmvn_17_32_kernelILj29EflifffEEvT2_20rocsparse_direction_NS_24const_host_device_scalarIT0_EES1_PKS1_PKT1_SA_S7_PKT3_PKT4_S5_PT5_21rocsparse_index_base_b ; -- Begin function _ZN9rocsparseL20bsrxmvn_17_32_kernelILj29EflifffEEvT2_20rocsparse_direction_NS_24const_host_device_scalarIT0_EES1_PKS1_PKT1_SA_S7_PKT3_PKT4_S5_PT5_21rocsparse_index_base_b
	.p2align	8
	.type	_ZN9rocsparseL20bsrxmvn_17_32_kernelILj29EflifffEEvT2_20rocsparse_direction_NS_24const_host_device_scalarIT0_EES1_PKS1_PKT1_SA_S7_PKT3_PKT4_S5_PT5_21rocsparse_index_base_b,@function
_ZN9rocsparseL20bsrxmvn_17_32_kernelILj29EflifffEEvT2_20rocsparse_direction_NS_24const_host_device_scalarIT0_EES1_PKS1_PKT1_SA_S7_PKT3_PKT4_S5_PT5_21rocsparse_index_base_b: ; @_ZN9rocsparseL20bsrxmvn_17_32_kernelILj29EflifffEEvT2_20rocsparse_direction_NS_24const_host_device_scalarIT0_EES1_PKS1_PKT1_SA_S7_PKT3_PKT4_S5_PT5_21rocsparse_index_base_b
; %bb.0:
	s_load_dwordx2 s[18:19], s[4:5], 0x58
	s_load_dwordx2 s[14:15], s[4:5], 0x8
	;; [unrolled: 1-line block ×3, first 2 shown]
	s_waitcnt lgkmcnt(0)
	s_bitcmp1_b32 s19, 0
	s_cselect_b64 s[2:3], -1, 0
	s_xor_b64 s[0:1], s[2:3], -1
	s_and_b64 vcc, exec, s[2:3]
	s_cbranch_vccnz .LBB76_2
; %bb.1:
	s_load_dword s14, s[14:15], 0x0
.LBB76_2:
	s_andn2_b64 vcc, exec, s[0:1]
	s_cbranch_vccnz .LBB76_4
; %bb.3:
	s_load_dword s12, s[12:13], 0x0
.LBB76_4:
	s_waitcnt lgkmcnt(0)
	v_cmp_neq_f32_e64 s[0:1], s14, 0
	v_cmp_neq_f32_e64 s[2:3], s12, 1.0
	s_or_b64 s[0:1], s[0:1], s[2:3]
	s_andn2_b64 vcc, exec, s[0:1]
	s_cbranch_vccnz .LBB76_40
; %bb.5:
	s_load_dwordx4 s[0:3], s[4:5], 0x18
	s_load_dwordx2 s[8:9], s[4:5], 0x28
	s_waitcnt lgkmcnt(0)
	s_cmp_eq_u64 s[0:1], 0
	s_cbranch_scc1 .LBB76_7
; %bb.6:
	s_ashr_i32 s7, s6, 31
	s_lshl_b64 s[6:7], s[6:7], 2
	s_add_u32 s0, s0, s6
	s_addc_u32 s1, s1, s7
	s_load_dword s0, s[0:1], 0x0
	s_waitcnt lgkmcnt(0)
	s_sub_i32 s6, s0, s18
.LBB76_7:
	s_load_dword s7, s[4:5], 0x4
	s_load_dwordx2 s[16:17], s[4:5], 0x50
	v_mul_u32_u24_e32 v1, 0x8d4, v0
	v_mov_b32_e32 v2, 29
	v_mul_lo_u16_sdwa v2, v1, v2 dst_sel:DWORD dst_unused:UNUSED_PAD src0_sel:WORD_1 src1_sel:DWORD
	s_waitcnt lgkmcnt(0)
	s_cmp_eq_u32 s7, 1
	s_cselect_b64 s[0:1], -1, 0
	s_cmp_lg_u32 s7, 1
	s_cselect_b64 s[20:21], -1, 0
	s_ashr_i32 s7, s6, 31
	s_lshl_b64 s[10:11], s[6:7], 3
	s_add_u32 s2, s2, s10
	s_addc_u32 s3, s3, s11
	s_add_u32 s7, s2, 8
	s_addc_u32 s13, s3, 0
	;; [unrolled: 2-line block ×3, first 2 shown]
	s_cmp_eq_u64 s[8:9], 0
	s_cselect_b32 s9, s13, s11
	s_cselect_b32 s8, s7, s10
	s_load_dwordx2 s[22:23], s[8:9], 0x0
	s_load_dwordx2 s[24:25], s[2:3], 0x0
	v_sub_u16_e32 v10, v0, v2
	v_mov_b32_e32 v9, 0
	v_lshlrev_b32_e32 v8, 2, v0
	s_waitcnt lgkmcnt(0)
	v_mov_b32_e32 v2, s22
	v_mov_b32_e32 v3, s23
	v_cmp_ge_i64_e32 vcc, s[24:25], v[2:3]
	s_cbranch_vccnz .LBB76_12
; %bb.8:
	s_load_dwordx4 s[8:11], s[4:5], 0x30
	s_load_dwordx2 s[2:3], s[4:5], 0x40
	s_sub_u32 s4, s22, s18
	s_mov_b32 s7, 0xffff
	s_subb_u32 s5, s23, 0
	s_movk_i32 s13, 0x349
	v_and_b32_sdwa v1, s7, v1 dst_sel:DWORD dst_unused:UNUSED_PAD src0_sel:DWORD src1_sel:WORD_1
	v_subrev_u32_e32 v2, 29, v1
	v_cmp_gt_u32_e32 vcc, s13, v0
	s_sub_u32 s22, s24, s18
	v_cndmask_b32_e32 v1, v2, v1, vcc
	s_subb_u32 s23, s25, 0
	v_cndmask_b32_e64 v1, v10, v1, s[0:1]
	s_mul_i32 s0, s23, 0xd24
	s_mul_hi_u32 s1, s22, 0xd24
	s_add_i32 s1, s1, s0
	s_mul_i32 s0, s22, 0xd24
	s_waitcnt lgkmcnt(0)
	s_add_u32 s0, s10, s0
	s_addc_u32 s1, s11, s1
	v_mov_b32_e32 v3, s1
	v_add_co_u32_e32 v2, vcc, s0, v8
	v_addc_co_u32_e32 v3, vcc, 0, v3, vcc
	s_movk_i32 s0, 0x348
	v_cmp_lt_u32_e32 vcc, s0, v0
	v_cndmask_b32_e64 v11, 0, 1, vcc
	v_mov_b32_e32 v4, s25
	v_add_co_u32_e32 v5, vcc, s24, v11
	v_addc_co_u32_e32 v6, vcc, 0, v4, vcc
	v_subrev_co_u32_e32 v4, vcc, s18, v5
	v_subbrev_co_u32_e32 v5, vcc, 0, v6, vcc
	v_lshlrev_b64 v[4:5], 2, v[4:5]
	v_mov_b32_e32 v6, s9
	v_add_co_u32_e32 v4, vcc, s8, v4
	v_addc_co_u32_e32 v5, vcc, v6, v5, vcc
	v_mov_b32_e32 v7, s5
	v_mov_b32_e32 v9, 0
	;; [unrolled: 1-line block ×3, first 2 shown]
	s_branch .LBB76_10
.LBB76_9:                               ;   in Loop: Header=BB76_10 Depth=1
	s_or_b64 exec, exec, s[0:1]
	s_add_u32 s22, s22, 1
	s_addc_u32 s23, s23, 0
	v_cmp_lt_i64_e32 vcc, s[22:23], v[6:7]
	v_add_co_u32_e64 v4, s[0:1], 4, v4
	v_addc_co_u32_e64 v5, s[0:1], 0, v5, s[0:1]
	s_cbranch_vccz .LBB76_12
.LBB76_10:                              ; =>This Inner Loop Header: Depth=1
	v_mov_b32_e32 v13, s23
	v_add_co_u32_e32 v12, vcc, s22, v11
	v_addc_co_u32_e32 v13, vcc, 0, v13, vcc
	v_cmp_gt_i64_e32 vcc, s[4:5], v[12:13]
	s_and_saveexec_b64 s[0:1], vcc
	s_cbranch_execz .LBB76_9
; %bb.11:                               ;   in Loop: Header=BB76_10 Depth=1
	global_load_dword v12, v[4:5], off
	v_mov_b32_e32 v15, s3
	global_load_dword v14, v[2:3], off
	s_waitcnt vmcnt(1)
	v_subrev_u32_e32 v12, s18, v12
	v_mad_u64_u32 v[12:13], s[8:9], v12, 29, v[1:2]
	v_ashrrev_i32_e32 v13, 31, v12
	v_lshlrev_b64 v[12:13], 2, v[12:13]
	v_add_co_u32_e32 v12, vcc, s2, v12
	v_addc_co_u32_e32 v13, vcc, v15, v13, vcc
	global_load_dword v12, v[12:13], off
	v_add_co_u32_e32 v2, vcc, 0xd24, v2
	v_addc_co_u32_e32 v3, vcc, 0, v3, vcc
	s_waitcnt vmcnt(0)
	v_fmac_f32_e32 v9, v14, v12
	s_branch .LBB76_9
.LBB76_12:
	s_and_b64 vcc, exec, s[20:21]
	ds_write_b32 v8, v9
	s_waitcnt lgkmcnt(0)
	s_barrier
	s_cbranch_vccz .LBB76_24
; %bb.13:
	v_cmp_gt_u16_e32 vcc, 13, v10
	s_and_saveexec_b64 s[0:1], vcc
	s_cbranch_execz .LBB76_15
; %bb.14:
	ds_read2_b32 v[1:2], v8 offset1:16
	s_waitcnt lgkmcnt(0)
	v_add_f32_e32 v1, v2, v1
	ds_write_b32 v8, v1
.LBB76_15:
	s_or_b64 exec, exec, s[0:1]
	v_cmp_gt_u16_e32 vcc, 8, v10
	s_waitcnt lgkmcnt(0)
	s_barrier
	s_and_saveexec_b64 s[0:1], vcc
	s_cbranch_execz .LBB76_17
; %bb.16:
	ds_read2_b32 v[1:2], v8 offset1:8
	s_waitcnt lgkmcnt(0)
	v_add_f32_e32 v1, v2, v1
	ds_write_b32 v8, v1
.LBB76_17:
	s_or_b64 exec, exec, s[0:1]
	v_cmp_gt_u16_e32 vcc, 4, v10
	s_waitcnt lgkmcnt(0)
	s_barrier
	;; [unrolled: 12-line block ×3, first 2 shown]
	s_and_saveexec_b64 s[0:1], vcc
	s_cbranch_execz .LBB76_21
; %bb.20:
	ds_read2_b32 v[1:2], v8 offset1:2
	s_waitcnt lgkmcnt(0)
	v_add_f32_e32 v1, v2, v1
	ds_write_b32 v8, v1
.LBB76_21:
	s_or_b64 exec, exec, s[0:1]
	v_cmp_gt_u32_e32 vcc, 29, v0
	v_mov_b32_e32 v1, v9
	s_waitcnt lgkmcnt(0)
	s_barrier
	s_and_saveexec_b64 s[0:1], vcc
	s_cbranch_execz .LBB76_23
; %bb.22:
	s_movk_i32 s2, 0x70
	v_mad_u32_u24 v1, v0, s2, v8
	ds_read2_b32 v[1:2], v1 offset1:1
	s_waitcnt lgkmcnt(0)
	v_add_f32_e32 v1, v1, v2
.LBB76_23:
	s_or_b64 exec, exec, s[0:1]
	s_branch .LBB76_36
.LBB76_24:
                                        ; implicit-def: $vgpr1
	s_cbranch_execz .LBB76_36
; %bb.25:
	s_movk_i32 s0, 0x179
	v_cmp_gt_u32_e32 vcc, s0, v0
	s_and_saveexec_b64 s[0:1], vcc
	s_cbranch_execz .LBB76_27
; %bb.26:
	ds_read_b32 v1, v8 offset:1856
	ds_read_b32 v2, v8
	s_waitcnt lgkmcnt(0)
	v_add_f32_e32 v1, v1, v2
	ds_write_b32 v8, v1
.LBB76_27:
	s_or_b64 exec, exec, s[0:1]
	s_movk_i32 s0, 0xe8
	v_cmp_gt_u32_e32 vcc, s0, v0
	s_waitcnt lgkmcnt(0)
	s_barrier
	s_and_saveexec_b64 s[0:1], vcc
	s_cbranch_execz .LBB76_29
; %bb.28:
	ds_read2_b32 v[1:2], v8 offset1:232
	s_waitcnt lgkmcnt(0)
	v_add_f32_e32 v1, v2, v1
	ds_write_b32 v8, v1
.LBB76_29:
	s_or_b64 exec, exec, s[0:1]
	s_movk_i32 s0, 0x74
	v_cmp_gt_u32_e32 vcc, s0, v0
	s_waitcnt lgkmcnt(0)
	s_barrier
	s_and_saveexec_b64 s[0:1], vcc
	s_cbranch_execz .LBB76_31
; %bb.30:
	ds_read2_b32 v[1:2], v8 offset1:116
	s_waitcnt lgkmcnt(0)
	v_add_f32_e32 v1, v2, v1
	ds_write_b32 v8, v1
.LBB76_31:
	s_or_b64 exec, exec, s[0:1]
	v_cmp_gt_u32_e32 vcc, 58, v0
	s_waitcnt lgkmcnt(0)
	s_barrier
	s_and_saveexec_b64 s[0:1], vcc
	s_cbranch_execz .LBB76_33
; %bb.32:
	ds_read2_b32 v[1:2], v8 offset1:58
	s_waitcnt lgkmcnt(0)
	v_add_f32_e32 v1, v2, v1
	ds_write_b32 v8, v1
.LBB76_33:
	s_or_b64 exec, exec, s[0:1]
	v_cmp_gt_u32_e32 vcc, 29, v0
	s_waitcnt lgkmcnt(0)
	s_and_saveexec_b64 s[0:1], vcc
	s_cbranch_execz .LBB76_35
; %bb.34:
	ds_read2_b32 v[1:2], v8 offset1:29
	s_waitcnt lgkmcnt(0)
	v_add_f32_e32 v9, v1, v2
.LBB76_35:
	s_or_b64 exec, exec, s[0:1]
	v_mov_b32_e32 v1, v9
.LBB76_36:
	v_cmp_gt_u32_e32 vcc, 29, v0
	s_and_saveexec_b64 s[0:1], vcc
	s_cbranch_execz .LBB76_40
; %bb.37:
	v_cmp_eq_f32_e64 s[0:1], s12, 0
	s_and_b64 vcc, exec, s[0:1]
	v_mul_f32_e32 v1, s14, v1
	s_cbranch_vccz .LBB76_41
; %bb.38:
	v_mad_u64_u32 v[2:3], s[0:1], s6, 29, v[0:1]
	v_mov_b32_e32 v3, 0
	v_mov_b32_e32 v4, s17
	v_lshlrev_b64 v[2:3], 2, v[2:3]
	v_add_co_u32_e32 v2, vcc, s16, v2
	v_addc_co_u32_e32 v3, vcc, v4, v3, vcc
	global_store_dword v[2:3], v1, off
	s_cbranch_execnz .LBB76_40
.LBB76_39:
	v_mad_u64_u32 v[2:3], s[0:1], s6, 29, v[0:1]
	v_mov_b32_e32 v3, 0
	v_mov_b32_e32 v0, s17
	v_lshlrev_b64 v[2:3], 2, v[2:3]
	v_add_co_u32_e32 v2, vcc, s16, v2
	v_addc_co_u32_e32 v3, vcc, v0, v3, vcc
	global_load_dword v0, v[2:3], off
	s_waitcnt vmcnt(0)
	v_fmac_f32_e32 v1, s12, v0
	global_store_dword v[2:3], v1, off
.LBB76_40:
	s_endpgm
.LBB76_41:
	s_branch .LBB76_39
	.section	.rodata,"a",@progbits
	.p2align	6, 0x0
	.amdhsa_kernel _ZN9rocsparseL20bsrxmvn_17_32_kernelILj29EflifffEEvT2_20rocsparse_direction_NS_24const_host_device_scalarIT0_EES1_PKS1_PKT1_SA_S7_PKT3_PKT4_S5_PT5_21rocsparse_index_base_b
		.amdhsa_group_segment_fixed_size 3364
		.amdhsa_private_segment_fixed_size 0
		.amdhsa_kernarg_size 96
		.amdhsa_user_sgpr_count 6
		.amdhsa_user_sgpr_private_segment_buffer 1
		.amdhsa_user_sgpr_dispatch_ptr 0
		.amdhsa_user_sgpr_queue_ptr 0
		.amdhsa_user_sgpr_kernarg_segment_ptr 1
		.amdhsa_user_sgpr_dispatch_id 0
		.amdhsa_user_sgpr_flat_scratch_init 0
		.amdhsa_user_sgpr_private_segment_size 0
		.amdhsa_uses_dynamic_stack 0
		.amdhsa_system_sgpr_private_segment_wavefront_offset 0
		.amdhsa_system_sgpr_workgroup_id_x 1
		.amdhsa_system_sgpr_workgroup_id_y 0
		.amdhsa_system_sgpr_workgroup_id_z 0
		.amdhsa_system_sgpr_workgroup_info 0
		.amdhsa_system_vgpr_workitem_id 0
		.amdhsa_next_free_vgpr 33
		.amdhsa_next_free_sgpr 77
		.amdhsa_reserve_vcc 1
		.amdhsa_reserve_flat_scratch 0
		.amdhsa_float_round_mode_32 0
		.amdhsa_float_round_mode_16_64 0
		.amdhsa_float_denorm_mode_32 3
		.amdhsa_float_denorm_mode_16_64 3
		.amdhsa_dx10_clamp 1
		.amdhsa_ieee_mode 1
		.amdhsa_fp16_overflow 0
		.amdhsa_exception_fp_ieee_invalid_op 0
		.amdhsa_exception_fp_denorm_src 0
		.amdhsa_exception_fp_ieee_div_zero 0
		.amdhsa_exception_fp_ieee_overflow 0
		.amdhsa_exception_fp_ieee_underflow 0
		.amdhsa_exception_fp_ieee_inexact 0
		.amdhsa_exception_int_div_zero 0
	.end_amdhsa_kernel
	.section	.text._ZN9rocsparseL20bsrxmvn_17_32_kernelILj29EflifffEEvT2_20rocsparse_direction_NS_24const_host_device_scalarIT0_EES1_PKS1_PKT1_SA_S7_PKT3_PKT4_S5_PT5_21rocsparse_index_base_b,"axG",@progbits,_ZN9rocsparseL20bsrxmvn_17_32_kernelILj29EflifffEEvT2_20rocsparse_direction_NS_24const_host_device_scalarIT0_EES1_PKS1_PKT1_SA_S7_PKT3_PKT4_S5_PT5_21rocsparse_index_base_b,comdat
.Lfunc_end76:
	.size	_ZN9rocsparseL20bsrxmvn_17_32_kernelILj29EflifffEEvT2_20rocsparse_direction_NS_24const_host_device_scalarIT0_EES1_PKS1_PKT1_SA_S7_PKT3_PKT4_S5_PT5_21rocsparse_index_base_b, .Lfunc_end76-_ZN9rocsparseL20bsrxmvn_17_32_kernelILj29EflifffEEvT2_20rocsparse_direction_NS_24const_host_device_scalarIT0_EES1_PKS1_PKT1_SA_S7_PKT3_PKT4_S5_PT5_21rocsparse_index_base_b
                                        ; -- End function
	.set _ZN9rocsparseL20bsrxmvn_17_32_kernelILj29EflifffEEvT2_20rocsparse_direction_NS_24const_host_device_scalarIT0_EES1_PKS1_PKT1_SA_S7_PKT3_PKT4_S5_PT5_21rocsparse_index_base_b.num_vgpr, 16
	.set _ZN9rocsparseL20bsrxmvn_17_32_kernelILj29EflifffEEvT2_20rocsparse_direction_NS_24const_host_device_scalarIT0_EES1_PKS1_PKT1_SA_S7_PKT3_PKT4_S5_PT5_21rocsparse_index_base_b.num_agpr, 0
	.set _ZN9rocsparseL20bsrxmvn_17_32_kernelILj29EflifffEEvT2_20rocsparse_direction_NS_24const_host_device_scalarIT0_EES1_PKS1_PKT1_SA_S7_PKT3_PKT4_S5_PT5_21rocsparse_index_base_b.numbered_sgpr, 26
	.set _ZN9rocsparseL20bsrxmvn_17_32_kernelILj29EflifffEEvT2_20rocsparse_direction_NS_24const_host_device_scalarIT0_EES1_PKS1_PKT1_SA_S7_PKT3_PKT4_S5_PT5_21rocsparse_index_base_b.num_named_barrier, 0
	.set _ZN9rocsparseL20bsrxmvn_17_32_kernelILj29EflifffEEvT2_20rocsparse_direction_NS_24const_host_device_scalarIT0_EES1_PKS1_PKT1_SA_S7_PKT3_PKT4_S5_PT5_21rocsparse_index_base_b.private_seg_size, 0
	.set _ZN9rocsparseL20bsrxmvn_17_32_kernelILj29EflifffEEvT2_20rocsparse_direction_NS_24const_host_device_scalarIT0_EES1_PKS1_PKT1_SA_S7_PKT3_PKT4_S5_PT5_21rocsparse_index_base_b.uses_vcc, 1
	.set _ZN9rocsparseL20bsrxmvn_17_32_kernelILj29EflifffEEvT2_20rocsparse_direction_NS_24const_host_device_scalarIT0_EES1_PKS1_PKT1_SA_S7_PKT3_PKT4_S5_PT5_21rocsparse_index_base_b.uses_flat_scratch, 0
	.set _ZN9rocsparseL20bsrxmvn_17_32_kernelILj29EflifffEEvT2_20rocsparse_direction_NS_24const_host_device_scalarIT0_EES1_PKS1_PKT1_SA_S7_PKT3_PKT4_S5_PT5_21rocsparse_index_base_b.has_dyn_sized_stack, 0
	.set _ZN9rocsparseL20bsrxmvn_17_32_kernelILj29EflifffEEvT2_20rocsparse_direction_NS_24const_host_device_scalarIT0_EES1_PKS1_PKT1_SA_S7_PKT3_PKT4_S5_PT5_21rocsparse_index_base_b.has_recursion, 0
	.set _ZN9rocsparseL20bsrxmvn_17_32_kernelILj29EflifffEEvT2_20rocsparse_direction_NS_24const_host_device_scalarIT0_EES1_PKS1_PKT1_SA_S7_PKT3_PKT4_S5_PT5_21rocsparse_index_base_b.has_indirect_call, 0
	.section	.AMDGPU.csdata,"",@progbits
; Kernel info:
; codeLenInByte = 1312
; TotalNumSgprs: 30
; NumVgprs: 16
; ScratchSize: 0
; MemoryBound: 0
; FloatMode: 240
; IeeeMode: 1
; LDSByteSize: 3364 bytes/workgroup (compile time only)
; SGPRBlocks: 10
; VGPRBlocks: 8
; NumSGPRsForWavesPerEU: 81
; NumVGPRsForWavesPerEU: 33
; Occupancy: 7
; WaveLimiterHint : 1
; COMPUTE_PGM_RSRC2:SCRATCH_EN: 0
; COMPUTE_PGM_RSRC2:USER_SGPR: 6
; COMPUTE_PGM_RSRC2:TRAP_HANDLER: 0
; COMPUTE_PGM_RSRC2:TGID_X_EN: 1
; COMPUTE_PGM_RSRC2:TGID_Y_EN: 0
; COMPUTE_PGM_RSRC2:TGID_Z_EN: 0
; COMPUTE_PGM_RSRC2:TIDIG_COMP_CNT: 0
	.section	.text._ZN9rocsparseL20bsrxmvn_17_32_kernelILj30EflifffEEvT2_20rocsparse_direction_NS_24const_host_device_scalarIT0_EES1_PKS1_PKT1_SA_S7_PKT3_PKT4_S5_PT5_21rocsparse_index_base_b,"axG",@progbits,_ZN9rocsparseL20bsrxmvn_17_32_kernelILj30EflifffEEvT2_20rocsparse_direction_NS_24const_host_device_scalarIT0_EES1_PKS1_PKT1_SA_S7_PKT3_PKT4_S5_PT5_21rocsparse_index_base_b,comdat
	.globl	_ZN9rocsparseL20bsrxmvn_17_32_kernelILj30EflifffEEvT2_20rocsparse_direction_NS_24const_host_device_scalarIT0_EES1_PKS1_PKT1_SA_S7_PKT3_PKT4_S5_PT5_21rocsparse_index_base_b ; -- Begin function _ZN9rocsparseL20bsrxmvn_17_32_kernelILj30EflifffEEvT2_20rocsparse_direction_NS_24const_host_device_scalarIT0_EES1_PKS1_PKT1_SA_S7_PKT3_PKT4_S5_PT5_21rocsparse_index_base_b
	.p2align	8
	.type	_ZN9rocsparseL20bsrxmvn_17_32_kernelILj30EflifffEEvT2_20rocsparse_direction_NS_24const_host_device_scalarIT0_EES1_PKS1_PKT1_SA_S7_PKT3_PKT4_S5_PT5_21rocsparse_index_base_b,@function
_ZN9rocsparseL20bsrxmvn_17_32_kernelILj30EflifffEEvT2_20rocsparse_direction_NS_24const_host_device_scalarIT0_EES1_PKS1_PKT1_SA_S7_PKT3_PKT4_S5_PT5_21rocsparse_index_base_b: ; @_ZN9rocsparseL20bsrxmvn_17_32_kernelILj30EflifffEEvT2_20rocsparse_direction_NS_24const_host_device_scalarIT0_EES1_PKS1_PKT1_SA_S7_PKT3_PKT4_S5_PT5_21rocsparse_index_base_b
; %bb.0:
	s_load_dwordx2 s[18:19], s[4:5], 0x58
	s_load_dwordx2 s[14:15], s[4:5], 0x8
	s_load_dwordx2 s[12:13], s[4:5], 0x48
	s_waitcnt lgkmcnt(0)
	s_bitcmp1_b32 s19, 0
	s_cselect_b64 s[2:3], -1, 0
	s_xor_b64 s[0:1], s[2:3], -1
	s_and_b64 vcc, exec, s[2:3]
	s_cbranch_vccnz .LBB77_2
; %bb.1:
	s_load_dword s14, s[14:15], 0x0
.LBB77_2:
	s_andn2_b64 vcc, exec, s[0:1]
	s_cbranch_vccnz .LBB77_4
; %bb.3:
	s_load_dword s12, s[12:13], 0x0
.LBB77_4:
	s_waitcnt lgkmcnt(0)
	v_cmp_neq_f32_e64 s[0:1], s14, 0
	v_cmp_neq_f32_e64 s[2:3], s12, 1.0
	s_or_b64 s[0:1], s[0:1], s[2:3]
	s_andn2_b64 vcc, exec, s[0:1]
	s_cbranch_vccnz .LBB77_40
; %bb.5:
	s_load_dwordx4 s[0:3], s[4:5], 0x18
	s_load_dwordx2 s[8:9], s[4:5], 0x28
	s_waitcnt lgkmcnt(0)
	s_cmp_eq_u64 s[0:1], 0
	s_cbranch_scc1 .LBB77_7
; %bb.6:
	s_ashr_i32 s7, s6, 31
	s_lshl_b64 s[6:7], s[6:7], 2
	s_add_u32 s0, s0, s6
	s_addc_u32 s1, s1, s7
	s_load_dword s0, s[0:1], 0x0
	s_waitcnt lgkmcnt(0)
	s_sub_i32 s6, s0, s18
.LBB77_7:
	s_load_dword s7, s[4:5], 0x4
	s_load_dwordx2 s[16:17], s[4:5], 0x50
	v_mul_u32_u24_e32 v1, 0x889, v0
	v_mov_b32_e32 v2, 30
	v_mul_lo_u16_sdwa v2, v1, v2 dst_sel:DWORD dst_unused:UNUSED_PAD src0_sel:WORD_1 src1_sel:DWORD
	s_waitcnt lgkmcnt(0)
	s_cmp_eq_u32 s7, 1
	s_cselect_b64 s[0:1], -1, 0
	s_cmp_lg_u32 s7, 1
	s_cselect_b64 s[20:21], -1, 0
	s_ashr_i32 s7, s6, 31
	s_lshl_b64 s[10:11], s[6:7], 3
	s_add_u32 s2, s2, s10
	s_addc_u32 s3, s3, s11
	s_add_u32 s7, s2, 8
	s_addc_u32 s13, s3, 0
	;; [unrolled: 2-line block ×3, first 2 shown]
	s_cmp_eq_u64 s[8:9], 0
	s_cselect_b32 s9, s13, s11
	s_cselect_b32 s8, s7, s10
	s_load_dwordx2 s[22:23], s[8:9], 0x0
	s_load_dwordx2 s[24:25], s[2:3], 0x0
	v_sub_u16_e32 v10, v0, v2
	v_mov_b32_e32 v9, 0
	v_lshlrev_b32_e32 v8, 2, v0
	s_waitcnt lgkmcnt(0)
	v_mov_b32_e32 v2, s22
	v_mov_b32_e32 v3, s23
	v_cmp_ge_i64_e32 vcc, s[24:25], v[2:3]
	s_cbranch_vccnz .LBB77_12
; %bb.8:
	s_load_dwordx4 s[8:11], s[4:5], 0x30
	s_load_dwordx2 s[2:3], s[4:5], 0x40
	s_sub_u32 s4, s22, s18
	s_mov_b32 s7, 0xffff
	s_subb_u32 s5, s23, 0
	s_movk_i32 s13, 0x384
	v_and_b32_sdwa v1, s7, v1 dst_sel:DWORD dst_unused:UNUSED_PAD src0_sel:DWORD src1_sel:WORD_1
	v_subrev_u32_e32 v2, 30, v1
	v_cmp_gt_u32_e32 vcc, s13, v0
	s_sub_u32 s22, s24, s18
	v_cndmask_b32_e32 v1, v2, v1, vcc
	s_subb_u32 s23, s25, 0
	v_cndmask_b32_e64 v1, v10, v1, s[0:1]
	s_mul_i32 s0, s23, 0xe10
	s_mul_hi_u32 s1, s22, 0xe10
	s_add_i32 s1, s1, s0
	s_mul_i32 s0, s22, 0xe10
	s_waitcnt lgkmcnt(0)
	s_add_u32 s0, s10, s0
	s_addc_u32 s1, s11, s1
	v_mov_b32_e32 v3, s1
	v_add_co_u32_e32 v2, vcc, s0, v8
	v_addc_co_u32_e32 v3, vcc, 0, v3, vcc
	s_movk_i32 s0, 0x383
	v_cmp_lt_u32_e32 vcc, s0, v0
	v_cndmask_b32_e64 v11, 0, 1, vcc
	v_mov_b32_e32 v4, s25
	v_add_co_u32_e32 v5, vcc, s24, v11
	v_addc_co_u32_e32 v6, vcc, 0, v4, vcc
	v_subrev_co_u32_e32 v4, vcc, s18, v5
	v_subbrev_co_u32_e32 v5, vcc, 0, v6, vcc
	v_lshlrev_b64 v[4:5], 2, v[4:5]
	v_mov_b32_e32 v6, s9
	v_add_co_u32_e32 v4, vcc, s8, v4
	v_addc_co_u32_e32 v5, vcc, v6, v5, vcc
	v_mov_b32_e32 v7, s5
	v_mov_b32_e32 v9, 0
	;; [unrolled: 1-line block ×3, first 2 shown]
	s_branch .LBB77_10
.LBB77_9:                               ;   in Loop: Header=BB77_10 Depth=1
	s_or_b64 exec, exec, s[0:1]
	s_add_u32 s22, s22, 1
	s_addc_u32 s23, s23, 0
	v_cmp_lt_i64_e32 vcc, s[22:23], v[6:7]
	v_add_co_u32_e64 v4, s[0:1], 4, v4
	v_addc_co_u32_e64 v5, s[0:1], 0, v5, s[0:1]
	s_cbranch_vccz .LBB77_12
.LBB77_10:                              ; =>This Inner Loop Header: Depth=1
	v_mov_b32_e32 v13, s23
	v_add_co_u32_e32 v12, vcc, s22, v11
	v_addc_co_u32_e32 v13, vcc, 0, v13, vcc
	v_cmp_gt_i64_e32 vcc, s[4:5], v[12:13]
	s_and_saveexec_b64 s[0:1], vcc
	s_cbranch_execz .LBB77_9
; %bb.11:                               ;   in Loop: Header=BB77_10 Depth=1
	global_load_dword v12, v[4:5], off
	v_mov_b32_e32 v15, s3
	global_load_dword v14, v[2:3], off
	s_waitcnt vmcnt(1)
	v_subrev_u32_e32 v12, s18, v12
	v_mad_u64_u32 v[12:13], s[8:9], v12, 30, v[1:2]
	v_ashrrev_i32_e32 v13, 31, v12
	v_lshlrev_b64 v[12:13], 2, v[12:13]
	v_add_co_u32_e32 v12, vcc, s2, v12
	v_addc_co_u32_e32 v13, vcc, v15, v13, vcc
	global_load_dword v12, v[12:13], off
	v_add_co_u32_e32 v2, vcc, 0xe10, v2
	v_addc_co_u32_e32 v3, vcc, 0, v3, vcc
	s_waitcnt vmcnt(0)
	v_fmac_f32_e32 v9, v14, v12
	s_branch .LBB77_9
.LBB77_12:
	s_and_b64 vcc, exec, s[20:21]
	ds_write_b32 v8, v9
	s_waitcnt lgkmcnt(0)
	s_barrier
	s_cbranch_vccz .LBB77_24
; %bb.13:
	v_cmp_gt_u16_e32 vcc, 14, v10
	s_and_saveexec_b64 s[0:1], vcc
	s_cbranch_execz .LBB77_15
; %bb.14:
	ds_read2_b32 v[1:2], v8 offset1:16
	s_waitcnt lgkmcnt(0)
	v_add_f32_e32 v1, v2, v1
	ds_write_b32 v8, v1
.LBB77_15:
	s_or_b64 exec, exec, s[0:1]
	v_cmp_gt_u16_e32 vcc, 8, v10
	s_waitcnt lgkmcnt(0)
	s_barrier
	s_and_saveexec_b64 s[0:1], vcc
	s_cbranch_execz .LBB77_17
; %bb.16:
	ds_read2_b32 v[1:2], v8 offset1:8
	s_waitcnt lgkmcnt(0)
	v_add_f32_e32 v1, v2, v1
	ds_write_b32 v8, v1
.LBB77_17:
	s_or_b64 exec, exec, s[0:1]
	v_cmp_gt_u16_e32 vcc, 4, v10
	s_waitcnt lgkmcnt(0)
	s_barrier
	;; [unrolled: 12-line block ×3, first 2 shown]
	s_and_saveexec_b64 s[0:1], vcc
	s_cbranch_execz .LBB77_21
; %bb.20:
	ds_read2_b32 v[1:2], v8 offset1:2
	s_waitcnt lgkmcnt(0)
	v_add_f32_e32 v1, v2, v1
	ds_write_b32 v8, v1
.LBB77_21:
	s_or_b64 exec, exec, s[0:1]
	v_cmp_gt_u32_e32 vcc, 30, v0
	v_mov_b32_e32 v1, v9
	s_waitcnt lgkmcnt(0)
	s_barrier
	s_and_saveexec_b64 s[0:1], vcc
	s_cbranch_execz .LBB77_23
; %bb.22:
	s_movk_i32 s2, 0x74
	v_mad_u32_u24 v1, v0, s2, v8
	ds_read_b64 v[1:2], v1
	s_waitcnt lgkmcnt(0)
	v_add_f32_e32 v1, v1, v2
.LBB77_23:
	s_or_b64 exec, exec, s[0:1]
	s_branch .LBB77_36
.LBB77_24:
                                        ; implicit-def: $vgpr1
	s_cbranch_execz .LBB77_36
; %bb.25:
	s_movk_i32 s0, 0x1a4
	v_cmp_gt_u32_e32 vcc, s0, v0
	s_and_saveexec_b64 s[0:1], vcc
	s_cbranch_execz .LBB77_27
; %bb.26:
	ds_read_b32 v1, v8 offset:1920
	ds_read_b32 v2, v8
	s_waitcnt lgkmcnt(0)
	v_add_f32_e32 v1, v1, v2
	ds_write_b32 v8, v1
.LBB77_27:
	s_or_b64 exec, exec, s[0:1]
	s_movk_i32 s0, 0xf0
	v_cmp_gt_u32_e32 vcc, s0, v0
	s_waitcnt lgkmcnt(0)
	s_barrier
	s_and_saveexec_b64 s[0:1], vcc
	s_cbranch_execz .LBB77_29
; %bb.28:
	ds_read2_b32 v[1:2], v8 offset1:240
	s_waitcnt lgkmcnt(0)
	v_add_f32_e32 v1, v2, v1
	ds_write_b32 v8, v1
.LBB77_29:
	s_or_b64 exec, exec, s[0:1]
	s_movk_i32 s0, 0x78
	v_cmp_gt_u32_e32 vcc, s0, v0
	s_waitcnt lgkmcnt(0)
	s_barrier
	s_and_saveexec_b64 s[0:1], vcc
	s_cbranch_execz .LBB77_31
; %bb.30:
	ds_read2_b32 v[1:2], v8 offset1:120
	s_waitcnt lgkmcnt(0)
	v_add_f32_e32 v1, v2, v1
	ds_write_b32 v8, v1
.LBB77_31:
	s_or_b64 exec, exec, s[0:1]
	v_cmp_gt_u32_e32 vcc, 60, v0
	s_waitcnt lgkmcnt(0)
	s_barrier
	s_and_saveexec_b64 s[0:1], vcc
	s_cbranch_execz .LBB77_33
; %bb.32:
	ds_read2_b32 v[1:2], v8 offset1:60
	s_waitcnt lgkmcnt(0)
	v_add_f32_e32 v1, v2, v1
	ds_write_b32 v8, v1
.LBB77_33:
	s_or_b64 exec, exec, s[0:1]
	v_cmp_gt_u32_e32 vcc, 30, v0
	s_waitcnt lgkmcnt(0)
	s_and_saveexec_b64 s[0:1], vcc
	s_cbranch_execz .LBB77_35
; %bb.34:
	ds_read2_b32 v[1:2], v8 offset1:30
	s_waitcnt lgkmcnt(0)
	v_add_f32_e32 v9, v1, v2
.LBB77_35:
	s_or_b64 exec, exec, s[0:1]
	v_mov_b32_e32 v1, v9
.LBB77_36:
	v_cmp_gt_u32_e32 vcc, 30, v0
	s_and_saveexec_b64 s[0:1], vcc
	s_cbranch_execz .LBB77_40
; %bb.37:
	v_cmp_eq_f32_e64 s[0:1], s12, 0
	s_and_b64 vcc, exec, s[0:1]
	v_mul_f32_e32 v1, s14, v1
	s_cbranch_vccz .LBB77_41
; %bb.38:
	v_mad_u64_u32 v[2:3], s[0:1], s6, 30, v[0:1]
	v_mov_b32_e32 v3, 0
	v_mov_b32_e32 v4, s17
	v_lshlrev_b64 v[2:3], 2, v[2:3]
	v_add_co_u32_e32 v2, vcc, s16, v2
	v_addc_co_u32_e32 v3, vcc, v4, v3, vcc
	global_store_dword v[2:3], v1, off
	s_cbranch_execnz .LBB77_40
.LBB77_39:
	v_mad_u64_u32 v[2:3], s[0:1], s6, 30, v[0:1]
	v_mov_b32_e32 v3, 0
	v_mov_b32_e32 v0, s17
	v_lshlrev_b64 v[2:3], 2, v[2:3]
	v_add_co_u32_e32 v2, vcc, s16, v2
	v_addc_co_u32_e32 v3, vcc, v0, v3, vcc
	global_load_dword v0, v[2:3], off
	s_waitcnt vmcnt(0)
	v_fmac_f32_e32 v1, s12, v0
	global_store_dword v[2:3], v1, off
.LBB77_40:
	s_endpgm
.LBB77_41:
	s_branch .LBB77_39
	.section	.rodata,"a",@progbits
	.p2align	6, 0x0
	.amdhsa_kernel _ZN9rocsparseL20bsrxmvn_17_32_kernelILj30EflifffEEvT2_20rocsparse_direction_NS_24const_host_device_scalarIT0_EES1_PKS1_PKT1_SA_S7_PKT3_PKT4_S5_PT5_21rocsparse_index_base_b
		.amdhsa_group_segment_fixed_size 3600
		.amdhsa_private_segment_fixed_size 0
		.amdhsa_kernarg_size 96
		.amdhsa_user_sgpr_count 6
		.amdhsa_user_sgpr_private_segment_buffer 1
		.amdhsa_user_sgpr_dispatch_ptr 0
		.amdhsa_user_sgpr_queue_ptr 0
		.amdhsa_user_sgpr_kernarg_segment_ptr 1
		.amdhsa_user_sgpr_dispatch_id 0
		.amdhsa_user_sgpr_flat_scratch_init 0
		.amdhsa_user_sgpr_private_segment_size 0
		.amdhsa_uses_dynamic_stack 0
		.amdhsa_system_sgpr_private_segment_wavefront_offset 0
		.amdhsa_system_sgpr_workgroup_id_x 1
		.amdhsa_system_sgpr_workgroup_id_y 0
		.amdhsa_system_sgpr_workgroup_id_z 0
		.amdhsa_system_sgpr_workgroup_info 0
		.amdhsa_system_vgpr_workitem_id 0
		.amdhsa_next_free_vgpr 29
		.amdhsa_next_free_sgpr 61
		.amdhsa_reserve_vcc 1
		.amdhsa_reserve_flat_scratch 0
		.amdhsa_float_round_mode_32 0
		.amdhsa_float_round_mode_16_64 0
		.amdhsa_float_denorm_mode_32 3
		.amdhsa_float_denorm_mode_16_64 3
		.amdhsa_dx10_clamp 1
		.amdhsa_ieee_mode 1
		.amdhsa_fp16_overflow 0
		.amdhsa_exception_fp_ieee_invalid_op 0
		.amdhsa_exception_fp_denorm_src 0
		.amdhsa_exception_fp_ieee_div_zero 0
		.amdhsa_exception_fp_ieee_overflow 0
		.amdhsa_exception_fp_ieee_underflow 0
		.amdhsa_exception_fp_ieee_inexact 0
		.amdhsa_exception_int_div_zero 0
	.end_amdhsa_kernel
	.section	.text._ZN9rocsparseL20bsrxmvn_17_32_kernelILj30EflifffEEvT2_20rocsparse_direction_NS_24const_host_device_scalarIT0_EES1_PKS1_PKT1_SA_S7_PKT3_PKT4_S5_PT5_21rocsparse_index_base_b,"axG",@progbits,_ZN9rocsparseL20bsrxmvn_17_32_kernelILj30EflifffEEvT2_20rocsparse_direction_NS_24const_host_device_scalarIT0_EES1_PKS1_PKT1_SA_S7_PKT3_PKT4_S5_PT5_21rocsparse_index_base_b,comdat
.Lfunc_end77:
	.size	_ZN9rocsparseL20bsrxmvn_17_32_kernelILj30EflifffEEvT2_20rocsparse_direction_NS_24const_host_device_scalarIT0_EES1_PKS1_PKT1_SA_S7_PKT3_PKT4_S5_PT5_21rocsparse_index_base_b, .Lfunc_end77-_ZN9rocsparseL20bsrxmvn_17_32_kernelILj30EflifffEEvT2_20rocsparse_direction_NS_24const_host_device_scalarIT0_EES1_PKS1_PKT1_SA_S7_PKT3_PKT4_S5_PT5_21rocsparse_index_base_b
                                        ; -- End function
	.set _ZN9rocsparseL20bsrxmvn_17_32_kernelILj30EflifffEEvT2_20rocsparse_direction_NS_24const_host_device_scalarIT0_EES1_PKS1_PKT1_SA_S7_PKT3_PKT4_S5_PT5_21rocsparse_index_base_b.num_vgpr, 16
	.set _ZN9rocsparseL20bsrxmvn_17_32_kernelILj30EflifffEEvT2_20rocsparse_direction_NS_24const_host_device_scalarIT0_EES1_PKS1_PKT1_SA_S7_PKT3_PKT4_S5_PT5_21rocsparse_index_base_b.num_agpr, 0
	.set _ZN9rocsparseL20bsrxmvn_17_32_kernelILj30EflifffEEvT2_20rocsparse_direction_NS_24const_host_device_scalarIT0_EES1_PKS1_PKT1_SA_S7_PKT3_PKT4_S5_PT5_21rocsparse_index_base_b.numbered_sgpr, 26
	.set _ZN9rocsparseL20bsrxmvn_17_32_kernelILj30EflifffEEvT2_20rocsparse_direction_NS_24const_host_device_scalarIT0_EES1_PKS1_PKT1_SA_S7_PKT3_PKT4_S5_PT5_21rocsparse_index_base_b.num_named_barrier, 0
	.set _ZN9rocsparseL20bsrxmvn_17_32_kernelILj30EflifffEEvT2_20rocsparse_direction_NS_24const_host_device_scalarIT0_EES1_PKS1_PKT1_SA_S7_PKT3_PKT4_S5_PT5_21rocsparse_index_base_b.private_seg_size, 0
	.set _ZN9rocsparseL20bsrxmvn_17_32_kernelILj30EflifffEEvT2_20rocsparse_direction_NS_24const_host_device_scalarIT0_EES1_PKS1_PKT1_SA_S7_PKT3_PKT4_S5_PT5_21rocsparse_index_base_b.uses_vcc, 1
	.set _ZN9rocsparseL20bsrxmvn_17_32_kernelILj30EflifffEEvT2_20rocsparse_direction_NS_24const_host_device_scalarIT0_EES1_PKS1_PKT1_SA_S7_PKT3_PKT4_S5_PT5_21rocsparse_index_base_b.uses_flat_scratch, 0
	.set _ZN9rocsparseL20bsrxmvn_17_32_kernelILj30EflifffEEvT2_20rocsparse_direction_NS_24const_host_device_scalarIT0_EES1_PKS1_PKT1_SA_S7_PKT3_PKT4_S5_PT5_21rocsparse_index_base_b.has_dyn_sized_stack, 0
	.set _ZN9rocsparseL20bsrxmvn_17_32_kernelILj30EflifffEEvT2_20rocsparse_direction_NS_24const_host_device_scalarIT0_EES1_PKS1_PKT1_SA_S7_PKT3_PKT4_S5_PT5_21rocsparse_index_base_b.has_recursion, 0
	.set _ZN9rocsparseL20bsrxmvn_17_32_kernelILj30EflifffEEvT2_20rocsparse_direction_NS_24const_host_device_scalarIT0_EES1_PKS1_PKT1_SA_S7_PKT3_PKT4_S5_PT5_21rocsparse_index_base_b.has_indirect_call, 0
	.section	.AMDGPU.csdata,"",@progbits
; Kernel info:
; codeLenInByte = 1312
; TotalNumSgprs: 30
; NumVgprs: 16
; ScratchSize: 0
; MemoryBound: 0
; FloatMode: 240
; IeeeMode: 1
; LDSByteSize: 3600 bytes/workgroup (compile time only)
; SGPRBlocks: 8
; VGPRBlocks: 7
; NumSGPRsForWavesPerEU: 65
; NumVGPRsForWavesPerEU: 29
; Occupancy: 8
; WaveLimiterHint : 1
; COMPUTE_PGM_RSRC2:SCRATCH_EN: 0
; COMPUTE_PGM_RSRC2:USER_SGPR: 6
; COMPUTE_PGM_RSRC2:TRAP_HANDLER: 0
; COMPUTE_PGM_RSRC2:TGID_X_EN: 1
; COMPUTE_PGM_RSRC2:TGID_Y_EN: 0
; COMPUTE_PGM_RSRC2:TGID_Z_EN: 0
; COMPUTE_PGM_RSRC2:TIDIG_COMP_CNT: 0
	.section	.text._ZN9rocsparseL20bsrxmvn_17_32_kernelILj31EflifffEEvT2_20rocsparse_direction_NS_24const_host_device_scalarIT0_EES1_PKS1_PKT1_SA_S7_PKT3_PKT4_S5_PT5_21rocsparse_index_base_b,"axG",@progbits,_ZN9rocsparseL20bsrxmvn_17_32_kernelILj31EflifffEEvT2_20rocsparse_direction_NS_24const_host_device_scalarIT0_EES1_PKS1_PKT1_SA_S7_PKT3_PKT4_S5_PT5_21rocsparse_index_base_b,comdat
	.globl	_ZN9rocsparseL20bsrxmvn_17_32_kernelILj31EflifffEEvT2_20rocsparse_direction_NS_24const_host_device_scalarIT0_EES1_PKS1_PKT1_SA_S7_PKT3_PKT4_S5_PT5_21rocsparse_index_base_b ; -- Begin function _ZN9rocsparseL20bsrxmvn_17_32_kernelILj31EflifffEEvT2_20rocsparse_direction_NS_24const_host_device_scalarIT0_EES1_PKS1_PKT1_SA_S7_PKT3_PKT4_S5_PT5_21rocsparse_index_base_b
	.p2align	8
	.type	_ZN9rocsparseL20bsrxmvn_17_32_kernelILj31EflifffEEvT2_20rocsparse_direction_NS_24const_host_device_scalarIT0_EES1_PKS1_PKT1_SA_S7_PKT3_PKT4_S5_PT5_21rocsparse_index_base_b,@function
_ZN9rocsparseL20bsrxmvn_17_32_kernelILj31EflifffEEvT2_20rocsparse_direction_NS_24const_host_device_scalarIT0_EES1_PKS1_PKT1_SA_S7_PKT3_PKT4_S5_PT5_21rocsparse_index_base_b: ; @_ZN9rocsparseL20bsrxmvn_17_32_kernelILj31EflifffEEvT2_20rocsparse_direction_NS_24const_host_device_scalarIT0_EES1_PKS1_PKT1_SA_S7_PKT3_PKT4_S5_PT5_21rocsparse_index_base_b
; %bb.0:
	s_load_dwordx2 s[18:19], s[4:5], 0x58
	s_load_dwordx2 s[14:15], s[4:5], 0x8
	;; [unrolled: 1-line block ×3, first 2 shown]
	s_waitcnt lgkmcnt(0)
	s_bitcmp1_b32 s19, 0
	s_cselect_b64 s[2:3], -1, 0
	s_xor_b64 s[0:1], s[2:3], -1
	s_and_b64 vcc, exec, s[2:3]
	s_cbranch_vccnz .LBB78_2
; %bb.1:
	s_load_dword s14, s[14:15], 0x0
.LBB78_2:
	s_andn2_b64 vcc, exec, s[0:1]
	s_cbranch_vccnz .LBB78_4
; %bb.3:
	s_load_dword s12, s[12:13], 0x0
.LBB78_4:
	s_waitcnt lgkmcnt(0)
	v_cmp_neq_f32_e64 s[0:1], s14, 0
	v_cmp_neq_f32_e64 s[2:3], s12, 1.0
	s_or_b64 s[0:1], s[0:1], s[2:3]
	s_andn2_b64 vcc, exec, s[0:1]
	s_cbranch_vccnz .LBB78_40
; %bb.5:
	s_load_dwordx4 s[0:3], s[4:5], 0x18
	s_load_dwordx2 s[8:9], s[4:5], 0x28
	s_waitcnt lgkmcnt(0)
	s_cmp_eq_u64 s[0:1], 0
	s_cbranch_scc1 .LBB78_7
; %bb.6:
	s_ashr_i32 s7, s6, 31
	s_lshl_b64 s[6:7], s[6:7], 2
	s_add_u32 s0, s0, s6
	s_addc_u32 s1, s1, s7
	s_load_dword s0, s[0:1], 0x0
	s_waitcnt lgkmcnt(0)
	s_sub_i32 s6, s0, s18
.LBB78_7:
	s_load_dword s7, s[4:5], 0x4
	s_load_dwordx2 s[16:17], s[4:5], 0x50
	v_mul_u32_u24_e32 v1, 0x843, v0
	v_mov_b32_e32 v2, 31
	v_mul_lo_u16_sdwa v2, v1, v2 dst_sel:DWORD dst_unused:UNUSED_PAD src0_sel:WORD_1 src1_sel:DWORD
	s_waitcnt lgkmcnt(0)
	s_cmp_eq_u32 s7, 1
	s_cselect_b64 s[0:1], -1, 0
	s_cmp_lg_u32 s7, 1
	s_cselect_b64 s[20:21], -1, 0
	s_ashr_i32 s7, s6, 31
	s_lshl_b64 s[10:11], s[6:7], 3
	s_add_u32 s2, s2, s10
	s_addc_u32 s3, s3, s11
	s_add_u32 s7, s2, 8
	s_addc_u32 s13, s3, 0
	;; [unrolled: 2-line block ×3, first 2 shown]
	s_cmp_eq_u64 s[8:9], 0
	s_cselect_b32 s9, s13, s11
	s_cselect_b32 s8, s7, s10
	s_load_dwordx2 s[22:23], s[8:9], 0x0
	s_load_dwordx2 s[24:25], s[2:3], 0x0
	v_sub_u16_e32 v10, v0, v2
	v_mov_b32_e32 v9, 0
	v_lshlrev_b32_e32 v8, 2, v0
	s_waitcnt lgkmcnt(0)
	v_mov_b32_e32 v2, s22
	v_mov_b32_e32 v3, s23
	v_cmp_ge_i64_e32 vcc, s[24:25], v[2:3]
	s_cbranch_vccnz .LBB78_12
; %bb.8:
	s_load_dwordx4 s[8:11], s[4:5], 0x30
	s_load_dwordx2 s[2:3], s[4:5], 0x40
	s_sub_u32 s4, s22, s18
	s_mov_b32 s7, 0xffff
	s_subb_u32 s5, s23, 0
	s_movk_i32 s13, 0x3c1
	v_and_b32_sdwa v1, s7, v1 dst_sel:DWORD dst_unused:UNUSED_PAD src0_sel:DWORD src1_sel:WORD_1
	v_subrev_u32_e32 v2, 31, v1
	v_cmp_gt_u32_e32 vcc, s13, v0
	s_sub_u32 s22, s24, s18
	v_cndmask_b32_e32 v1, v2, v1, vcc
	s_subb_u32 s23, s25, 0
	v_cndmask_b32_e64 v1, v10, v1, s[0:1]
	s_mul_i32 s0, s23, 0xf04
	s_mul_hi_u32 s1, s22, 0xf04
	s_add_i32 s1, s1, s0
	s_mul_i32 s0, s22, 0xf04
	s_waitcnt lgkmcnt(0)
	s_add_u32 s0, s10, s0
	s_addc_u32 s1, s11, s1
	v_mov_b32_e32 v3, s1
	v_add_co_u32_e32 v2, vcc, s0, v8
	v_addc_co_u32_e32 v3, vcc, 0, v3, vcc
	s_movk_i32 s0, 0x3c0
	v_cmp_lt_u32_e32 vcc, s0, v0
	v_cndmask_b32_e64 v11, 0, 1, vcc
	v_mov_b32_e32 v4, s25
	v_add_co_u32_e32 v5, vcc, s24, v11
	v_addc_co_u32_e32 v6, vcc, 0, v4, vcc
	v_subrev_co_u32_e32 v4, vcc, s18, v5
	v_subbrev_co_u32_e32 v5, vcc, 0, v6, vcc
	v_lshlrev_b64 v[4:5], 2, v[4:5]
	v_mov_b32_e32 v6, s9
	v_add_co_u32_e32 v4, vcc, s8, v4
	v_addc_co_u32_e32 v5, vcc, v6, v5, vcc
	v_mov_b32_e32 v7, s5
	v_mov_b32_e32 v9, 0
	;; [unrolled: 1-line block ×3, first 2 shown]
	s_branch .LBB78_10
.LBB78_9:                               ;   in Loop: Header=BB78_10 Depth=1
	s_or_b64 exec, exec, s[0:1]
	s_add_u32 s22, s22, 1
	s_addc_u32 s23, s23, 0
	v_cmp_lt_i64_e32 vcc, s[22:23], v[6:7]
	v_add_co_u32_e64 v4, s[0:1], 4, v4
	v_addc_co_u32_e64 v5, s[0:1], 0, v5, s[0:1]
	s_cbranch_vccz .LBB78_12
.LBB78_10:                              ; =>This Inner Loop Header: Depth=1
	v_mov_b32_e32 v13, s23
	v_add_co_u32_e32 v12, vcc, s22, v11
	v_addc_co_u32_e32 v13, vcc, 0, v13, vcc
	v_cmp_gt_i64_e32 vcc, s[4:5], v[12:13]
	s_and_saveexec_b64 s[0:1], vcc
	s_cbranch_execz .LBB78_9
; %bb.11:                               ;   in Loop: Header=BB78_10 Depth=1
	global_load_dword v12, v[4:5], off
	v_mov_b32_e32 v15, s3
	global_load_dword v14, v[2:3], off
	s_waitcnt vmcnt(1)
	v_subrev_u32_e32 v12, s18, v12
	v_mad_u64_u32 v[12:13], s[8:9], v12, 31, v[1:2]
	v_ashrrev_i32_e32 v13, 31, v12
	v_lshlrev_b64 v[12:13], 2, v[12:13]
	v_add_co_u32_e32 v12, vcc, s2, v12
	v_addc_co_u32_e32 v13, vcc, v15, v13, vcc
	global_load_dword v12, v[12:13], off
	v_add_co_u32_e32 v2, vcc, 0xf04, v2
	v_addc_co_u32_e32 v3, vcc, 0, v3, vcc
	s_waitcnt vmcnt(0)
	v_fmac_f32_e32 v9, v14, v12
	s_branch .LBB78_9
.LBB78_12:
	s_and_b64 vcc, exec, s[20:21]
	ds_write_b32 v8, v9
	s_waitcnt lgkmcnt(0)
	s_barrier
	s_cbranch_vccz .LBB78_24
; %bb.13:
	v_cmp_gt_u16_e32 vcc, 15, v10
	s_and_saveexec_b64 s[0:1], vcc
	s_cbranch_execz .LBB78_15
; %bb.14:
	ds_read2_b32 v[1:2], v8 offset1:16
	s_waitcnt lgkmcnt(0)
	v_add_f32_e32 v1, v2, v1
	ds_write_b32 v8, v1
.LBB78_15:
	s_or_b64 exec, exec, s[0:1]
	v_cmp_gt_u16_e32 vcc, 8, v10
	s_waitcnt lgkmcnt(0)
	s_barrier
	s_and_saveexec_b64 s[0:1], vcc
	s_cbranch_execz .LBB78_17
; %bb.16:
	ds_read2_b32 v[1:2], v8 offset1:8
	s_waitcnt lgkmcnt(0)
	v_add_f32_e32 v1, v2, v1
	ds_write_b32 v8, v1
.LBB78_17:
	s_or_b64 exec, exec, s[0:1]
	v_cmp_gt_u16_e32 vcc, 4, v10
	s_waitcnt lgkmcnt(0)
	s_barrier
	;; [unrolled: 12-line block ×3, first 2 shown]
	s_and_saveexec_b64 s[0:1], vcc
	s_cbranch_execz .LBB78_21
; %bb.20:
	ds_read2_b32 v[1:2], v8 offset1:2
	s_waitcnt lgkmcnt(0)
	v_add_f32_e32 v1, v2, v1
	ds_write_b32 v8, v1
.LBB78_21:
	s_or_b64 exec, exec, s[0:1]
	v_cmp_gt_u32_e32 vcc, 31, v0
	v_mov_b32_e32 v1, v9
	s_waitcnt lgkmcnt(0)
	s_barrier
	s_and_saveexec_b64 s[0:1], vcc
	s_cbranch_execz .LBB78_23
; %bb.22:
	s_movk_i32 s2, 0x78
	v_mad_u32_u24 v1, v0, s2, v8
	ds_read2_b32 v[1:2], v1 offset1:1
	s_waitcnt lgkmcnt(0)
	v_add_f32_e32 v1, v1, v2
.LBB78_23:
	s_or_b64 exec, exec, s[0:1]
	s_branch .LBB78_36
.LBB78_24:
                                        ; implicit-def: $vgpr1
	s_cbranch_execz .LBB78_36
; %bb.25:
	s_movk_i32 s0, 0x1d1
	v_cmp_gt_u32_e32 vcc, s0, v0
	s_and_saveexec_b64 s[0:1], vcc
	s_cbranch_execz .LBB78_27
; %bb.26:
	ds_read_b32 v1, v8 offset:1984
	ds_read_b32 v2, v8
	s_waitcnt lgkmcnt(0)
	v_add_f32_e32 v1, v1, v2
	ds_write_b32 v8, v1
.LBB78_27:
	s_or_b64 exec, exec, s[0:1]
	s_movk_i32 s0, 0xf8
	v_cmp_gt_u32_e32 vcc, s0, v0
	s_waitcnt lgkmcnt(0)
	s_barrier
	s_and_saveexec_b64 s[0:1], vcc
	s_cbranch_execz .LBB78_29
; %bb.28:
	ds_read2_b32 v[1:2], v8 offset1:248
	s_waitcnt lgkmcnt(0)
	v_add_f32_e32 v1, v2, v1
	ds_write_b32 v8, v1
.LBB78_29:
	s_or_b64 exec, exec, s[0:1]
	s_movk_i32 s0, 0x7c
	v_cmp_gt_u32_e32 vcc, s0, v0
	s_waitcnt lgkmcnt(0)
	s_barrier
	s_and_saveexec_b64 s[0:1], vcc
	s_cbranch_execz .LBB78_31
; %bb.30:
	ds_read2_b32 v[1:2], v8 offset1:124
	s_waitcnt lgkmcnt(0)
	v_add_f32_e32 v1, v2, v1
	ds_write_b32 v8, v1
.LBB78_31:
	s_or_b64 exec, exec, s[0:1]
	v_cmp_gt_u32_e32 vcc, 62, v0
	s_waitcnt lgkmcnt(0)
	s_barrier
	s_and_saveexec_b64 s[0:1], vcc
	s_cbranch_execz .LBB78_33
; %bb.32:
	ds_read2_b32 v[1:2], v8 offset1:62
	s_waitcnt lgkmcnt(0)
	v_add_f32_e32 v1, v2, v1
	ds_write_b32 v8, v1
.LBB78_33:
	s_or_b64 exec, exec, s[0:1]
	v_cmp_gt_u32_e32 vcc, 31, v0
	s_waitcnt lgkmcnt(0)
	s_and_saveexec_b64 s[0:1], vcc
	s_cbranch_execz .LBB78_35
; %bb.34:
	ds_read2_b32 v[1:2], v8 offset1:31
	s_waitcnt lgkmcnt(0)
	v_add_f32_e32 v9, v1, v2
.LBB78_35:
	s_or_b64 exec, exec, s[0:1]
	v_mov_b32_e32 v1, v9
.LBB78_36:
	v_cmp_gt_u32_e32 vcc, 31, v0
	s_and_saveexec_b64 s[0:1], vcc
	s_cbranch_execz .LBB78_40
; %bb.37:
	v_cmp_eq_f32_e64 s[0:1], s12, 0
	s_and_b64 vcc, exec, s[0:1]
	v_mul_f32_e32 v1, s14, v1
	s_cbranch_vccz .LBB78_41
; %bb.38:
	v_mad_u64_u32 v[2:3], s[0:1], s6, 31, v[0:1]
	v_mov_b32_e32 v3, 0
	v_mov_b32_e32 v4, s17
	v_lshlrev_b64 v[2:3], 2, v[2:3]
	v_add_co_u32_e32 v2, vcc, s16, v2
	v_addc_co_u32_e32 v3, vcc, v4, v3, vcc
	global_store_dword v[2:3], v1, off
	s_cbranch_execnz .LBB78_40
.LBB78_39:
	v_mad_u64_u32 v[2:3], s[0:1], s6, 31, v[0:1]
	v_mov_b32_e32 v3, 0
	v_mov_b32_e32 v0, s17
	v_lshlrev_b64 v[2:3], 2, v[2:3]
	v_add_co_u32_e32 v2, vcc, s16, v2
	v_addc_co_u32_e32 v3, vcc, v0, v3, vcc
	global_load_dword v0, v[2:3], off
	s_waitcnt vmcnt(0)
	v_fmac_f32_e32 v1, s12, v0
	global_store_dword v[2:3], v1, off
.LBB78_40:
	s_endpgm
.LBB78_41:
	s_branch .LBB78_39
	.section	.rodata,"a",@progbits
	.p2align	6, 0x0
	.amdhsa_kernel _ZN9rocsparseL20bsrxmvn_17_32_kernelILj31EflifffEEvT2_20rocsparse_direction_NS_24const_host_device_scalarIT0_EES1_PKS1_PKT1_SA_S7_PKT3_PKT4_S5_PT5_21rocsparse_index_base_b
		.amdhsa_group_segment_fixed_size 3844
		.amdhsa_private_segment_fixed_size 0
		.amdhsa_kernarg_size 96
		.amdhsa_user_sgpr_count 6
		.amdhsa_user_sgpr_private_segment_buffer 1
		.amdhsa_user_sgpr_dispatch_ptr 0
		.amdhsa_user_sgpr_queue_ptr 0
		.amdhsa_user_sgpr_kernarg_segment_ptr 1
		.amdhsa_user_sgpr_dispatch_id 0
		.amdhsa_user_sgpr_flat_scratch_init 0
		.amdhsa_user_sgpr_private_segment_size 0
		.amdhsa_uses_dynamic_stack 0
		.amdhsa_system_sgpr_private_segment_wavefront_offset 0
		.amdhsa_system_sgpr_workgroup_id_x 1
		.amdhsa_system_sgpr_workgroup_id_y 0
		.amdhsa_system_sgpr_workgroup_id_z 0
		.amdhsa_system_sgpr_workgroup_info 0
		.amdhsa_system_vgpr_workitem_id 0
		.amdhsa_next_free_vgpr 29
		.amdhsa_next_free_sgpr 61
		.amdhsa_reserve_vcc 1
		.amdhsa_reserve_flat_scratch 0
		.amdhsa_float_round_mode_32 0
		.amdhsa_float_round_mode_16_64 0
		.amdhsa_float_denorm_mode_32 3
		.amdhsa_float_denorm_mode_16_64 3
		.amdhsa_dx10_clamp 1
		.amdhsa_ieee_mode 1
		.amdhsa_fp16_overflow 0
		.amdhsa_exception_fp_ieee_invalid_op 0
		.amdhsa_exception_fp_denorm_src 0
		.amdhsa_exception_fp_ieee_div_zero 0
		.amdhsa_exception_fp_ieee_overflow 0
		.amdhsa_exception_fp_ieee_underflow 0
		.amdhsa_exception_fp_ieee_inexact 0
		.amdhsa_exception_int_div_zero 0
	.end_amdhsa_kernel
	.section	.text._ZN9rocsparseL20bsrxmvn_17_32_kernelILj31EflifffEEvT2_20rocsparse_direction_NS_24const_host_device_scalarIT0_EES1_PKS1_PKT1_SA_S7_PKT3_PKT4_S5_PT5_21rocsparse_index_base_b,"axG",@progbits,_ZN9rocsparseL20bsrxmvn_17_32_kernelILj31EflifffEEvT2_20rocsparse_direction_NS_24const_host_device_scalarIT0_EES1_PKS1_PKT1_SA_S7_PKT3_PKT4_S5_PT5_21rocsparse_index_base_b,comdat
.Lfunc_end78:
	.size	_ZN9rocsparseL20bsrxmvn_17_32_kernelILj31EflifffEEvT2_20rocsparse_direction_NS_24const_host_device_scalarIT0_EES1_PKS1_PKT1_SA_S7_PKT3_PKT4_S5_PT5_21rocsparse_index_base_b, .Lfunc_end78-_ZN9rocsparseL20bsrxmvn_17_32_kernelILj31EflifffEEvT2_20rocsparse_direction_NS_24const_host_device_scalarIT0_EES1_PKS1_PKT1_SA_S7_PKT3_PKT4_S5_PT5_21rocsparse_index_base_b
                                        ; -- End function
	.set _ZN9rocsparseL20bsrxmvn_17_32_kernelILj31EflifffEEvT2_20rocsparse_direction_NS_24const_host_device_scalarIT0_EES1_PKS1_PKT1_SA_S7_PKT3_PKT4_S5_PT5_21rocsparse_index_base_b.num_vgpr, 16
	.set _ZN9rocsparseL20bsrxmvn_17_32_kernelILj31EflifffEEvT2_20rocsparse_direction_NS_24const_host_device_scalarIT0_EES1_PKS1_PKT1_SA_S7_PKT3_PKT4_S5_PT5_21rocsparse_index_base_b.num_agpr, 0
	.set _ZN9rocsparseL20bsrxmvn_17_32_kernelILj31EflifffEEvT2_20rocsparse_direction_NS_24const_host_device_scalarIT0_EES1_PKS1_PKT1_SA_S7_PKT3_PKT4_S5_PT5_21rocsparse_index_base_b.numbered_sgpr, 26
	.set _ZN9rocsparseL20bsrxmvn_17_32_kernelILj31EflifffEEvT2_20rocsparse_direction_NS_24const_host_device_scalarIT0_EES1_PKS1_PKT1_SA_S7_PKT3_PKT4_S5_PT5_21rocsparse_index_base_b.num_named_barrier, 0
	.set _ZN9rocsparseL20bsrxmvn_17_32_kernelILj31EflifffEEvT2_20rocsparse_direction_NS_24const_host_device_scalarIT0_EES1_PKS1_PKT1_SA_S7_PKT3_PKT4_S5_PT5_21rocsparse_index_base_b.private_seg_size, 0
	.set _ZN9rocsparseL20bsrxmvn_17_32_kernelILj31EflifffEEvT2_20rocsparse_direction_NS_24const_host_device_scalarIT0_EES1_PKS1_PKT1_SA_S7_PKT3_PKT4_S5_PT5_21rocsparse_index_base_b.uses_vcc, 1
	.set _ZN9rocsparseL20bsrxmvn_17_32_kernelILj31EflifffEEvT2_20rocsparse_direction_NS_24const_host_device_scalarIT0_EES1_PKS1_PKT1_SA_S7_PKT3_PKT4_S5_PT5_21rocsparse_index_base_b.uses_flat_scratch, 0
	.set _ZN9rocsparseL20bsrxmvn_17_32_kernelILj31EflifffEEvT2_20rocsparse_direction_NS_24const_host_device_scalarIT0_EES1_PKS1_PKT1_SA_S7_PKT3_PKT4_S5_PT5_21rocsparse_index_base_b.has_dyn_sized_stack, 0
	.set _ZN9rocsparseL20bsrxmvn_17_32_kernelILj31EflifffEEvT2_20rocsparse_direction_NS_24const_host_device_scalarIT0_EES1_PKS1_PKT1_SA_S7_PKT3_PKT4_S5_PT5_21rocsparse_index_base_b.has_recursion, 0
	.set _ZN9rocsparseL20bsrxmvn_17_32_kernelILj31EflifffEEvT2_20rocsparse_direction_NS_24const_host_device_scalarIT0_EES1_PKS1_PKT1_SA_S7_PKT3_PKT4_S5_PT5_21rocsparse_index_base_b.has_indirect_call, 0
	.section	.AMDGPU.csdata,"",@progbits
; Kernel info:
; codeLenInByte = 1312
; TotalNumSgprs: 30
; NumVgprs: 16
; ScratchSize: 0
; MemoryBound: 0
; FloatMode: 240
; IeeeMode: 1
; LDSByteSize: 3844 bytes/workgroup (compile time only)
; SGPRBlocks: 8
; VGPRBlocks: 7
; NumSGPRsForWavesPerEU: 65
; NumVGPRsForWavesPerEU: 29
; Occupancy: 8
; WaveLimiterHint : 1
; COMPUTE_PGM_RSRC2:SCRATCH_EN: 0
; COMPUTE_PGM_RSRC2:USER_SGPR: 6
; COMPUTE_PGM_RSRC2:TRAP_HANDLER: 0
; COMPUTE_PGM_RSRC2:TGID_X_EN: 1
; COMPUTE_PGM_RSRC2:TGID_Y_EN: 0
; COMPUTE_PGM_RSRC2:TGID_Z_EN: 0
; COMPUTE_PGM_RSRC2:TIDIG_COMP_CNT: 0
	.section	.text._ZN9rocsparseL20bsrxmvn_17_32_kernelILj32EflifffEEvT2_20rocsparse_direction_NS_24const_host_device_scalarIT0_EES1_PKS1_PKT1_SA_S7_PKT3_PKT4_S5_PT5_21rocsparse_index_base_b,"axG",@progbits,_ZN9rocsparseL20bsrxmvn_17_32_kernelILj32EflifffEEvT2_20rocsparse_direction_NS_24const_host_device_scalarIT0_EES1_PKS1_PKT1_SA_S7_PKT3_PKT4_S5_PT5_21rocsparse_index_base_b,comdat
	.globl	_ZN9rocsparseL20bsrxmvn_17_32_kernelILj32EflifffEEvT2_20rocsparse_direction_NS_24const_host_device_scalarIT0_EES1_PKS1_PKT1_SA_S7_PKT3_PKT4_S5_PT5_21rocsparse_index_base_b ; -- Begin function _ZN9rocsparseL20bsrxmvn_17_32_kernelILj32EflifffEEvT2_20rocsparse_direction_NS_24const_host_device_scalarIT0_EES1_PKS1_PKT1_SA_S7_PKT3_PKT4_S5_PT5_21rocsparse_index_base_b
	.p2align	8
	.type	_ZN9rocsparseL20bsrxmvn_17_32_kernelILj32EflifffEEvT2_20rocsparse_direction_NS_24const_host_device_scalarIT0_EES1_PKS1_PKT1_SA_S7_PKT3_PKT4_S5_PT5_21rocsparse_index_base_b,@function
_ZN9rocsparseL20bsrxmvn_17_32_kernelILj32EflifffEEvT2_20rocsparse_direction_NS_24const_host_device_scalarIT0_EES1_PKS1_PKT1_SA_S7_PKT3_PKT4_S5_PT5_21rocsparse_index_base_b: ; @_ZN9rocsparseL20bsrxmvn_17_32_kernelILj32EflifffEEvT2_20rocsparse_direction_NS_24const_host_device_scalarIT0_EES1_PKS1_PKT1_SA_S7_PKT3_PKT4_S5_PT5_21rocsparse_index_base_b
; %bb.0:
	s_load_dwordx2 s[12:13], s[4:5], 0x58
	s_load_dwordx2 s[10:11], s[4:5], 0x8
	;; [unrolled: 1-line block ×3, first 2 shown]
	s_waitcnt lgkmcnt(0)
	s_bitcmp1_b32 s13, 0
	s_cselect_b64 s[2:3], -1, 0
	s_xor_b64 s[0:1], s[2:3], -1
	s_and_b64 vcc, exec, s[2:3]
	s_cbranch_vccnz .LBB79_2
; %bb.1:
	s_load_dword s10, s[10:11], 0x0
.LBB79_2:
	s_andn2_b64 vcc, exec, s[0:1]
	s_cbranch_vccnz .LBB79_4
; %bb.3:
	s_load_dword s8, s[8:9], 0x0
.LBB79_4:
	s_waitcnt lgkmcnt(0)
	v_cmp_neq_f32_e64 s[0:1], s10, 0
	v_cmp_neq_f32_e64 s[2:3], s8, 1.0
	s_or_b64 s[0:1], s[0:1], s[2:3]
	s_andn2_b64 vcc, exec, s[0:1]
	s_cbranch_vccnz .LBB79_38
; %bb.5:
	s_load_dwordx4 s[0:3], s[4:5], 0x18
	s_load_dwordx2 s[16:17], s[4:5], 0x28
	s_waitcnt lgkmcnt(0)
	s_cmp_eq_u64 s[0:1], 0
	s_cbranch_scc1 .LBB79_7
; %bb.6:
	s_ashr_i32 s7, s6, 31
	s_lshl_b64 s[6:7], s[6:7], 2
	s_add_u32 s0, s0, s6
	s_addc_u32 s1, s1, s7
	s_load_dword s0, s[0:1], 0x0
	s_waitcnt lgkmcnt(0)
	s_sub_i32 s6, s0, s12
.LBB79_7:
	s_load_dword s7, s[4:5], 0x4
	v_and_b32_e32 v7, 31, v0
	v_mov_b32_e32 v6, 0
	v_lshlrev_b32_e32 v5, 2, v0
	s_waitcnt lgkmcnt(0)
	s_cmp_eq_u32 s7, 1
	s_cselect_b64 s[0:1], -1, 0
	s_cmp_lg_u32 s7, 1
	s_cselect_b64 s[14:15], -1, 0
	s_ashr_i32 s7, s6, 31
	s_lshl_b64 s[18:19], s[6:7], 3
	s_add_u32 s22, s2, s18
	s_addc_u32 s23, s3, s19
	s_add_u32 s2, s22, 8
	s_addc_u32 s3, s23, 0
	;; [unrolled: 2-line block ×3, first 2 shown]
	s_cmp_eq_u64 s[16:17], 0
	s_cselect_b32 s17, s3, s9
	s_cselect_b32 s16, s2, s7
	s_load_dwordx2 s[20:21], s[16:17], 0x0
	s_load_dwordx2 s[18:19], s[22:23], 0x0
	;; [unrolled: 1-line block ×3, first 2 shown]
	s_waitcnt lgkmcnt(0)
	v_mov_b32_e32 v1, s20
	v_mov_b32_e32 v2, s21
	v_cmp_ge_i64_e32 vcc, s[18:19], v[1:2]
	s_cbranch_vccnz .LBB79_10
; %bb.8:
	s_sub_u32 s20, s20, s12
	s_load_dwordx4 s[24:27], s[4:5], 0x30
	s_load_dwordx2 s[16:17], s[4:5], 0x40
	s_subb_u32 s21, s21, 0
	v_lshrrev_b32_e32 v1, 5, v0
	v_cndmask_b32_e64 v8, v7, v1, s[0:1]
	s_sub_u32 s0, s18, s12
	s_subb_u32 s1, s19, 0
	s_lshl_b64 s[4:5], s[0:1], 12
	s_waitcnt lgkmcnt(0)
	s_add_u32 s4, s26, s4
	s_mov_b32 s13, 0
	s_addc_u32 s5, s27, s5
	v_mov_b32_e32 v2, s5
	v_add_co_u32_e32 v1, vcc, s4, v5
	s_lshl_b64 s[4:5], s[18:19], 2
	s_lshl_b64 s[18:19], s[12:13], 2
	s_sub_u32 s4, s4, s18
	s_subb_u32 s5, s5, s19
	s_add_u32 s4, s24, s4
	v_mov_b32_e32 v3, s20
	v_mov_b32_e32 v6, 0
	v_addc_co_u32_e32 v2, vcc, 0, v2, vcc
	s_addc_u32 s5, s25, s5
	v_mov_b32_e32 v9, s17
	v_mov_b32_e32 v4, s21
.LBB79_9:                               ; =>This Inner Loop Header: Depth=1
	s_load_dword s7, s[4:5], 0x0
	global_load_dword v12, v[1:2], off
	s_waitcnt lgkmcnt(0)
	s_sub_i32 s7, s7, s12
	v_lshl_or_b32 v10, s7, 5, v8
	v_ashrrev_i32_e32 v11, 31, v10
	v_lshlrev_b64 v[10:11], 2, v[10:11]
	s_add_u32 s0, s0, 1
	v_add_co_u32_e32 v10, vcc, s16, v10
	v_addc_co_u32_e32 v11, vcc, v9, v11, vcc
	global_load_dword v10, v[10:11], off
	v_add_co_u32_e32 v1, vcc, 0x1000, v1
	v_addc_co_u32_e32 v2, vcc, 0, v2, vcc
	s_addc_u32 s1, s1, 0
	v_cmp_lt_i64_e32 vcc, s[0:1], v[3:4]
	s_add_u32 s4, s4, 4
	s_addc_u32 s5, s5, 0
	s_waitcnt vmcnt(0)
	v_fmac_f32_e32 v6, v12, v10
	s_cbranch_vccnz .LBB79_9
.LBB79_10:
	s_and_b64 vcc, exec, s[14:15]
	ds_write_b32 v5, v6
	s_waitcnt lgkmcnt(0)
	s_barrier
	s_cbranch_vccz .LBB79_22
; %bb.11:
	v_cmp_gt_u32_e32 vcc, 16, v7
	s_and_saveexec_b64 s[0:1], vcc
	s_cbranch_execz .LBB79_13
; %bb.12:
	ds_read2_b32 v[1:2], v5 offset1:16
	s_waitcnt lgkmcnt(0)
	v_add_f32_e32 v1, v2, v1
	ds_write_b32 v5, v1
.LBB79_13:
	s_or_b64 exec, exec, s[0:1]
	v_cmp_gt_u32_e32 vcc, 8, v7
	s_waitcnt lgkmcnt(0)
	s_barrier
	s_and_saveexec_b64 s[0:1], vcc
	s_cbranch_execz .LBB79_15
; %bb.14:
	ds_read2_b32 v[1:2], v5 offset1:8
	s_waitcnt lgkmcnt(0)
	v_add_f32_e32 v1, v2, v1
	ds_write_b32 v5, v1
.LBB79_15:
	s_or_b64 exec, exec, s[0:1]
	v_cmp_gt_u32_e32 vcc, 4, v7
	s_waitcnt lgkmcnt(0)
	s_barrier
	;; [unrolled: 12-line block ×3, first 2 shown]
	s_and_saveexec_b64 s[0:1], vcc
	s_cbranch_execz .LBB79_19
; %bb.18:
	ds_read2_b32 v[1:2], v5 offset1:2
	s_waitcnt lgkmcnt(0)
	v_add_f32_e32 v1, v2, v1
	ds_write_b32 v5, v1
.LBB79_19:
	s_or_b64 exec, exec, s[0:1]
	v_cmp_gt_u32_e32 vcc, 32, v0
	v_mov_b32_e32 v1, v6
	s_waitcnt lgkmcnt(0)
	s_barrier
	s_and_saveexec_b64 s[0:1], vcc
	s_cbranch_execz .LBB79_21
; %bb.20:
	s_movk_i32 s4, 0x7c
	v_mad_u32_u24 v1, v0, s4, v5
	ds_read_b64 v[1:2], v1
	s_waitcnt lgkmcnt(0)
	v_add_f32_e32 v1, v1, v2
.LBB79_21:
	s_or_b64 exec, exec, s[0:1]
	s_branch .LBB79_34
.LBB79_22:
                                        ; implicit-def: $vgpr1
	s_cbranch_execz .LBB79_34
; %bb.23:
	s_movk_i32 s0, 0x200
	v_cmp_gt_u32_e32 vcc, s0, v0
	s_and_saveexec_b64 s[0:1], vcc
	s_cbranch_execz .LBB79_25
; %bb.24:
	ds_read2st64_b32 v[1:2], v5 offset1:8
	s_waitcnt lgkmcnt(0)
	v_add_f32_e32 v1, v2, v1
	ds_write_b32 v5, v1
.LBB79_25:
	s_or_b64 exec, exec, s[0:1]
	s_movk_i32 s0, 0x100
	v_cmp_gt_u32_e32 vcc, s0, v0
	s_waitcnt lgkmcnt(0)
	s_barrier
	s_and_saveexec_b64 s[0:1], vcc
	s_cbranch_execz .LBB79_27
; %bb.26:
	ds_read2st64_b32 v[1:2], v5 offset1:4
	s_waitcnt lgkmcnt(0)
	v_add_f32_e32 v1, v2, v1
	ds_write_b32 v5, v1
.LBB79_27:
	s_or_b64 exec, exec, s[0:1]
	s_movk_i32 s0, 0x80
	v_cmp_gt_u32_e32 vcc, s0, v0
	s_waitcnt lgkmcnt(0)
	s_barrier
	s_and_saveexec_b64 s[0:1], vcc
	s_cbranch_execz .LBB79_29
; %bb.28:
	ds_read2st64_b32 v[1:2], v5 offset1:2
	s_waitcnt lgkmcnt(0)
	v_add_f32_e32 v1, v2, v1
	ds_write_b32 v5, v1
.LBB79_29:
	s_or_b64 exec, exec, s[0:1]
	v_cmp_gt_u32_e32 vcc, 64, v0
	s_waitcnt lgkmcnt(0)
	s_barrier
	s_and_saveexec_b64 s[0:1], vcc
	s_cbranch_execz .LBB79_31
; %bb.30:
	ds_read2st64_b32 v[1:2], v5 offset1:1
	s_waitcnt lgkmcnt(0)
	v_add_f32_e32 v1, v2, v1
	ds_write_b32 v5, v1
.LBB79_31:
	s_or_b64 exec, exec, s[0:1]
	v_cmp_gt_u32_e32 vcc, 32, v0
	s_waitcnt lgkmcnt(0)
	s_and_saveexec_b64 s[0:1], vcc
	s_cbranch_execz .LBB79_33
; %bb.32:
	ds_read2_b32 v[1:2], v5 offset1:32
	s_waitcnt lgkmcnt(0)
	v_add_f32_e32 v6, v1, v2
.LBB79_33:
	s_or_b64 exec, exec, s[0:1]
	v_mov_b32_e32 v1, v6
.LBB79_34:
	v_cmp_gt_u32_e32 vcc, 32, v0
	s_and_saveexec_b64 s[0:1], vcc
	s_cbranch_execz .LBB79_38
; %bb.35:
	v_cmp_eq_f32_e64 s[0:1], s8, 0
	s_and_b64 vcc, exec, s[0:1]
	v_mul_f32_e32 v2, s10, v1
	v_lshl_or_b32 v0, s6, 5, v0
	s_cbranch_vccz .LBB79_39
; %bb.36:
	v_mov_b32_e32 v1, 0
	v_lshlrev_b64 v[3:4], 2, v[0:1]
	v_mov_b32_e32 v1, s3
	v_add_co_u32_e32 v3, vcc, s2, v3
	v_addc_co_u32_e32 v4, vcc, v1, v4, vcc
	global_store_dword v[3:4], v2, off
	s_cbranch_execnz .LBB79_38
.LBB79_37:
	v_mov_b32_e32 v1, 0
	v_lshlrev_b64 v[0:1], 2, v[0:1]
	v_mov_b32_e32 v3, s3
	v_add_co_u32_e32 v0, vcc, s2, v0
	v_addc_co_u32_e32 v1, vcc, v3, v1, vcc
	global_load_dword v3, v[0:1], off
	s_waitcnt vmcnt(0)
	v_fmac_f32_e32 v2, s8, v3
	global_store_dword v[0:1], v2, off
.LBB79_38:
	s_endpgm
.LBB79_39:
	s_branch .LBB79_37
	.section	.rodata,"a",@progbits
	.p2align	6, 0x0
	.amdhsa_kernel _ZN9rocsparseL20bsrxmvn_17_32_kernelILj32EflifffEEvT2_20rocsparse_direction_NS_24const_host_device_scalarIT0_EES1_PKS1_PKT1_SA_S7_PKT3_PKT4_S5_PT5_21rocsparse_index_base_b
		.amdhsa_group_segment_fixed_size 4096
		.amdhsa_private_segment_fixed_size 0
		.amdhsa_kernarg_size 96
		.amdhsa_user_sgpr_count 6
		.amdhsa_user_sgpr_private_segment_buffer 1
		.amdhsa_user_sgpr_dispatch_ptr 0
		.amdhsa_user_sgpr_queue_ptr 0
		.amdhsa_user_sgpr_kernarg_segment_ptr 1
		.amdhsa_user_sgpr_dispatch_id 0
		.amdhsa_user_sgpr_flat_scratch_init 0
		.amdhsa_user_sgpr_private_segment_size 0
		.amdhsa_uses_dynamic_stack 0
		.amdhsa_system_sgpr_private_segment_wavefront_offset 0
		.amdhsa_system_sgpr_workgroup_id_x 1
		.amdhsa_system_sgpr_workgroup_id_y 0
		.amdhsa_system_sgpr_workgroup_id_z 0
		.amdhsa_system_sgpr_workgroup_info 0
		.amdhsa_system_vgpr_workitem_id 0
		.amdhsa_next_free_vgpr 29
		.amdhsa_next_free_sgpr 61
		.amdhsa_reserve_vcc 1
		.amdhsa_reserve_flat_scratch 0
		.amdhsa_float_round_mode_32 0
		.amdhsa_float_round_mode_16_64 0
		.amdhsa_float_denorm_mode_32 3
		.amdhsa_float_denorm_mode_16_64 3
		.amdhsa_dx10_clamp 1
		.amdhsa_ieee_mode 1
		.amdhsa_fp16_overflow 0
		.amdhsa_exception_fp_ieee_invalid_op 0
		.amdhsa_exception_fp_denorm_src 0
		.amdhsa_exception_fp_ieee_div_zero 0
		.amdhsa_exception_fp_ieee_overflow 0
		.amdhsa_exception_fp_ieee_underflow 0
		.amdhsa_exception_fp_ieee_inexact 0
		.amdhsa_exception_int_div_zero 0
	.end_amdhsa_kernel
	.section	.text._ZN9rocsparseL20bsrxmvn_17_32_kernelILj32EflifffEEvT2_20rocsparse_direction_NS_24const_host_device_scalarIT0_EES1_PKS1_PKT1_SA_S7_PKT3_PKT4_S5_PT5_21rocsparse_index_base_b,"axG",@progbits,_ZN9rocsparseL20bsrxmvn_17_32_kernelILj32EflifffEEvT2_20rocsparse_direction_NS_24const_host_device_scalarIT0_EES1_PKS1_PKT1_SA_S7_PKT3_PKT4_S5_PT5_21rocsparse_index_base_b,comdat
.Lfunc_end79:
	.size	_ZN9rocsparseL20bsrxmvn_17_32_kernelILj32EflifffEEvT2_20rocsparse_direction_NS_24const_host_device_scalarIT0_EES1_PKS1_PKT1_SA_S7_PKT3_PKT4_S5_PT5_21rocsparse_index_base_b, .Lfunc_end79-_ZN9rocsparseL20bsrxmvn_17_32_kernelILj32EflifffEEvT2_20rocsparse_direction_NS_24const_host_device_scalarIT0_EES1_PKS1_PKT1_SA_S7_PKT3_PKT4_S5_PT5_21rocsparse_index_base_b
                                        ; -- End function
	.set _ZN9rocsparseL20bsrxmvn_17_32_kernelILj32EflifffEEvT2_20rocsparse_direction_NS_24const_host_device_scalarIT0_EES1_PKS1_PKT1_SA_S7_PKT3_PKT4_S5_PT5_21rocsparse_index_base_b.num_vgpr, 13
	.set _ZN9rocsparseL20bsrxmvn_17_32_kernelILj32EflifffEEvT2_20rocsparse_direction_NS_24const_host_device_scalarIT0_EES1_PKS1_PKT1_SA_S7_PKT3_PKT4_S5_PT5_21rocsparse_index_base_b.num_agpr, 0
	.set _ZN9rocsparseL20bsrxmvn_17_32_kernelILj32EflifffEEvT2_20rocsparse_direction_NS_24const_host_device_scalarIT0_EES1_PKS1_PKT1_SA_S7_PKT3_PKT4_S5_PT5_21rocsparse_index_base_b.numbered_sgpr, 28
	.set _ZN9rocsparseL20bsrxmvn_17_32_kernelILj32EflifffEEvT2_20rocsparse_direction_NS_24const_host_device_scalarIT0_EES1_PKS1_PKT1_SA_S7_PKT3_PKT4_S5_PT5_21rocsparse_index_base_b.num_named_barrier, 0
	.set _ZN9rocsparseL20bsrxmvn_17_32_kernelILj32EflifffEEvT2_20rocsparse_direction_NS_24const_host_device_scalarIT0_EES1_PKS1_PKT1_SA_S7_PKT3_PKT4_S5_PT5_21rocsparse_index_base_b.private_seg_size, 0
	.set _ZN9rocsparseL20bsrxmvn_17_32_kernelILj32EflifffEEvT2_20rocsparse_direction_NS_24const_host_device_scalarIT0_EES1_PKS1_PKT1_SA_S7_PKT3_PKT4_S5_PT5_21rocsparse_index_base_b.uses_vcc, 1
	.set _ZN9rocsparseL20bsrxmvn_17_32_kernelILj32EflifffEEvT2_20rocsparse_direction_NS_24const_host_device_scalarIT0_EES1_PKS1_PKT1_SA_S7_PKT3_PKT4_S5_PT5_21rocsparse_index_base_b.uses_flat_scratch, 0
	.set _ZN9rocsparseL20bsrxmvn_17_32_kernelILj32EflifffEEvT2_20rocsparse_direction_NS_24const_host_device_scalarIT0_EES1_PKS1_PKT1_SA_S7_PKT3_PKT4_S5_PT5_21rocsparse_index_base_b.has_dyn_sized_stack, 0
	.set _ZN9rocsparseL20bsrxmvn_17_32_kernelILj32EflifffEEvT2_20rocsparse_direction_NS_24const_host_device_scalarIT0_EES1_PKS1_PKT1_SA_S7_PKT3_PKT4_S5_PT5_21rocsparse_index_base_b.has_recursion, 0
	.set _ZN9rocsparseL20bsrxmvn_17_32_kernelILj32EflifffEEvT2_20rocsparse_direction_NS_24const_host_device_scalarIT0_EES1_PKS1_PKT1_SA_S7_PKT3_PKT4_S5_PT5_21rocsparse_index_base_b.has_indirect_call, 0
	.section	.AMDGPU.csdata,"",@progbits
; Kernel info:
; codeLenInByte = 1152
; TotalNumSgprs: 32
; NumVgprs: 13
; ScratchSize: 0
; MemoryBound: 0
; FloatMode: 240
; IeeeMode: 1
; LDSByteSize: 4096 bytes/workgroup (compile time only)
; SGPRBlocks: 8
; VGPRBlocks: 7
; NumSGPRsForWavesPerEU: 65
; NumVGPRsForWavesPerEU: 29
; Occupancy: 8
; WaveLimiterHint : 1
; COMPUTE_PGM_RSRC2:SCRATCH_EN: 0
; COMPUTE_PGM_RSRC2:USER_SGPR: 6
; COMPUTE_PGM_RSRC2:TRAP_HANDLER: 0
; COMPUTE_PGM_RSRC2:TGID_X_EN: 1
; COMPUTE_PGM_RSRC2:TGID_Y_EN: 0
; COMPUTE_PGM_RSRC2:TGID_Z_EN: 0
; COMPUTE_PGM_RSRC2:TIDIG_COMP_CNT: 0
	.section	.text._ZN9rocsparseL20bsrxmvn_17_32_kernelILj17EdlidddEEvT2_20rocsparse_direction_NS_24const_host_device_scalarIT0_EES1_PKS1_PKT1_SA_S7_PKT3_PKT4_S5_PT5_21rocsparse_index_base_b,"axG",@progbits,_ZN9rocsparseL20bsrxmvn_17_32_kernelILj17EdlidddEEvT2_20rocsparse_direction_NS_24const_host_device_scalarIT0_EES1_PKS1_PKT1_SA_S7_PKT3_PKT4_S5_PT5_21rocsparse_index_base_b,comdat
	.globl	_ZN9rocsparseL20bsrxmvn_17_32_kernelILj17EdlidddEEvT2_20rocsparse_direction_NS_24const_host_device_scalarIT0_EES1_PKS1_PKT1_SA_S7_PKT3_PKT4_S5_PT5_21rocsparse_index_base_b ; -- Begin function _ZN9rocsparseL20bsrxmvn_17_32_kernelILj17EdlidddEEvT2_20rocsparse_direction_NS_24const_host_device_scalarIT0_EES1_PKS1_PKT1_SA_S7_PKT3_PKT4_S5_PT5_21rocsparse_index_base_b
	.p2align	8
	.type	_ZN9rocsparseL20bsrxmvn_17_32_kernelILj17EdlidddEEvT2_20rocsparse_direction_NS_24const_host_device_scalarIT0_EES1_PKS1_PKT1_SA_S7_PKT3_PKT4_S5_PT5_21rocsparse_index_base_b,@function
_ZN9rocsparseL20bsrxmvn_17_32_kernelILj17EdlidddEEvT2_20rocsparse_direction_NS_24const_host_device_scalarIT0_EES1_PKS1_PKT1_SA_S7_PKT3_PKT4_S5_PT5_21rocsparse_index_base_b: ; @_ZN9rocsparseL20bsrxmvn_17_32_kernelILj17EdlidddEEvT2_20rocsparse_direction_NS_24const_host_device_scalarIT0_EES1_PKS1_PKT1_SA_S7_PKT3_PKT4_S5_PT5_21rocsparse_index_base_b
; %bb.0:
	s_load_dwordx2 s[14:15], s[4:5], 0x58
	s_load_dwordx2 s[8:9], s[4:5], 0x8
	;; [unrolled: 1-line block ×3, first 2 shown]
	s_waitcnt lgkmcnt(0)
	s_bitcmp1_b32 s15, 0
	s_cselect_b64 s[10:11], -1, 0
	v_mov_b32_e32 v3, s8
	s_xor_b64 s[2:3], s[10:11], -1
	s_and_b64 vcc, exec, s[10:11]
	v_mov_b32_e32 v4, s9
	s_cbranch_vccnz .LBB80_2
; %bb.1:
	v_mov_b32_e32 v1, s8
	v_mov_b32_e32 v2, s9
	flat_load_dwordx2 v[3:4], v[1:2]
.LBB80_2:
	v_mov_b32_e32 v2, s1
	s_andn2_b64 vcc, exec, s[2:3]
	v_mov_b32_e32 v1, s0
	s_cbranch_vccnz .LBB80_4
; %bb.3:
	v_mov_b32_e32 v2, s1
	v_mov_b32_e32 v1, s0
	flat_load_dwordx2 v[1:2], v[1:2]
.LBB80_4:
	s_waitcnt vmcnt(0) lgkmcnt(0)
	v_cmp_neq_f64_e32 vcc, 0, v[3:4]
	v_cmp_neq_f64_e64 s[0:1], 1.0, v[1:2]
	s_or_b64 s[0:1], vcc, s[0:1]
	s_and_saveexec_b64 s[2:3], s[0:1]
	s_cbranch_execz .LBB80_41
; %bb.5:
	s_load_dwordx4 s[0:3], s[4:5], 0x18
	s_load_dwordx2 s[8:9], s[4:5], 0x28
	s_waitcnt lgkmcnt(0)
	s_cmp_eq_u64 s[0:1], 0
	s_cbranch_scc1 .LBB80_7
; %bb.6:
	s_ashr_i32 s7, s6, 31
	s_lshl_b64 s[6:7], s[6:7], 2
	s_add_u32 s0, s0, s6
	s_addc_u32 s1, s1, s7
	s_load_dword s0, s[0:1], 0x0
	s_waitcnt lgkmcnt(0)
	s_sub_i32 s6, s0, s14
.LBB80_7:
	s_load_dword s7, s[4:5], 0x4
	s_load_dwordx2 s[12:13], s[4:5], 0x50
	v_mul_u32_u24_e32 v7, 0xf10, v0
	v_mov_b32_e32 v5, 17
	v_mul_lo_u16_sdwa v5, v7, v5 dst_sel:DWORD dst_unused:UNUSED_PAD src0_sel:WORD_1 src1_sel:DWORD
	s_waitcnt lgkmcnt(0)
	s_cmp_eq_u32 s7, 1
	s_cselect_b64 s[0:1], -1, 0
	s_cmp_lg_u32 s7, 1
	s_cselect_b64 s[16:17], -1, 0
	s_ashr_i32 s7, s6, 31
	s_lshl_b64 s[10:11], s[6:7], 3
	s_add_u32 s2, s2, s10
	s_addc_u32 s3, s3, s11
	s_add_u32 s7, s2, 8
	s_addc_u32 s15, s3, 0
	;; [unrolled: 2-line block ×3, first 2 shown]
	s_cmp_eq_u64 s[8:9], 0
	s_cselect_b32 s9, s15, s11
	s_cselect_b32 s8, s7, s10
	s_load_dwordx2 s[18:19], s[8:9], 0x0
	s_load_dwordx2 s[20:21], s[2:3], 0x0
	v_sub_u16_e32 v13, v0, v5
	v_lshlrev_b32_e32 v12, 3, v0
	s_waitcnt lgkmcnt(0)
	v_mov_b32_e32 v5, s18
	v_mov_b32_e32 v6, s19
	v_cmp_ge_i64_e32 vcc, s[20:21], v[5:6]
	v_mov_b32_e32 v5, 0
	v_mov_b32_e32 v6, 0
	s_cbranch_vccnz .LBB80_12
; %bb.8:
	v_mov_b32_e32 v5, 31
	v_mul_lo_u16_sdwa v5, v7, v5 dst_sel:DWORD dst_unused:UNUSED_PAD src0_sel:WORD_1 src1_sel:DWORD
	s_load_dwordx4 s[8:11], s[4:5], 0x30
	s_load_dwordx2 s[2:3], s[4:5], 0x40
	s_sub_u32 s4, s18, s14
	v_lshrrev_b16_e32 v5, 9, v5
	s_subb_u32 s5, s19, 0
	v_mul_lo_u16_e32 v5, 17, v5
	v_sub_u16_sdwa v5, v7, v5 dst_sel:DWORD dst_unused:UNUSED_PAD src0_sel:WORD_1 src1_sel:DWORD
	s_sub_u32 s18, s20, s14
	v_and_b32_e32 v5, 0xff, v5
	s_subb_u32 s19, s21, 0
	v_cndmask_b32_e64 v7, v13, v5, s[0:1]
	s_mul_i32 s0, s19, 0x908
	s_mul_hi_u32 s1, s18, 0x908
	s_add_i32 s1, s1, s0
	s_mul_i32 s0, s18, 0x908
	s_waitcnt lgkmcnt(0)
	s_add_u32 s0, s10, s0
	s_addc_u32 s1, s11, s1
	v_mov_b32_e32 v5, s1
	v_add_co_u32_e32 v8, vcc, s0, v12
	s_movk_i32 s0, 0xe3
	v_addc_co_u32_e32 v9, vcc, 0, v5, vcc
	v_mul_u32_u24_sdwa v5, v0, s0 dst_sel:DWORD dst_unused:UNUSED_PAD src0_sel:WORD_0 src1_sel:DWORD
	v_lshrrev_b32_e32 v14, 16, v5
	v_mov_b32_e32 v5, s21
	v_add_co_u32_e32 v6, vcc, s20, v14
	v_addc_co_u32_e32 v10, vcc, 0, v5, vcc
	v_subrev_co_u32_e32 v5, vcc, s14, v6
	v_subbrev_co_u32_e32 v6, vcc, 0, v10, vcc
	v_lshlrev_b64 v[10:11], 2, v[5:6]
	v_mov_b32_e32 v15, s9
	v_mov_b32_e32 v5, 0
	v_add_co_u32_e32 v10, vcc, s8, v10
	v_mov_b32_e32 v6, 0
	v_addc_co_u32_e32 v11, vcc, v15, v11, vcc
	s_branch .LBB80_10
.LBB80_9:                               ;   in Loop: Header=BB80_10 Depth=1
	s_or_b64 exec, exec, s[0:1]
	s_add_u32 s18, s18, 1
	v_mov_b32_e32 v16, s5
	s_addc_u32 s19, s19, 0
	v_mov_b32_e32 v15, s4
	v_cmp_lt_i64_e32 vcc, s[18:19], v[15:16]
	v_add_co_u32_e64 v10, s[0:1], 4, v10
	v_addc_co_u32_e64 v11, s[0:1], 0, v11, s[0:1]
	s_cbranch_vccz .LBB80_12
.LBB80_10:                              ; =>This Inner Loop Header: Depth=1
	v_mov_b32_e32 v16, s19
	v_add_co_u32_e32 v15, vcc, s18, v14
	v_addc_co_u32_e32 v16, vcc, 0, v16, vcc
	v_cmp_gt_i64_e32 vcc, s[4:5], v[15:16]
	s_and_saveexec_b64 s[0:1], vcc
	s_cbranch_execz .LBB80_9
; %bb.11:                               ;   in Loop: Header=BB80_10 Depth=1
	global_load_dword v15, v[10:11], off
	v_mov_b32_e32 v19, s3
	global_load_dwordx2 v[17:18], v[8:9], off
	s_waitcnt vmcnt(1)
	v_subrev_u32_e32 v15, s14, v15
	v_mad_u64_u32 v[15:16], s[8:9], v15, 17, v[7:8]
	v_ashrrev_i32_e32 v16, 31, v15
	v_lshlrev_b64 v[15:16], 3, v[15:16]
	v_add_co_u32_e32 v15, vcc, s2, v15
	v_addc_co_u32_e32 v16, vcc, v19, v16, vcc
	global_load_dwordx2 v[15:16], v[15:16], off
	v_add_co_u32_e32 v8, vcc, 0x908, v8
	v_addc_co_u32_e32 v9, vcc, 0, v9, vcc
	s_waitcnt vmcnt(0)
	v_fma_f64 v[5:6], v[17:18], v[15:16], v[5:6]
	s_branch .LBB80_9
.LBB80_12:
	s_and_b64 vcc, exec, s[16:17]
	ds_write_b64 v12, v[5:6]
	s_waitcnt lgkmcnt(0)
	s_barrier
	s_cbranch_vccz .LBB80_24
; %bb.13:
	v_cmp_eq_u16_e32 vcc, 0, v13
	s_and_saveexec_b64 s[0:1], vcc
	s_cbranch_execz .LBB80_15
; %bb.14:
	ds_read2_b64 v[7:10], v12 offset1:16
	s_waitcnt lgkmcnt(0)
	v_add_f64 v[7:8], v[9:10], v[7:8]
	ds_write_b64 v12, v[7:8]
.LBB80_15:
	s_or_b64 exec, exec, s[0:1]
	v_cmp_gt_u16_e32 vcc, 8, v13
	s_waitcnt lgkmcnt(0)
	s_barrier
	s_and_saveexec_b64 s[0:1], vcc
	s_cbranch_execz .LBB80_17
; %bb.16:
	ds_read2_b64 v[7:10], v12 offset1:8
	s_waitcnt lgkmcnt(0)
	v_add_f64 v[7:8], v[9:10], v[7:8]
	ds_write_b64 v12, v[7:8]
.LBB80_17:
	s_or_b64 exec, exec, s[0:1]
	v_cmp_gt_u16_e32 vcc, 4, v13
	s_waitcnt lgkmcnt(0)
	s_barrier
	;; [unrolled: 12-line block ×3, first 2 shown]
	s_and_saveexec_b64 s[0:1], vcc
	s_cbranch_execz .LBB80_21
; %bb.20:
	ds_read2_b64 v[7:10], v12 offset1:2
	s_waitcnt lgkmcnt(0)
	v_add_f64 v[7:8], v[9:10], v[7:8]
	ds_write_b64 v12, v[7:8]
.LBB80_21:
	s_or_b64 exec, exec, s[0:1]
	v_mov_b32_e32 v8, v6
	v_cmp_gt_u32_e32 vcc, 17, v0
	v_mov_b32_e32 v7, v5
	s_waitcnt lgkmcnt(0)
	s_barrier
	s_and_saveexec_b64 s[0:1], vcc
	s_cbranch_execz .LBB80_23
; %bb.22:
	v_lshl_add_u32 v7, v0, 7, v12
	ds_read2_b64 v[7:10], v7 offset1:1
	s_waitcnt lgkmcnt(0)
	v_add_f64 v[7:8], v[7:8], v[9:10]
.LBB80_23:
	s_or_b64 exec, exec, s[0:1]
	v_cmp_gt_u32_e64 s[0:1], 17, v0
	s_branch .LBB80_36
.LBB80_24:
                                        ; implicit-def: $vgpr7_vgpr8
	v_cmp_gt_u32_e64 s[0:1], 17, v0
	s_cbranch_execz .LBB80_36
; %bb.25:
	s_and_saveexec_b64 s[2:3], s[0:1]
	s_cbranch_execz .LBB80_27
; %bb.26:
	ds_read_b64 v[7:8], v12 offset:2176
	ds_read_b64 v[9:10], v12
	s_waitcnt lgkmcnt(0)
	v_add_f64 v[7:8], v[7:8], v[9:10]
	ds_write_b64 v12, v[7:8]
.LBB80_27:
	s_or_b64 exec, exec, s[2:3]
	s_movk_i32 s2, 0x88
	v_cmp_gt_u32_e32 vcc, s2, v0
	s_waitcnt lgkmcnt(0)
	s_barrier
	s_and_saveexec_b64 s[2:3], vcc
	s_cbranch_execz .LBB80_29
; %bb.28:
	ds_read2_b64 v[7:10], v12 offset1:136
	s_waitcnt lgkmcnt(0)
	v_add_f64 v[7:8], v[9:10], v[7:8]
	ds_write_b64 v12, v[7:8]
.LBB80_29:
	s_or_b64 exec, exec, s[2:3]
	s_movk_i32 s2, 0x44
	v_cmp_gt_u32_e32 vcc, s2, v0
	s_waitcnt lgkmcnt(0)
	s_barrier
	s_and_saveexec_b64 s[2:3], vcc
	s_cbranch_execz .LBB80_31
; %bb.30:
	ds_read2_b64 v[7:10], v12 offset1:68
	s_waitcnt lgkmcnt(0)
	v_add_f64 v[7:8], v[9:10], v[7:8]
	ds_write_b64 v12, v[7:8]
.LBB80_31:
	s_or_b64 exec, exec, s[2:3]
	v_cmp_gt_u32_e32 vcc, 34, v0
	s_waitcnt lgkmcnt(0)
	s_barrier
	s_and_saveexec_b64 s[2:3], vcc
	s_cbranch_execz .LBB80_33
; %bb.32:
	ds_read2_b64 v[7:10], v12 offset1:34
	s_waitcnt lgkmcnt(0)
	v_add_f64 v[7:8], v[9:10], v[7:8]
	ds_write_b64 v12, v[7:8]
.LBB80_33:
	s_or_b64 exec, exec, s[2:3]
	s_waitcnt lgkmcnt(0)
	s_and_saveexec_b64 s[2:3], s[0:1]
	s_cbranch_execz .LBB80_35
; %bb.34:
	ds_read2_b64 v[5:8], v12 offset1:17
	s_waitcnt lgkmcnt(0)
	v_add_f64 v[5:6], v[5:6], v[7:8]
.LBB80_35:
	s_or_b64 exec, exec, s[2:3]
	v_mov_b32_e32 v8, v6
	v_mov_b32_e32 v7, v5
.LBB80_36:
	v_cmp_gt_u32_e32 vcc, 17, v0
	s_and_b64 exec, exec, vcc
	s_cbranch_execz .LBB80_41
; %bb.37:
	v_cmp_eq_f64_e32 vcc, 0, v[1:2]
	v_mul_f64 v[3:4], v[3:4], v[7:8]
	s_and_saveexec_b64 s[0:1], vcc
	s_xor_b64 s[0:1], exec, s[0:1]
	s_cbranch_execz .LBB80_39
; %bb.38:
	v_mad_u64_u32 v[0:1], s[2:3], s6, 17, v[0:1]
	v_mov_b32_e32 v1, 0
	v_mov_b32_e32 v2, s13
	v_lshlrev_b64 v[0:1], 3, v[0:1]
	v_add_co_u32_e32 v0, vcc, s12, v0
	v_addc_co_u32_e32 v1, vcc, v2, v1, vcc
	global_store_dwordx2 v[0:1], v[3:4], off
                                        ; implicit-def: $vgpr0
                                        ; implicit-def: $vgpr1_vgpr2
                                        ; implicit-def: $vgpr3_vgpr4
.LBB80_39:
	s_andn2_saveexec_b64 s[0:1], s[0:1]
	s_cbranch_execz .LBB80_41
; %bb.40:
	v_mad_u64_u32 v[5:6], s[0:1], s6, 17, v[0:1]
	v_mov_b32_e32 v6, 0
	v_mov_b32_e32 v0, s13
	v_lshlrev_b64 v[5:6], 3, v[5:6]
	v_add_co_u32_e32 v5, vcc, s12, v5
	v_addc_co_u32_e32 v6, vcc, v0, v6, vcc
	global_load_dwordx2 v[7:8], v[5:6], off
	s_waitcnt vmcnt(0)
	v_fma_f64 v[0:1], v[1:2], v[7:8], v[3:4]
	global_store_dwordx2 v[5:6], v[0:1], off
.LBB80_41:
	s_endpgm
	.section	.rodata,"a",@progbits
	.p2align	6, 0x0
	.amdhsa_kernel _ZN9rocsparseL20bsrxmvn_17_32_kernelILj17EdlidddEEvT2_20rocsparse_direction_NS_24const_host_device_scalarIT0_EES1_PKS1_PKT1_SA_S7_PKT3_PKT4_S5_PT5_21rocsparse_index_base_b
		.amdhsa_group_segment_fixed_size 2312
		.amdhsa_private_segment_fixed_size 0
		.amdhsa_kernarg_size 96
		.amdhsa_user_sgpr_count 6
		.amdhsa_user_sgpr_private_segment_buffer 1
		.amdhsa_user_sgpr_dispatch_ptr 0
		.amdhsa_user_sgpr_queue_ptr 0
		.amdhsa_user_sgpr_kernarg_segment_ptr 1
		.amdhsa_user_sgpr_dispatch_id 0
		.amdhsa_user_sgpr_flat_scratch_init 0
		.amdhsa_user_sgpr_private_segment_size 0
		.amdhsa_uses_dynamic_stack 0
		.amdhsa_system_sgpr_private_segment_wavefront_offset 0
		.amdhsa_system_sgpr_workgroup_id_x 1
		.amdhsa_system_sgpr_workgroup_id_y 0
		.amdhsa_system_sgpr_workgroup_id_z 0
		.amdhsa_system_sgpr_workgroup_info 0
		.amdhsa_system_vgpr_workitem_id 0
		.amdhsa_next_free_vgpr 20
		.amdhsa_next_free_sgpr 22
		.amdhsa_reserve_vcc 1
		.amdhsa_reserve_flat_scratch 0
		.amdhsa_float_round_mode_32 0
		.amdhsa_float_round_mode_16_64 0
		.amdhsa_float_denorm_mode_32 3
		.amdhsa_float_denorm_mode_16_64 3
		.amdhsa_dx10_clamp 1
		.amdhsa_ieee_mode 1
		.amdhsa_fp16_overflow 0
		.amdhsa_exception_fp_ieee_invalid_op 0
		.amdhsa_exception_fp_denorm_src 0
		.amdhsa_exception_fp_ieee_div_zero 0
		.amdhsa_exception_fp_ieee_overflow 0
		.amdhsa_exception_fp_ieee_underflow 0
		.amdhsa_exception_fp_ieee_inexact 0
		.amdhsa_exception_int_div_zero 0
	.end_amdhsa_kernel
	.section	.text._ZN9rocsparseL20bsrxmvn_17_32_kernelILj17EdlidddEEvT2_20rocsparse_direction_NS_24const_host_device_scalarIT0_EES1_PKS1_PKT1_SA_S7_PKT3_PKT4_S5_PT5_21rocsparse_index_base_b,"axG",@progbits,_ZN9rocsparseL20bsrxmvn_17_32_kernelILj17EdlidddEEvT2_20rocsparse_direction_NS_24const_host_device_scalarIT0_EES1_PKS1_PKT1_SA_S7_PKT3_PKT4_S5_PT5_21rocsparse_index_base_b,comdat
.Lfunc_end80:
	.size	_ZN9rocsparseL20bsrxmvn_17_32_kernelILj17EdlidddEEvT2_20rocsparse_direction_NS_24const_host_device_scalarIT0_EES1_PKS1_PKT1_SA_S7_PKT3_PKT4_S5_PT5_21rocsparse_index_base_b, .Lfunc_end80-_ZN9rocsparseL20bsrxmvn_17_32_kernelILj17EdlidddEEvT2_20rocsparse_direction_NS_24const_host_device_scalarIT0_EES1_PKS1_PKT1_SA_S7_PKT3_PKT4_S5_PT5_21rocsparse_index_base_b
                                        ; -- End function
	.set _ZN9rocsparseL20bsrxmvn_17_32_kernelILj17EdlidddEEvT2_20rocsparse_direction_NS_24const_host_device_scalarIT0_EES1_PKS1_PKT1_SA_S7_PKT3_PKT4_S5_PT5_21rocsparse_index_base_b.num_vgpr, 20
	.set _ZN9rocsparseL20bsrxmvn_17_32_kernelILj17EdlidddEEvT2_20rocsparse_direction_NS_24const_host_device_scalarIT0_EES1_PKS1_PKT1_SA_S7_PKT3_PKT4_S5_PT5_21rocsparse_index_base_b.num_agpr, 0
	.set _ZN9rocsparseL20bsrxmvn_17_32_kernelILj17EdlidddEEvT2_20rocsparse_direction_NS_24const_host_device_scalarIT0_EES1_PKS1_PKT1_SA_S7_PKT3_PKT4_S5_PT5_21rocsparse_index_base_b.numbered_sgpr, 22
	.set _ZN9rocsparseL20bsrxmvn_17_32_kernelILj17EdlidddEEvT2_20rocsparse_direction_NS_24const_host_device_scalarIT0_EES1_PKS1_PKT1_SA_S7_PKT3_PKT4_S5_PT5_21rocsparse_index_base_b.num_named_barrier, 0
	.set _ZN9rocsparseL20bsrxmvn_17_32_kernelILj17EdlidddEEvT2_20rocsparse_direction_NS_24const_host_device_scalarIT0_EES1_PKS1_PKT1_SA_S7_PKT3_PKT4_S5_PT5_21rocsparse_index_base_b.private_seg_size, 0
	.set _ZN9rocsparseL20bsrxmvn_17_32_kernelILj17EdlidddEEvT2_20rocsparse_direction_NS_24const_host_device_scalarIT0_EES1_PKS1_PKT1_SA_S7_PKT3_PKT4_S5_PT5_21rocsparse_index_base_b.uses_vcc, 1
	.set _ZN9rocsparseL20bsrxmvn_17_32_kernelILj17EdlidddEEvT2_20rocsparse_direction_NS_24const_host_device_scalarIT0_EES1_PKS1_PKT1_SA_S7_PKT3_PKT4_S5_PT5_21rocsparse_index_base_b.uses_flat_scratch, 0
	.set _ZN9rocsparseL20bsrxmvn_17_32_kernelILj17EdlidddEEvT2_20rocsparse_direction_NS_24const_host_device_scalarIT0_EES1_PKS1_PKT1_SA_S7_PKT3_PKT4_S5_PT5_21rocsparse_index_base_b.has_dyn_sized_stack, 0
	.set _ZN9rocsparseL20bsrxmvn_17_32_kernelILj17EdlidddEEvT2_20rocsparse_direction_NS_24const_host_device_scalarIT0_EES1_PKS1_PKT1_SA_S7_PKT3_PKT4_S5_PT5_21rocsparse_index_base_b.has_recursion, 0
	.set _ZN9rocsparseL20bsrxmvn_17_32_kernelILj17EdlidddEEvT2_20rocsparse_direction_NS_24const_host_device_scalarIT0_EES1_PKS1_PKT1_SA_S7_PKT3_PKT4_S5_PT5_21rocsparse_index_base_b.has_indirect_call, 0
	.section	.AMDGPU.csdata,"",@progbits
; Kernel info:
; codeLenInByte = 1412
; TotalNumSgprs: 26
; NumVgprs: 20
; ScratchSize: 0
; MemoryBound: 0
; FloatMode: 240
; IeeeMode: 1
; LDSByteSize: 2312 bytes/workgroup (compile time only)
; SGPRBlocks: 3
; VGPRBlocks: 4
; NumSGPRsForWavesPerEU: 26
; NumVGPRsForWavesPerEU: 20
; Occupancy: 10
; WaveLimiterHint : 1
; COMPUTE_PGM_RSRC2:SCRATCH_EN: 0
; COMPUTE_PGM_RSRC2:USER_SGPR: 6
; COMPUTE_PGM_RSRC2:TRAP_HANDLER: 0
; COMPUTE_PGM_RSRC2:TGID_X_EN: 1
; COMPUTE_PGM_RSRC2:TGID_Y_EN: 0
; COMPUTE_PGM_RSRC2:TGID_Z_EN: 0
; COMPUTE_PGM_RSRC2:TIDIG_COMP_CNT: 0
	.section	.text._ZN9rocsparseL20bsrxmvn_17_32_kernelILj18EdlidddEEvT2_20rocsparse_direction_NS_24const_host_device_scalarIT0_EES1_PKS1_PKT1_SA_S7_PKT3_PKT4_S5_PT5_21rocsparse_index_base_b,"axG",@progbits,_ZN9rocsparseL20bsrxmvn_17_32_kernelILj18EdlidddEEvT2_20rocsparse_direction_NS_24const_host_device_scalarIT0_EES1_PKS1_PKT1_SA_S7_PKT3_PKT4_S5_PT5_21rocsparse_index_base_b,comdat
	.globl	_ZN9rocsparseL20bsrxmvn_17_32_kernelILj18EdlidddEEvT2_20rocsparse_direction_NS_24const_host_device_scalarIT0_EES1_PKS1_PKT1_SA_S7_PKT3_PKT4_S5_PT5_21rocsparse_index_base_b ; -- Begin function _ZN9rocsparseL20bsrxmvn_17_32_kernelILj18EdlidddEEvT2_20rocsparse_direction_NS_24const_host_device_scalarIT0_EES1_PKS1_PKT1_SA_S7_PKT3_PKT4_S5_PT5_21rocsparse_index_base_b
	.p2align	8
	.type	_ZN9rocsparseL20bsrxmvn_17_32_kernelILj18EdlidddEEvT2_20rocsparse_direction_NS_24const_host_device_scalarIT0_EES1_PKS1_PKT1_SA_S7_PKT3_PKT4_S5_PT5_21rocsparse_index_base_b,@function
_ZN9rocsparseL20bsrxmvn_17_32_kernelILj18EdlidddEEvT2_20rocsparse_direction_NS_24const_host_device_scalarIT0_EES1_PKS1_PKT1_SA_S7_PKT3_PKT4_S5_PT5_21rocsparse_index_base_b: ; @_ZN9rocsparseL20bsrxmvn_17_32_kernelILj18EdlidddEEvT2_20rocsparse_direction_NS_24const_host_device_scalarIT0_EES1_PKS1_PKT1_SA_S7_PKT3_PKT4_S5_PT5_21rocsparse_index_base_b
; %bb.0:
	s_load_dwordx2 s[14:15], s[4:5], 0x58
	s_load_dwordx2 s[8:9], s[4:5], 0x8
	;; [unrolled: 1-line block ×3, first 2 shown]
	s_waitcnt lgkmcnt(0)
	s_bitcmp1_b32 s15, 0
	s_cselect_b64 s[10:11], -1, 0
	v_mov_b32_e32 v3, s8
	s_xor_b64 s[2:3], s[10:11], -1
	s_and_b64 vcc, exec, s[10:11]
	v_mov_b32_e32 v4, s9
	s_cbranch_vccnz .LBB81_2
; %bb.1:
	v_mov_b32_e32 v1, s8
	v_mov_b32_e32 v2, s9
	flat_load_dwordx2 v[3:4], v[1:2]
.LBB81_2:
	v_mov_b32_e32 v2, s1
	s_andn2_b64 vcc, exec, s[2:3]
	v_mov_b32_e32 v1, s0
	s_cbranch_vccnz .LBB81_4
; %bb.3:
	v_mov_b32_e32 v2, s1
	v_mov_b32_e32 v1, s0
	flat_load_dwordx2 v[1:2], v[1:2]
.LBB81_4:
	s_waitcnt vmcnt(0) lgkmcnt(0)
	v_cmp_neq_f64_e32 vcc, 0, v[3:4]
	v_cmp_neq_f64_e64 s[0:1], 1.0, v[1:2]
	s_or_b64 s[0:1], vcc, s[0:1]
	s_and_saveexec_b64 s[2:3], s[0:1]
	s_cbranch_execz .LBB81_41
; %bb.5:
	s_load_dwordx4 s[0:3], s[4:5], 0x18
	s_load_dwordx2 s[8:9], s[4:5], 0x28
	s_waitcnt lgkmcnt(0)
	s_cmp_eq_u64 s[0:1], 0
	s_cbranch_scc1 .LBB81_7
; %bb.6:
	s_ashr_i32 s7, s6, 31
	s_lshl_b64 s[6:7], s[6:7], 2
	s_add_u32 s0, s0, s6
	s_addc_u32 s1, s1, s7
	s_load_dword s0, s[0:1], 0x0
	s_waitcnt lgkmcnt(0)
	s_sub_i32 s6, s0, s14
.LBB81_7:
	s_load_dword s7, s[4:5], 0x4
	s_load_dwordx2 s[12:13], s[4:5], 0x50
	v_mul_u32_u24_e32 v7, 0xe39, v0
	v_mov_b32_e32 v8, 18
	v_mul_lo_u16_sdwa v5, v7, v8 dst_sel:DWORD dst_unused:UNUSED_PAD src0_sel:WORD_1 src1_sel:DWORD
	s_waitcnt lgkmcnt(0)
	s_cmp_eq_u32 s7, 1
	s_cselect_b64 s[0:1], -1, 0
	s_cmp_lg_u32 s7, 1
	s_cselect_b64 s[16:17], -1, 0
	s_ashr_i32 s7, s6, 31
	s_lshl_b64 s[10:11], s[6:7], 3
	s_add_u32 s2, s2, s10
	s_addc_u32 s3, s3, s11
	s_add_u32 s7, s2, 8
	s_addc_u32 s15, s3, 0
	;; [unrolled: 2-line block ×3, first 2 shown]
	s_cmp_eq_u64 s[8:9], 0
	s_cselect_b32 s9, s15, s11
	s_cselect_b32 s8, s7, s10
	s_load_dwordx2 s[18:19], s[8:9], 0x0
	s_load_dwordx2 s[20:21], s[2:3], 0x0
	v_sub_u16_e32 v13, v0, v5
	v_lshlrev_b32_e32 v12, 3, v0
	s_waitcnt lgkmcnt(0)
	v_mov_b32_e32 v5, s18
	v_mov_b32_e32 v6, s19
	v_cmp_ge_i64_e32 vcc, s[20:21], v[5:6]
	v_mov_b32_e32 v5, 0
	v_mov_b32_e32 v6, 0
	s_cbranch_vccnz .LBB81_12
; %bb.8:
	v_mov_b32_e32 v5, 15
	s_load_dwordx4 s[8:11], s[4:5], 0x30
	s_load_dwordx2 s[2:3], s[4:5], 0x40
	s_sub_u32 s4, s18, s14
	v_mul_lo_u16_sdwa v5, v7, v5 dst_sel:DWORD dst_unused:UNUSED_PAD src0_sel:WORD_1 src1_sel:DWORD
	s_subb_u32 s5, s19, 0
	v_mul_lo_u16_sdwa v5, v5, v8 dst_sel:DWORD dst_unused:UNUSED_PAD src0_sel:BYTE_1 src1_sel:DWORD
	v_sub_u16_sdwa v5, v7, v5 dst_sel:DWORD dst_unused:UNUSED_PAD src0_sel:WORD_1 src1_sel:DWORD
	s_sub_u32 s18, s20, s14
	v_and_b32_e32 v5, 0xff, v5
	s_subb_u32 s19, s21, 0
	v_cndmask_b32_e64 v7, v13, v5, s[0:1]
	s_mul_i32 s0, s19, 0xa20
	s_mul_hi_u32 s1, s18, 0xa20
	s_add_i32 s1, s1, s0
	s_mul_i32 s0, s18, 0xa20
	s_waitcnt lgkmcnt(0)
	s_add_u32 s0, s10, s0
	s_addc_u32 s1, s11, s1
	v_mov_b32_e32 v5, s1
	v_add_co_u32_e32 v8, vcc, s0, v12
	s_movk_i32 s0, 0x195
	v_addc_co_u32_e32 v9, vcc, 0, v5, vcc
	v_mul_u32_u24_sdwa v5, v0, s0 dst_sel:DWORD dst_unused:UNUSED_PAD src0_sel:WORD_0 src1_sel:DWORD
	v_lshrrev_b32_e32 v14, 17, v5
	v_mov_b32_e32 v5, s21
	v_add_co_u32_e32 v6, vcc, s20, v14
	v_addc_co_u32_e32 v10, vcc, 0, v5, vcc
	v_subrev_co_u32_e32 v5, vcc, s14, v6
	v_subbrev_co_u32_e32 v6, vcc, 0, v10, vcc
	v_lshlrev_b64 v[10:11], 2, v[5:6]
	v_mov_b32_e32 v15, s9
	v_mov_b32_e32 v5, 0
	v_add_co_u32_e32 v10, vcc, s8, v10
	v_mov_b32_e32 v6, 0
	v_addc_co_u32_e32 v11, vcc, v15, v11, vcc
	s_branch .LBB81_10
.LBB81_9:                               ;   in Loop: Header=BB81_10 Depth=1
	s_or_b64 exec, exec, s[0:1]
	s_add_u32 s18, s18, 1
	v_mov_b32_e32 v16, s5
	s_addc_u32 s19, s19, 0
	v_mov_b32_e32 v15, s4
	v_cmp_lt_i64_e32 vcc, s[18:19], v[15:16]
	v_add_co_u32_e64 v10, s[0:1], 4, v10
	v_addc_co_u32_e64 v11, s[0:1], 0, v11, s[0:1]
	s_cbranch_vccz .LBB81_12
.LBB81_10:                              ; =>This Inner Loop Header: Depth=1
	v_mov_b32_e32 v16, s19
	v_add_co_u32_e32 v15, vcc, s18, v14
	v_addc_co_u32_e32 v16, vcc, 0, v16, vcc
	v_cmp_gt_i64_e32 vcc, s[4:5], v[15:16]
	s_and_saveexec_b64 s[0:1], vcc
	s_cbranch_execz .LBB81_9
; %bb.11:                               ;   in Loop: Header=BB81_10 Depth=1
	global_load_dword v15, v[10:11], off
	v_mov_b32_e32 v19, s3
	global_load_dwordx2 v[17:18], v[8:9], off
	s_waitcnt vmcnt(1)
	v_subrev_u32_e32 v15, s14, v15
	v_mad_u64_u32 v[15:16], s[8:9], v15, 18, v[7:8]
	v_ashrrev_i32_e32 v16, 31, v15
	v_lshlrev_b64 v[15:16], 3, v[15:16]
	v_add_co_u32_e32 v15, vcc, s2, v15
	v_addc_co_u32_e32 v16, vcc, v19, v16, vcc
	global_load_dwordx2 v[15:16], v[15:16], off
	v_add_co_u32_e32 v8, vcc, 0xa20, v8
	v_addc_co_u32_e32 v9, vcc, 0, v9, vcc
	s_waitcnt vmcnt(0)
	v_fma_f64 v[5:6], v[17:18], v[15:16], v[5:6]
	s_branch .LBB81_9
.LBB81_12:
	s_and_b64 vcc, exec, s[16:17]
	ds_write_b64 v12, v[5:6]
	s_waitcnt lgkmcnt(0)
	s_barrier
	s_cbranch_vccz .LBB81_24
; %bb.13:
	v_cmp_gt_u16_e32 vcc, 2, v13
	s_and_saveexec_b64 s[0:1], vcc
	s_cbranch_execz .LBB81_15
; %bb.14:
	ds_read2_b64 v[7:10], v12 offset1:16
	s_waitcnt lgkmcnt(0)
	v_add_f64 v[7:8], v[9:10], v[7:8]
	ds_write_b64 v12, v[7:8]
.LBB81_15:
	s_or_b64 exec, exec, s[0:1]
	v_cmp_gt_u16_e64 s[0:1], 8, v13
	s_waitcnt lgkmcnt(0)
	s_barrier
	s_and_saveexec_b64 s[2:3], s[0:1]
	s_cbranch_execz .LBB81_17
; %bb.16:
	ds_read2_b64 v[7:10], v12 offset1:8
	s_waitcnt lgkmcnt(0)
	v_add_f64 v[7:8], v[9:10], v[7:8]
	ds_write_b64 v12, v[7:8]
.LBB81_17:
	s_or_b64 exec, exec, s[2:3]
	v_cmp_gt_u16_e64 s[0:1], 4, v13
	s_waitcnt lgkmcnt(0)
	s_barrier
	s_and_saveexec_b64 s[2:3], s[0:1]
	s_cbranch_execz .LBB81_19
; %bb.18:
	ds_read2_b64 v[7:10], v12 offset1:4
	s_waitcnt lgkmcnt(0)
	v_add_f64 v[7:8], v[9:10], v[7:8]
	ds_write_b64 v12, v[7:8]
.LBB81_19:
	s_or_b64 exec, exec, s[2:3]
	s_waitcnt lgkmcnt(0)
	s_barrier
	s_and_saveexec_b64 s[0:1], vcc
	s_cbranch_execz .LBB81_21
; %bb.20:
	ds_read2_b64 v[7:10], v12 offset1:2
	s_waitcnt lgkmcnt(0)
	v_add_f64 v[7:8], v[9:10], v[7:8]
	ds_write_b64 v12, v[7:8]
.LBB81_21:
	s_or_b64 exec, exec, s[0:1]
	v_mov_b32_e32 v8, v6
	v_cmp_gt_u32_e32 vcc, 18, v0
	v_mov_b32_e32 v7, v5
	s_waitcnt lgkmcnt(0)
	s_barrier
	s_and_saveexec_b64 s[0:1], vcc
	s_cbranch_execz .LBB81_23
; %bb.22:
	s_movk_i32 s2, 0x88
	v_mad_u32_u24 v7, v0, s2, v12
	ds_read_b128 v[7:10], v7
	s_waitcnt lgkmcnt(0)
	v_add_f64 v[7:8], v[7:8], v[9:10]
.LBB81_23:
	s_or_b64 exec, exec, s[0:1]
	s_branch .LBB81_36
.LBB81_24:
                                        ; implicit-def: $vgpr7_vgpr8
	s_cbranch_execz .LBB81_36
; %bb.25:
	v_cmp_gt_u32_e32 vcc, 36, v0
	s_and_saveexec_b64 s[0:1], vcc
	s_cbranch_execz .LBB81_27
; %bb.26:
	ds_read_b64 v[7:8], v12 offset:2304
	ds_read_b64 v[9:10], v12
	s_waitcnt lgkmcnt(0)
	v_add_f64 v[7:8], v[7:8], v[9:10]
	ds_write_b64 v12, v[7:8]
.LBB81_27:
	s_or_b64 exec, exec, s[0:1]
	s_movk_i32 s0, 0x90
	v_cmp_gt_u32_e64 s[0:1], s0, v0
	s_waitcnt lgkmcnt(0)
	s_barrier
	s_and_saveexec_b64 s[2:3], s[0:1]
	s_cbranch_execz .LBB81_29
; %bb.28:
	ds_read2_b64 v[7:10], v12 offset1:144
	s_waitcnt lgkmcnt(0)
	v_add_f64 v[7:8], v[9:10], v[7:8]
	ds_write_b64 v12, v[7:8]
.LBB81_29:
	s_or_b64 exec, exec, s[2:3]
	s_movk_i32 s0, 0x48
	v_cmp_gt_u32_e64 s[0:1], s0, v0
	s_waitcnt lgkmcnt(0)
	s_barrier
	s_and_saveexec_b64 s[2:3], s[0:1]
	s_cbranch_execz .LBB81_31
; %bb.30:
	ds_read2_b64 v[7:10], v12 offset1:72
	s_waitcnt lgkmcnt(0)
	v_add_f64 v[7:8], v[9:10], v[7:8]
	ds_write_b64 v12, v[7:8]
.LBB81_31:
	s_or_b64 exec, exec, s[2:3]
	s_waitcnt lgkmcnt(0)
	s_barrier
	s_and_saveexec_b64 s[0:1], vcc
	s_cbranch_execz .LBB81_33
; %bb.32:
	ds_read2_b64 v[7:10], v12 offset1:36
	s_waitcnt lgkmcnt(0)
	v_add_f64 v[7:8], v[9:10], v[7:8]
	ds_write_b64 v12, v[7:8]
.LBB81_33:
	s_or_b64 exec, exec, s[0:1]
	v_cmp_gt_u32_e32 vcc, 18, v0
	s_waitcnt lgkmcnt(0)
	s_and_saveexec_b64 s[0:1], vcc
	s_cbranch_execz .LBB81_35
; %bb.34:
	ds_read2_b64 v[5:8], v12 offset1:18
	s_waitcnt lgkmcnt(0)
	v_add_f64 v[5:6], v[5:6], v[7:8]
.LBB81_35:
	s_or_b64 exec, exec, s[0:1]
	v_mov_b32_e32 v8, v6
	v_mov_b32_e32 v7, v5
.LBB81_36:
	v_cmp_gt_u32_e32 vcc, 18, v0
	s_and_b64 exec, exec, vcc
	s_cbranch_execz .LBB81_41
; %bb.37:
	v_cmp_eq_f64_e32 vcc, 0, v[1:2]
	v_mul_f64 v[3:4], v[3:4], v[7:8]
	s_and_saveexec_b64 s[0:1], vcc
	s_xor_b64 s[0:1], exec, s[0:1]
	s_cbranch_execz .LBB81_39
; %bb.38:
	v_mad_u64_u32 v[0:1], s[2:3], s6, 18, v[0:1]
	v_mov_b32_e32 v1, 0
	v_mov_b32_e32 v2, s13
	v_lshlrev_b64 v[0:1], 3, v[0:1]
	v_add_co_u32_e32 v0, vcc, s12, v0
	v_addc_co_u32_e32 v1, vcc, v2, v1, vcc
	global_store_dwordx2 v[0:1], v[3:4], off
                                        ; implicit-def: $vgpr0
                                        ; implicit-def: $vgpr1_vgpr2
                                        ; implicit-def: $vgpr3_vgpr4
.LBB81_39:
	s_andn2_saveexec_b64 s[0:1], s[0:1]
	s_cbranch_execz .LBB81_41
; %bb.40:
	v_mad_u64_u32 v[5:6], s[0:1], s6, 18, v[0:1]
	v_mov_b32_e32 v6, 0
	v_mov_b32_e32 v0, s13
	v_lshlrev_b64 v[5:6], 3, v[5:6]
	v_add_co_u32_e32 v5, vcc, s12, v5
	v_addc_co_u32_e32 v6, vcc, v0, v6, vcc
	global_load_dwordx2 v[7:8], v[5:6], off
	s_waitcnt vmcnt(0)
	v_fma_f64 v[0:1], v[1:2], v[7:8], v[3:4]
	global_store_dwordx2 v[5:6], v[0:1], off
.LBB81_41:
	s_endpgm
	.section	.rodata,"a",@progbits
	.p2align	6, 0x0
	.amdhsa_kernel _ZN9rocsparseL20bsrxmvn_17_32_kernelILj18EdlidddEEvT2_20rocsparse_direction_NS_24const_host_device_scalarIT0_EES1_PKS1_PKT1_SA_S7_PKT3_PKT4_S5_PT5_21rocsparse_index_base_b
		.amdhsa_group_segment_fixed_size 2592
		.amdhsa_private_segment_fixed_size 0
		.amdhsa_kernarg_size 96
		.amdhsa_user_sgpr_count 6
		.amdhsa_user_sgpr_private_segment_buffer 1
		.amdhsa_user_sgpr_dispatch_ptr 0
		.amdhsa_user_sgpr_queue_ptr 0
		.amdhsa_user_sgpr_kernarg_segment_ptr 1
		.amdhsa_user_sgpr_dispatch_id 0
		.amdhsa_user_sgpr_flat_scratch_init 0
		.amdhsa_user_sgpr_private_segment_size 0
		.amdhsa_uses_dynamic_stack 0
		.amdhsa_system_sgpr_private_segment_wavefront_offset 0
		.amdhsa_system_sgpr_workgroup_id_x 1
		.amdhsa_system_sgpr_workgroup_id_y 0
		.amdhsa_system_sgpr_workgroup_id_z 0
		.amdhsa_system_sgpr_workgroup_info 0
		.amdhsa_system_vgpr_workitem_id 0
		.amdhsa_next_free_vgpr 25
		.amdhsa_next_free_sgpr 61
		.amdhsa_reserve_vcc 1
		.amdhsa_reserve_flat_scratch 0
		.amdhsa_float_round_mode_32 0
		.amdhsa_float_round_mode_16_64 0
		.amdhsa_float_denorm_mode_32 3
		.amdhsa_float_denorm_mode_16_64 3
		.amdhsa_dx10_clamp 1
		.amdhsa_ieee_mode 1
		.amdhsa_fp16_overflow 0
		.amdhsa_exception_fp_ieee_invalid_op 0
		.amdhsa_exception_fp_denorm_src 0
		.amdhsa_exception_fp_ieee_div_zero 0
		.amdhsa_exception_fp_ieee_overflow 0
		.amdhsa_exception_fp_ieee_underflow 0
		.amdhsa_exception_fp_ieee_inexact 0
		.amdhsa_exception_int_div_zero 0
	.end_amdhsa_kernel
	.section	.text._ZN9rocsparseL20bsrxmvn_17_32_kernelILj18EdlidddEEvT2_20rocsparse_direction_NS_24const_host_device_scalarIT0_EES1_PKS1_PKT1_SA_S7_PKT3_PKT4_S5_PT5_21rocsparse_index_base_b,"axG",@progbits,_ZN9rocsparseL20bsrxmvn_17_32_kernelILj18EdlidddEEvT2_20rocsparse_direction_NS_24const_host_device_scalarIT0_EES1_PKS1_PKT1_SA_S7_PKT3_PKT4_S5_PT5_21rocsparse_index_base_b,comdat
.Lfunc_end81:
	.size	_ZN9rocsparseL20bsrxmvn_17_32_kernelILj18EdlidddEEvT2_20rocsparse_direction_NS_24const_host_device_scalarIT0_EES1_PKS1_PKT1_SA_S7_PKT3_PKT4_S5_PT5_21rocsparse_index_base_b, .Lfunc_end81-_ZN9rocsparseL20bsrxmvn_17_32_kernelILj18EdlidddEEvT2_20rocsparse_direction_NS_24const_host_device_scalarIT0_EES1_PKS1_PKT1_SA_S7_PKT3_PKT4_S5_PT5_21rocsparse_index_base_b
                                        ; -- End function
	.set _ZN9rocsparseL20bsrxmvn_17_32_kernelILj18EdlidddEEvT2_20rocsparse_direction_NS_24const_host_device_scalarIT0_EES1_PKS1_PKT1_SA_S7_PKT3_PKT4_S5_PT5_21rocsparse_index_base_b.num_vgpr, 20
	.set _ZN9rocsparseL20bsrxmvn_17_32_kernelILj18EdlidddEEvT2_20rocsparse_direction_NS_24const_host_device_scalarIT0_EES1_PKS1_PKT1_SA_S7_PKT3_PKT4_S5_PT5_21rocsparse_index_base_b.num_agpr, 0
	.set _ZN9rocsparseL20bsrxmvn_17_32_kernelILj18EdlidddEEvT2_20rocsparse_direction_NS_24const_host_device_scalarIT0_EES1_PKS1_PKT1_SA_S7_PKT3_PKT4_S5_PT5_21rocsparse_index_base_b.numbered_sgpr, 22
	.set _ZN9rocsparseL20bsrxmvn_17_32_kernelILj18EdlidddEEvT2_20rocsparse_direction_NS_24const_host_device_scalarIT0_EES1_PKS1_PKT1_SA_S7_PKT3_PKT4_S5_PT5_21rocsparse_index_base_b.num_named_barrier, 0
	.set _ZN9rocsparseL20bsrxmvn_17_32_kernelILj18EdlidddEEvT2_20rocsparse_direction_NS_24const_host_device_scalarIT0_EES1_PKS1_PKT1_SA_S7_PKT3_PKT4_S5_PT5_21rocsparse_index_base_b.private_seg_size, 0
	.set _ZN9rocsparseL20bsrxmvn_17_32_kernelILj18EdlidddEEvT2_20rocsparse_direction_NS_24const_host_device_scalarIT0_EES1_PKS1_PKT1_SA_S7_PKT3_PKT4_S5_PT5_21rocsparse_index_base_b.uses_vcc, 1
	.set _ZN9rocsparseL20bsrxmvn_17_32_kernelILj18EdlidddEEvT2_20rocsparse_direction_NS_24const_host_device_scalarIT0_EES1_PKS1_PKT1_SA_S7_PKT3_PKT4_S5_PT5_21rocsparse_index_base_b.uses_flat_scratch, 0
	.set _ZN9rocsparseL20bsrxmvn_17_32_kernelILj18EdlidddEEvT2_20rocsparse_direction_NS_24const_host_device_scalarIT0_EES1_PKS1_PKT1_SA_S7_PKT3_PKT4_S5_PT5_21rocsparse_index_base_b.has_dyn_sized_stack, 0
	.set _ZN9rocsparseL20bsrxmvn_17_32_kernelILj18EdlidddEEvT2_20rocsparse_direction_NS_24const_host_device_scalarIT0_EES1_PKS1_PKT1_SA_S7_PKT3_PKT4_S5_PT5_21rocsparse_index_base_b.has_recursion, 0
	.set _ZN9rocsparseL20bsrxmvn_17_32_kernelILj18EdlidddEEvT2_20rocsparse_direction_NS_24const_host_device_scalarIT0_EES1_PKS1_PKT1_SA_S7_PKT3_PKT4_S5_PT5_21rocsparse_index_base_b.has_indirect_call, 0
	.section	.AMDGPU.csdata,"",@progbits
; Kernel info:
; codeLenInByte = 1416
; TotalNumSgprs: 26
; NumVgprs: 20
; ScratchSize: 0
; MemoryBound: 0
; FloatMode: 240
; IeeeMode: 1
; LDSByteSize: 2592 bytes/workgroup (compile time only)
; SGPRBlocks: 8
; VGPRBlocks: 6
; NumSGPRsForWavesPerEU: 65
; NumVGPRsForWavesPerEU: 25
; Occupancy: 9
; WaveLimiterHint : 1
; COMPUTE_PGM_RSRC2:SCRATCH_EN: 0
; COMPUTE_PGM_RSRC2:USER_SGPR: 6
; COMPUTE_PGM_RSRC2:TRAP_HANDLER: 0
; COMPUTE_PGM_RSRC2:TGID_X_EN: 1
; COMPUTE_PGM_RSRC2:TGID_Y_EN: 0
; COMPUTE_PGM_RSRC2:TGID_Z_EN: 0
; COMPUTE_PGM_RSRC2:TIDIG_COMP_CNT: 0
	.section	.text._ZN9rocsparseL20bsrxmvn_17_32_kernelILj19EdlidddEEvT2_20rocsparse_direction_NS_24const_host_device_scalarIT0_EES1_PKS1_PKT1_SA_S7_PKT3_PKT4_S5_PT5_21rocsparse_index_base_b,"axG",@progbits,_ZN9rocsparseL20bsrxmvn_17_32_kernelILj19EdlidddEEvT2_20rocsparse_direction_NS_24const_host_device_scalarIT0_EES1_PKS1_PKT1_SA_S7_PKT3_PKT4_S5_PT5_21rocsparse_index_base_b,comdat
	.globl	_ZN9rocsparseL20bsrxmvn_17_32_kernelILj19EdlidddEEvT2_20rocsparse_direction_NS_24const_host_device_scalarIT0_EES1_PKS1_PKT1_SA_S7_PKT3_PKT4_S5_PT5_21rocsparse_index_base_b ; -- Begin function _ZN9rocsparseL20bsrxmvn_17_32_kernelILj19EdlidddEEvT2_20rocsparse_direction_NS_24const_host_device_scalarIT0_EES1_PKS1_PKT1_SA_S7_PKT3_PKT4_S5_PT5_21rocsparse_index_base_b
	.p2align	8
	.type	_ZN9rocsparseL20bsrxmvn_17_32_kernelILj19EdlidddEEvT2_20rocsparse_direction_NS_24const_host_device_scalarIT0_EES1_PKS1_PKT1_SA_S7_PKT3_PKT4_S5_PT5_21rocsparse_index_base_b,@function
_ZN9rocsparseL20bsrxmvn_17_32_kernelILj19EdlidddEEvT2_20rocsparse_direction_NS_24const_host_device_scalarIT0_EES1_PKS1_PKT1_SA_S7_PKT3_PKT4_S5_PT5_21rocsparse_index_base_b: ; @_ZN9rocsparseL20bsrxmvn_17_32_kernelILj19EdlidddEEvT2_20rocsparse_direction_NS_24const_host_device_scalarIT0_EES1_PKS1_PKT1_SA_S7_PKT3_PKT4_S5_PT5_21rocsparse_index_base_b
; %bb.0:
	s_load_dwordx2 s[10:11], s[4:5], 0x58
	s_load_dwordx2 s[8:9], s[4:5], 0x8
	;; [unrolled: 1-line block ×3, first 2 shown]
	s_waitcnt lgkmcnt(0)
	s_bitcmp1_b32 s11, 0
	s_cselect_b64 s[12:13], -1, 0
	v_mov_b32_e32 v3, s8
	s_xor_b64 s[2:3], s[12:13], -1
	s_and_b64 vcc, exec, s[12:13]
	v_mov_b32_e32 v4, s9
	s_cbranch_vccnz .LBB82_2
; %bb.1:
	v_mov_b32_e32 v1, s8
	v_mov_b32_e32 v2, s9
	flat_load_dwordx2 v[3:4], v[1:2]
.LBB82_2:
	v_mov_b32_e32 v2, s1
	s_andn2_b64 vcc, exec, s[2:3]
	v_mov_b32_e32 v1, s0
	s_cbranch_vccnz .LBB82_4
; %bb.3:
	v_mov_b32_e32 v2, s1
	v_mov_b32_e32 v1, s0
	flat_load_dwordx2 v[1:2], v[1:2]
.LBB82_4:
	s_waitcnt vmcnt(0) lgkmcnt(0)
	v_cmp_neq_f64_e32 vcc, 0, v[3:4]
	v_cmp_neq_f64_e64 s[0:1], 1.0, v[1:2]
	s_or_b64 s[0:1], vcc, s[0:1]
	s_and_saveexec_b64 s[2:3], s[0:1]
	s_cbranch_execz .LBB82_41
; %bb.5:
	s_load_dwordx4 s[0:3], s[4:5], 0x18
	s_load_dwordx2 s[14:15], s[4:5], 0x28
	s_waitcnt lgkmcnt(0)
	s_cmp_eq_u64 s[0:1], 0
	s_cbranch_scc1 .LBB82_7
; %bb.6:
	s_ashr_i32 s7, s6, 31
	s_lshl_b64 s[6:7], s[6:7], 2
	s_add_u32 s0, s0, s6
	s_addc_u32 s1, s1, s7
	s_load_dword s0, s[0:1], 0x0
	s_waitcnt lgkmcnt(0)
	s_sub_i32 s6, s0, s10
.LBB82_7:
	s_load_dword s7, s[4:5], 0x4
	s_load_dwordx2 s[8:9], s[4:5], 0x50
	v_mul_u32_u24_e32 v7, 0xd7a, v0
	v_mov_b32_e32 v8, 19
	v_mul_lo_u16_sdwa v5, v7, v8 dst_sel:DWORD dst_unused:UNUSED_PAD src0_sel:WORD_1 src1_sel:DWORD
	s_waitcnt lgkmcnt(0)
	s_cmp_eq_u32 s7, 1
	s_cselect_b64 s[0:1], -1, 0
	s_cmp_lg_u32 s7, 1
	s_cselect_b64 s[12:13], -1, 0
	s_ashr_i32 s7, s6, 31
	s_lshl_b64 s[16:17], s[6:7], 3
	s_add_u32 s2, s2, s16
	s_addc_u32 s3, s3, s17
	s_add_u32 s7, s2, 8
	s_addc_u32 s11, s3, 0
	;; [unrolled: 2-line block ×3, first 2 shown]
	s_cmp_eq_u64 s[14:15], 0
	s_cselect_b32 s19, s11, s17
	s_cselect_b32 s18, s7, s16
	s_load_dwordx2 s[14:15], s[18:19], 0x0
	s_load_dwordx2 s[16:17], s[2:3], 0x0
	v_sub_u16_e32 v15, v0, v5
	v_lshlrev_b32_e32 v14, 3, v0
	s_waitcnt lgkmcnt(0)
	v_mov_b32_e32 v5, s14
	v_mov_b32_e32 v6, s15
	v_cmp_ge_i64_e32 vcc, s[16:17], v[5:6]
	v_mov_b32_e32 v5, 0
	v_mov_b32_e32 v6, 0
	s_cbranch_vccnz .LBB82_12
; %bb.8:
	v_mov_b32_e32 v5, 14
	s_load_dwordx4 s[20:23], s[4:5], 0x30
	s_load_dwordx2 s[2:3], s[4:5], 0x40
	s_sub_u32 s4, s14, s10
	v_mul_lo_u16_sdwa v5, v7, v5 dst_sel:DWORD dst_unused:UNUSED_PAD src0_sel:WORD_1 src1_sel:DWORD
	s_subb_u32 s5, s15, 0
	v_mul_lo_u16_sdwa v5, v5, v8 dst_sel:DWORD dst_unused:UNUSED_PAD src0_sel:BYTE_1 src1_sel:DWORD
	v_sub_u16_sdwa v5, v7, v5 dst_sel:DWORD dst_unused:UNUSED_PAD src0_sel:WORD_1 src1_sel:DWORD
	s_sub_u32 s14, s16, s10
	v_and_b32_e32 v5, 0xff, v5
	s_subb_u32 s15, s17, 0
	v_cndmask_b32_e64 v7, v15, v5, s[0:1]
	s_mul_i32 s0, s15, 0xb48
	s_mul_hi_u32 s1, s14, 0xb48
	s_add_i32 s1, s1, s0
	s_mul_i32 s0, s14, 0xb48
	s_waitcnt lgkmcnt(0)
	s_add_u32 s0, s22, s0
	s_addc_u32 s1, s23, s1
	v_mov_b32_e32 v5, s1
	v_add_co_u32_e32 v8, vcc, s0, v14
	s_movk_i32 s0, 0xb6
	v_addc_co_u32_e32 v9, vcc, 0, v5, vcc
	v_mul_u32_u24_sdwa v5, v0, s0 dst_sel:DWORD dst_unused:UNUSED_PAD src0_sel:WORD_0 src1_sel:DWORD
	v_lshrrev_b32_e32 v16, 16, v5
	v_mov_b32_e32 v5, s17
	v_add_co_u32_e32 v6, vcc, s16, v16
	v_addc_co_u32_e32 v10, vcc, 0, v5, vcc
	v_subrev_co_u32_e32 v5, vcc, s10, v6
	v_subbrev_co_u32_e32 v6, vcc, 0, v10, vcc
	v_lshlrev_b64 v[5:6], 2, v[5:6]
	v_mov_b32_e32 v11, s21
	v_add_co_u32_e32 v10, vcc, s20, v5
	v_addc_co_u32_e32 v11, vcc, v11, v6, vcc
	v_mov_b32_e32 v5, 0
	v_mov_b32_e32 v13, s5
	;; [unrolled: 1-line block ×4, first 2 shown]
	s_branch .LBB82_10
.LBB82_9:                               ;   in Loop: Header=BB82_10 Depth=1
	s_or_b64 exec, exec, s[0:1]
	s_add_u32 s14, s14, 1
	s_addc_u32 s15, s15, 0
	v_cmp_lt_i64_e32 vcc, s[14:15], v[12:13]
	v_add_co_u32_e64 v10, s[0:1], 4, v10
	v_addc_co_u32_e64 v11, s[0:1], 0, v11, s[0:1]
	s_cbranch_vccz .LBB82_12
.LBB82_10:                              ; =>This Inner Loop Header: Depth=1
	v_mov_b32_e32 v18, s15
	v_add_co_u32_e32 v17, vcc, s14, v16
	v_addc_co_u32_e32 v18, vcc, 0, v18, vcc
	v_cmp_gt_i64_e32 vcc, s[4:5], v[17:18]
	s_and_saveexec_b64 s[0:1], vcc
	s_cbranch_execz .LBB82_9
; %bb.11:                               ;   in Loop: Header=BB82_10 Depth=1
	global_load_dword v17, v[10:11], off
	v_mov_b32_e32 v21, s3
	global_load_dwordx2 v[19:20], v[8:9], off
	s_waitcnt vmcnt(1)
	v_subrev_u32_e32 v17, s10, v17
	v_mad_u64_u32 v[17:18], s[16:17], v17, 19, v[7:8]
	v_ashrrev_i32_e32 v18, 31, v17
	v_lshlrev_b64 v[17:18], 3, v[17:18]
	v_add_co_u32_e32 v17, vcc, s2, v17
	v_addc_co_u32_e32 v18, vcc, v21, v18, vcc
	global_load_dwordx2 v[17:18], v[17:18], off
	v_add_co_u32_e32 v8, vcc, 0xb48, v8
	v_addc_co_u32_e32 v9, vcc, 0, v9, vcc
	s_waitcnt vmcnt(0)
	v_fma_f64 v[5:6], v[19:20], v[17:18], v[5:6]
	s_branch .LBB82_9
.LBB82_12:
	s_and_b64 vcc, exec, s[12:13]
	ds_write_b64 v14, v[5:6]
	s_waitcnt lgkmcnt(0)
	s_barrier
	s_cbranch_vccz .LBB82_24
; %bb.13:
	v_cmp_gt_u16_e32 vcc, 3, v15
	s_and_saveexec_b64 s[0:1], vcc
	s_cbranch_execz .LBB82_15
; %bb.14:
	ds_read2_b64 v[7:10], v14 offset1:16
	s_waitcnt lgkmcnt(0)
	v_add_f64 v[7:8], v[9:10], v[7:8]
	ds_write_b64 v14, v[7:8]
.LBB82_15:
	s_or_b64 exec, exec, s[0:1]
	v_cmp_gt_u16_e32 vcc, 8, v15
	s_waitcnt lgkmcnt(0)
	s_barrier
	s_and_saveexec_b64 s[0:1], vcc
	s_cbranch_execz .LBB82_17
; %bb.16:
	ds_read2_b64 v[7:10], v14 offset1:8
	s_waitcnt lgkmcnt(0)
	v_add_f64 v[7:8], v[9:10], v[7:8]
	ds_write_b64 v14, v[7:8]
.LBB82_17:
	s_or_b64 exec, exec, s[0:1]
	v_cmp_gt_u16_e32 vcc, 4, v15
	s_waitcnt lgkmcnt(0)
	s_barrier
	;; [unrolled: 12-line block ×3, first 2 shown]
	s_and_saveexec_b64 s[0:1], vcc
	s_cbranch_execz .LBB82_21
; %bb.20:
	ds_read2_b64 v[7:10], v14 offset1:2
	s_waitcnt lgkmcnt(0)
	v_add_f64 v[7:8], v[9:10], v[7:8]
	ds_write_b64 v14, v[7:8]
.LBB82_21:
	s_or_b64 exec, exec, s[0:1]
	v_mov_b32_e32 v8, v6
	v_cmp_gt_u32_e32 vcc, 19, v0
	v_mov_b32_e32 v7, v5
	s_waitcnt lgkmcnt(0)
	s_barrier
	s_and_saveexec_b64 s[0:1], vcc
	s_cbranch_execz .LBB82_23
; %bb.22:
	s_movk_i32 s2, 0x90
	v_mad_u32_u24 v7, v0, s2, v14
	ds_read2_b64 v[7:10], v7 offset1:1
	s_waitcnt lgkmcnt(0)
	v_add_f64 v[7:8], v[7:8], v[9:10]
.LBB82_23:
	s_or_b64 exec, exec, s[0:1]
	s_branch .LBB82_36
.LBB82_24:
                                        ; implicit-def: $vgpr7_vgpr8
	s_cbranch_execz .LBB82_36
; %bb.25:
	v_cmp_gt_u32_e32 vcc, 57, v0
	s_and_saveexec_b64 s[0:1], vcc
	s_cbranch_execz .LBB82_27
; %bb.26:
	ds_read_b64 v[7:8], v14 offset:2432
	ds_read_b64 v[9:10], v14
	s_waitcnt lgkmcnt(0)
	v_add_f64 v[7:8], v[7:8], v[9:10]
	ds_write_b64 v14, v[7:8]
.LBB82_27:
	s_or_b64 exec, exec, s[0:1]
	s_movk_i32 s0, 0x98
	v_cmp_gt_u32_e32 vcc, s0, v0
	s_waitcnt lgkmcnt(0)
	s_barrier
	s_and_saveexec_b64 s[0:1], vcc
	s_cbranch_execz .LBB82_29
; %bb.28:
	ds_read2_b64 v[7:10], v14 offset1:152
	s_waitcnt lgkmcnt(0)
	v_add_f64 v[7:8], v[9:10], v[7:8]
	ds_write_b64 v14, v[7:8]
.LBB82_29:
	s_or_b64 exec, exec, s[0:1]
	s_movk_i32 s0, 0x4c
	v_cmp_gt_u32_e32 vcc, s0, v0
	s_waitcnt lgkmcnt(0)
	s_barrier
	s_and_saveexec_b64 s[0:1], vcc
	s_cbranch_execz .LBB82_31
; %bb.30:
	ds_read2_b64 v[7:10], v14 offset1:76
	s_waitcnt lgkmcnt(0)
	v_add_f64 v[7:8], v[9:10], v[7:8]
	ds_write_b64 v14, v[7:8]
.LBB82_31:
	s_or_b64 exec, exec, s[0:1]
	v_cmp_gt_u32_e32 vcc, 38, v0
	s_waitcnt lgkmcnt(0)
	s_barrier
	s_and_saveexec_b64 s[0:1], vcc
	s_cbranch_execz .LBB82_33
; %bb.32:
	ds_read2_b64 v[7:10], v14 offset1:38
	s_waitcnt lgkmcnt(0)
	v_add_f64 v[7:8], v[9:10], v[7:8]
	ds_write_b64 v14, v[7:8]
.LBB82_33:
	s_or_b64 exec, exec, s[0:1]
	v_cmp_gt_u32_e32 vcc, 19, v0
	s_waitcnt lgkmcnt(0)
	s_and_saveexec_b64 s[0:1], vcc
	s_cbranch_execz .LBB82_35
; %bb.34:
	ds_read2_b64 v[5:8], v14 offset1:19
	s_waitcnt lgkmcnt(0)
	v_add_f64 v[5:6], v[5:6], v[7:8]
.LBB82_35:
	s_or_b64 exec, exec, s[0:1]
	v_mov_b32_e32 v8, v6
	v_mov_b32_e32 v7, v5
.LBB82_36:
	v_cmp_gt_u32_e32 vcc, 19, v0
	s_and_b64 exec, exec, vcc
	s_cbranch_execz .LBB82_41
; %bb.37:
	v_cmp_eq_f64_e32 vcc, 0, v[1:2]
	v_mul_f64 v[3:4], v[3:4], v[7:8]
	s_and_saveexec_b64 s[0:1], vcc
	s_xor_b64 s[0:1], exec, s[0:1]
	s_cbranch_execz .LBB82_39
; %bb.38:
	v_mad_u64_u32 v[0:1], s[2:3], s6, 19, v[0:1]
	v_mov_b32_e32 v1, 0
	v_mov_b32_e32 v2, s9
	v_lshlrev_b64 v[0:1], 3, v[0:1]
	v_add_co_u32_e32 v0, vcc, s8, v0
	v_addc_co_u32_e32 v1, vcc, v2, v1, vcc
	global_store_dwordx2 v[0:1], v[3:4], off
                                        ; implicit-def: $vgpr0
                                        ; implicit-def: $vgpr1_vgpr2
                                        ; implicit-def: $vgpr3_vgpr4
.LBB82_39:
	s_andn2_saveexec_b64 s[0:1], s[0:1]
	s_cbranch_execz .LBB82_41
; %bb.40:
	v_mad_u64_u32 v[5:6], s[0:1], s6, 19, v[0:1]
	v_mov_b32_e32 v6, 0
	v_mov_b32_e32 v0, s9
	v_lshlrev_b64 v[5:6], 3, v[5:6]
	v_add_co_u32_e32 v5, vcc, s8, v5
	v_addc_co_u32_e32 v6, vcc, v0, v6, vcc
	global_load_dwordx2 v[7:8], v[5:6], off
	s_waitcnt vmcnt(0)
	v_fma_f64 v[0:1], v[1:2], v[7:8], v[3:4]
	global_store_dwordx2 v[5:6], v[0:1], off
.LBB82_41:
	s_endpgm
	.section	.rodata,"a",@progbits
	.p2align	6, 0x0
	.amdhsa_kernel _ZN9rocsparseL20bsrxmvn_17_32_kernelILj19EdlidddEEvT2_20rocsparse_direction_NS_24const_host_device_scalarIT0_EES1_PKS1_PKT1_SA_S7_PKT3_PKT4_S5_PT5_21rocsparse_index_base_b
		.amdhsa_group_segment_fixed_size 2888
		.amdhsa_private_segment_fixed_size 0
		.amdhsa_kernarg_size 96
		.amdhsa_user_sgpr_count 6
		.amdhsa_user_sgpr_private_segment_buffer 1
		.amdhsa_user_sgpr_dispatch_ptr 0
		.amdhsa_user_sgpr_queue_ptr 0
		.amdhsa_user_sgpr_kernarg_segment_ptr 1
		.amdhsa_user_sgpr_dispatch_id 0
		.amdhsa_user_sgpr_flat_scratch_init 0
		.amdhsa_user_sgpr_private_segment_size 0
		.amdhsa_uses_dynamic_stack 0
		.amdhsa_system_sgpr_private_segment_wavefront_offset 0
		.amdhsa_system_sgpr_workgroup_id_x 1
		.amdhsa_system_sgpr_workgroup_id_y 0
		.amdhsa_system_sgpr_workgroup_id_z 0
		.amdhsa_system_sgpr_workgroup_info 0
		.amdhsa_system_vgpr_workitem_id 0
		.amdhsa_next_free_vgpr 25
		.amdhsa_next_free_sgpr 61
		.amdhsa_reserve_vcc 1
		.amdhsa_reserve_flat_scratch 0
		.amdhsa_float_round_mode_32 0
		.amdhsa_float_round_mode_16_64 0
		.amdhsa_float_denorm_mode_32 3
		.amdhsa_float_denorm_mode_16_64 3
		.amdhsa_dx10_clamp 1
		.amdhsa_ieee_mode 1
		.amdhsa_fp16_overflow 0
		.amdhsa_exception_fp_ieee_invalid_op 0
		.amdhsa_exception_fp_denorm_src 0
		.amdhsa_exception_fp_ieee_div_zero 0
		.amdhsa_exception_fp_ieee_overflow 0
		.amdhsa_exception_fp_ieee_underflow 0
		.amdhsa_exception_fp_ieee_inexact 0
		.amdhsa_exception_int_div_zero 0
	.end_amdhsa_kernel
	.section	.text._ZN9rocsparseL20bsrxmvn_17_32_kernelILj19EdlidddEEvT2_20rocsparse_direction_NS_24const_host_device_scalarIT0_EES1_PKS1_PKT1_SA_S7_PKT3_PKT4_S5_PT5_21rocsparse_index_base_b,"axG",@progbits,_ZN9rocsparseL20bsrxmvn_17_32_kernelILj19EdlidddEEvT2_20rocsparse_direction_NS_24const_host_device_scalarIT0_EES1_PKS1_PKT1_SA_S7_PKT3_PKT4_S5_PT5_21rocsparse_index_base_b,comdat
.Lfunc_end82:
	.size	_ZN9rocsparseL20bsrxmvn_17_32_kernelILj19EdlidddEEvT2_20rocsparse_direction_NS_24const_host_device_scalarIT0_EES1_PKS1_PKT1_SA_S7_PKT3_PKT4_S5_PT5_21rocsparse_index_base_b, .Lfunc_end82-_ZN9rocsparseL20bsrxmvn_17_32_kernelILj19EdlidddEEvT2_20rocsparse_direction_NS_24const_host_device_scalarIT0_EES1_PKS1_PKT1_SA_S7_PKT3_PKT4_S5_PT5_21rocsparse_index_base_b
                                        ; -- End function
	.set _ZN9rocsparseL20bsrxmvn_17_32_kernelILj19EdlidddEEvT2_20rocsparse_direction_NS_24const_host_device_scalarIT0_EES1_PKS1_PKT1_SA_S7_PKT3_PKT4_S5_PT5_21rocsparse_index_base_b.num_vgpr, 22
	.set _ZN9rocsparseL20bsrxmvn_17_32_kernelILj19EdlidddEEvT2_20rocsparse_direction_NS_24const_host_device_scalarIT0_EES1_PKS1_PKT1_SA_S7_PKT3_PKT4_S5_PT5_21rocsparse_index_base_b.num_agpr, 0
	.set _ZN9rocsparseL20bsrxmvn_17_32_kernelILj19EdlidddEEvT2_20rocsparse_direction_NS_24const_host_device_scalarIT0_EES1_PKS1_PKT1_SA_S7_PKT3_PKT4_S5_PT5_21rocsparse_index_base_b.numbered_sgpr, 24
	.set _ZN9rocsparseL20bsrxmvn_17_32_kernelILj19EdlidddEEvT2_20rocsparse_direction_NS_24const_host_device_scalarIT0_EES1_PKS1_PKT1_SA_S7_PKT3_PKT4_S5_PT5_21rocsparse_index_base_b.num_named_barrier, 0
	.set _ZN9rocsparseL20bsrxmvn_17_32_kernelILj19EdlidddEEvT2_20rocsparse_direction_NS_24const_host_device_scalarIT0_EES1_PKS1_PKT1_SA_S7_PKT3_PKT4_S5_PT5_21rocsparse_index_base_b.private_seg_size, 0
	.set _ZN9rocsparseL20bsrxmvn_17_32_kernelILj19EdlidddEEvT2_20rocsparse_direction_NS_24const_host_device_scalarIT0_EES1_PKS1_PKT1_SA_S7_PKT3_PKT4_S5_PT5_21rocsparse_index_base_b.uses_vcc, 1
	.set _ZN9rocsparseL20bsrxmvn_17_32_kernelILj19EdlidddEEvT2_20rocsparse_direction_NS_24const_host_device_scalarIT0_EES1_PKS1_PKT1_SA_S7_PKT3_PKT4_S5_PT5_21rocsparse_index_base_b.uses_flat_scratch, 0
	.set _ZN9rocsparseL20bsrxmvn_17_32_kernelILj19EdlidddEEvT2_20rocsparse_direction_NS_24const_host_device_scalarIT0_EES1_PKS1_PKT1_SA_S7_PKT3_PKT4_S5_PT5_21rocsparse_index_base_b.has_dyn_sized_stack, 0
	.set _ZN9rocsparseL20bsrxmvn_17_32_kernelILj19EdlidddEEvT2_20rocsparse_direction_NS_24const_host_device_scalarIT0_EES1_PKS1_PKT1_SA_S7_PKT3_PKT4_S5_PT5_21rocsparse_index_base_b.has_recursion, 0
	.set _ZN9rocsparseL20bsrxmvn_17_32_kernelILj19EdlidddEEvT2_20rocsparse_direction_NS_24const_host_device_scalarIT0_EES1_PKS1_PKT1_SA_S7_PKT3_PKT4_S5_PT5_21rocsparse_index_base_b.has_indirect_call, 0
	.section	.AMDGPU.csdata,"",@progbits
; Kernel info:
; codeLenInByte = 1408
; TotalNumSgprs: 28
; NumVgprs: 22
; ScratchSize: 0
; MemoryBound: 0
; FloatMode: 240
; IeeeMode: 1
; LDSByteSize: 2888 bytes/workgroup (compile time only)
; SGPRBlocks: 8
; VGPRBlocks: 6
; NumSGPRsForWavesPerEU: 65
; NumVGPRsForWavesPerEU: 25
; Occupancy: 9
; WaveLimiterHint : 1
; COMPUTE_PGM_RSRC2:SCRATCH_EN: 0
; COMPUTE_PGM_RSRC2:USER_SGPR: 6
; COMPUTE_PGM_RSRC2:TRAP_HANDLER: 0
; COMPUTE_PGM_RSRC2:TGID_X_EN: 1
; COMPUTE_PGM_RSRC2:TGID_Y_EN: 0
; COMPUTE_PGM_RSRC2:TGID_Z_EN: 0
; COMPUTE_PGM_RSRC2:TIDIG_COMP_CNT: 0
	.section	.text._ZN9rocsparseL20bsrxmvn_17_32_kernelILj20EdlidddEEvT2_20rocsparse_direction_NS_24const_host_device_scalarIT0_EES1_PKS1_PKT1_SA_S7_PKT3_PKT4_S5_PT5_21rocsparse_index_base_b,"axG",@progbits,_ZN9rocsparseL20bsrxmvn_17_32_kernelILj20EdlidddEEvT2_20rocsparse_direction_NS_24const_host_device_scalarIT0_EES1_PKS1_PKT1_SA_S7_PKT3_PKT4_S5_PT5_21rocsparse_index_base_b,comdat
	.globl	_ZN9rocsparseL20bsrxmvn_17_32_kernelILj20EdlidddEEvT2_20rocsparse_direction_NS_24const_host_device_scalarIT0_EES1_PKS1_PKT1_SA_S7_PKT3_PKT4_S5_PT5_21rocsparse_index_base_b ; -- Begin function _ZN9rocsparseL20bsrxmvn_17_32_kernelILj20EdlidddEEvT2_20rocsparse_direction_NS_24const_host_device_scalarIT0_EES1_PKS1_PKT1_SA_S7_PKT3_PKT4_S5_PT5_21rocsparse_index_base_b
	.p2align	8
	.type	_ZN9rocsparseL20bsrxmvn_17_32_kernelILj20EdlidddEEvT2_20rocsparse_direction_NS_24const_host_device_scalarIT0_EES1_PKS1_PKT1_SA_S7_PKT3_PKT4_S5_PT5_21rocsparse_index_base_b,@function
_ZN9rocsparseL20bsrxmvn_17_32_kernelILj20EdlidddEEvT2_20rocsparse_direction_NS_24const_host_device_scalarIT0_EES1_PKS1_PKT1_SA_S7_PKT3_PKT4_S5_PT5_21rocsparse_index_base_b: ; @_ZN9rocsparseL20bsrxmvn_17_32_kernelILj20EdlidddEEvT2_20rocsparse_direction_NS_24const_host_device_scalarIT0_EES1_PKS1_PKT1_SA_S7_PKT3_PKT4_S5_PT5_21rocsparse_index_base_b
; %bb.0:
	s_load_dwordx2 s[10:11], s[4:5], 0x58
	s_load_dwordx2 s[8:9], s[4:5], 0x8
	;; [unrolled: 1-line block ×3, first 2 shown]
	s_waitcnt lgkmcnt(0)
	s_bitcmp1_b32 s11, 0
	s_cselect_b64 s[12:13], -1, 0
	v_mov_b32_e32 v3, s8
	s_xor_b64 s[2:3], s[12:13], -1
	s_and_b64 vcc, exec, s[12:13]
	v_mov_b32_e32 v4, s9
	s_cbranch_vccnz .LBB83_2
; %bb.1:
	v_mov_b32_e32 v1, s8
	v_mov_b32_e32 v2, s9
	flat_load_dwordx2 v[3:4], v[1:2]
.LBB83_2:
	v_mov_b32_e32 v2, s1
	s_andn2_b64 vcc, exec, s[2:3]
	v_mov_b32_e32 v1, s0
	s_cbranch_vccnz .LBB83_4
; %bb.3:
	v_mov_b32_e32 v2, s1
	v_mov_b32_e32 v1, s0
	flat_load_dwordx2 v[1:2], v[1:2]
.LBB83_4:
	s_waitcnt vmcnt(0) lgkmcnt(0)
	v_cmp_neq_f64_e32 vcc, 0, v[3:4]
	v_cmp_neq_f64_e64 s[0:1], 1.0, v[1:2]
	s_or_b64 s[0:1], vcc, s[0:1]
	s_and_saveexec_b64 s[2:3], s[0:1]
	s_cbranch_execz .LBB83_41
; %bb.5:
	s_load_dwordx4 s[0:3], s[4:5], 0x18
	s_load_dwordx2 s[14:15], s[4:5], 0x28
	s_waitcnt lgkmcnt(0)
	s_cmp_eq_u64 s[0:1], 0
	s_cbranch_scc1 .LBB83_7
; %bb.6:
	s_ashr_i32 s7, s6, 31
	s_lshl_b64 s[6:7], s[6:7], 2
	s_add_u32 s0, s0, s6
	s_addc_u32 s1, s1, s7
	s_load_dword s0, s[0:1], 0x0
	s_waitcnt lgkmcnt(0)
	s_sub_i32 s6, s0, s10
.LBB83_7:
	s_load_dword s7, s[4:5], 0x4
	s_load_dwordx2 s[8:9], s[4:5], 0x50
	v_mul_u32_u24_e32 v7, 0xccd, v0
	v_mov_b32_e32 v8, 20
	v_mul_lo_u16_sdwa v5, v7, v8 dst_sel:DWORD dst_unused:UNUSED_PAD src0_sel:WORD_1 src1_sel:DWORD
	s_waitcnt lgkmcnt(0)
	s_cmp_eq_u32 s7, 1
	s_cselect_b64 s[0:1], -1, 0
	s_cmp_lg_u32 s7, 1
	s_cselect_b64 s[12:13], -1, 0
	s_ashr_i32 s7, s6, 31
	s_lshl_b64 s[16:17], s[6:7], 3
	s_add_u32 s2, s2, s16
	s_addc_u32 s3, s3, s17
	s_add_u32 s7, s2, 8
	s_addc_u32 s11, s3, 0
	;; [unrolled: 2-line block ×3, first 2 shown]
	s_cmp_eq_u64 s[14:15], 0
	s_cselect_b32 s19, s11, s17
	s_cselect_b32 s18, s7, s16
	s_load_dwordx2 s[14:15], s[18:19], 0x0
	s_load_dwordx2 s[16:17], s[2:3], 0x0
	v_sub_u16_e32 v15, v0, v5
	v_lshlrev_b32_e32 v14, 3, v0
	s_waitcnt lgkmcnt(0)
	v_mov_b32_e32 v5, s14
	v_mov_b32_e32 v6, s15
	v_cmp_ge_i64_e32 vcc, s[16:17], v[5:6]
	v_mov_b32_e32 v5, 0
	v_mov_b32_e32 v6, 0
	s_cbranch_vccnz .LBB83_12
; %bb.8:
	v_mov_b32_e32 v5, 13
	s_load_dwordx4 s[20:23], s[4:5], 0x30
	s_load_dwordx2 s[2:3], s[4:5], 0x40
	s_sub_u32 s4, s14, s10
	v_mul_lo_u16_sdwa v5, v7, v5 dst_sel:DWORD dst_unused:UNUSED_PAD src0_sel:WORD_1 src1_sel:DWORD
	s_subb_u32 s5, s15, 0
	v_mul_lo_u16_sdwa v5, v5, v8 dst_sel:DWORD dst_unused:UNUSED_PAD src0_sel:BYTE_1 src1_sel:DWORD
	v_sub_u16_sdwa v5, v7, v5 dst_sel:DWORD dst_unused:UNUSED_PAD src0_sel:WORD_1 src1_sel:DWORD
	s_sub_u32 s14, s16, s10
	v_and_b32_e32 v5, 0xff, v5
	s_subb_u32 s15, s17, 0
	v_cndmask_b32_e64 v7, v15, v5, s[0:1]
	s_mul_i32 s0, s15, 0xc80
	s_mul_hi_u32 s1, s14, 0xc80
	s_add_i32 s1, s1, s0
	s_mul_i32 s0, s14, 0xc80
	s_waitcnt lgkmcnt(0)
	s_add_u32 s0, s22, s0
	s_addc_u32 s1, s23, s1
	v_mov_b32_e32 v5, s1
	v_add_co_u32_e32 v8, vcc, s0, v14
	s_movk_i32 s0, 0xa4
	v_addc_co_u32_e32 v9, vcc, 0, v5, vcc
	v_mul_u32_u24_sdwa v5, v0, s0 dst_sel:DWORD dst_unused:UNUSED_PAD src0_sel:WORD_0 src1_sel:DWORD
	v_lshrrev_b32_e32 v16, 16, v5
	v_mov_b32_e32 v5, s17
	v_add_co_u32_e32 v6, vcc, s16, v16
	v_addc_co_u32_e32 v10, vcc, 0, v5, vcc
	v_subrev_co_u32_e32 v5, vcc, s10, v6
	v_subbrev_co_u32_e32 v6, vcc, 0, v10, vcc
	v_lshlrev_b64 v[5:6], 2, v[5:6]
	v_mov_b32_e32 v11, s21
	v_add_co_u32_e32 v10, vcc, s20, v5
	v_addc_co_u32_e32 v11, vcc, v11, v6, vcc
	v_mov_b32_e32 v5, 0
	v_mov_b32_e32 v13, s5
	;; [unrolled: 1-line block ×4, first 2 shown]
	s_branch .LBB83_10
.LBB83_9:                               ;   in Loop: Header=BB83_10 Depth=1
	s_or_b64 exec, exec, s[0:1]
	s_add_u32 s14, s14, 1
	s_addc_u32 s15, s15, 0
	v_cmp_lt_i64_e32 vcc, s[14:15], v[12:13]
	v_add_co_u32_e64 v10, s[0:1], 4, v10
	v_addc_co_u32_e64 v11, s[0:1], 0, v11, s[0:1]
	s_cbranch_vccz .LBB83_12
.LBB83_10:                              ; =>This Inner Loop Header: Depth=1
	v_mov_b32_e32 v18, s15
	v_add_co_u32_e32 v17, vcc, s14, v16
	v_addc_co_u32_e32 v18, vcc, 0, v18, vcc
	v_cmp_gt_i64_e32 vcc, s[4:5], v[17:18]
	s_and_saveexec_b64 s[0:1], vcc
	s_cbranch_execz .LBB83_9
; %bb.11:                               ;   in Loop: Header=BB83_10 Depth=1
	global_load_dword v17, v[10:11], off
	v_mov_b32_e32 v21, s3
	global_load_dwordx2 v[19:20], v[8:9], off
	s_waitcnt vmcnt(1)
	v_subrev_u32_e32 v17, s10, v17
	v_mad_u64_u32 v[17:18], s[16:17], v17, 20, v[7:8]
	v_ashrrev_i32_e32 v18, 31, v17
	v_lshlrev_b64 v[17:18], 3, v[17:18]
	v_add_co_u32_e32 v17, vcc, s2, v17
	v_addc_co_u32_e32 v18, vcc, v21, v18, vcc
	global_load_dwordx2 v[17:18], v[17:18], off
	v_add_co_u32_e32 v8, vcc, 0xc80, v8
	v_addc_co_u32_e32 v9, vcc, 0, v9, vcc
	s_waitcnt vmcnt(0)
	v_fma_f64 v[5:6], v[19:20], v[17:18], v[5:6]
	s_branch .LBB83_9
.LBB83_12:
	s_and_b64 vcc, exec, s[12:13]
	ds_write_b64 v14, v[5:6]
	s_waitcnt lgkmcnt(0)
	s_barrier
	s_cbranch_vccz .LBB83_24
; %bb.13:
	v_cmp_gt_u16_e32 vcc, 4, v15
	s_and_saveexec_b64 s[0:1], vcc
	s_cbranch_execz .LBB83_15
; %bb.14:
	ds_read2_b64 v[7:10], v14 offset1:16
	s_waitcnt lgkmcnt(0)
	v_add_f64 v[7:8], v[9:10], v[7:8]
	ds_write_b64 v14, v[7:8]
.LBB83_15:
	s_or_b64 exec, exec, s[0:1]
	v_cmp_gt_u16_e64 s[0:1], 8, v15
	s_waitcnt lgkmcnt(0)
	s_barrier
	s_and_saveexec_b64 s[2:3], s[0:1]
	s_cbranch_execz .LBB83_17
; %bb.16:
	ds_read2_b64 v[7:10], v14 offset1:8
	s_waitcnt lgkmcnt(0)
	v_add_f64 v[7:8], v[9:10], v[7:8]
	ds_write_b64 v14, v[7:8]
.LBB83_17:
	s_or_b64 exec, exec, s[2:3]
	s_waitcnt lgkmcnt(0)
	s_barrier
	s_and_saveexec_b64 s[0:1], vcc
	s_cbranch_execz .LBB83_19
; %bb.18:
	ds_read2_b64 v[7:10], v14 offset1:4
	s_waitcnt lgkmcnt(0)
	v_add_f64 v[7:8], v[9:10], v[7:8]
	ds_write_b64 v14, v[7:8]
.LBB83_19:
	s_or_b64 exec, exec, s[0:1]
	v_cmp_gt_u16_e32 vcc, 2, v15
	s_waitcnt lgkmcnt(0)
	s_barrier
	s_and_saveexec_b64 s[0:1], vcc
	s_cbranch_execz .LBB83_21
; %bb.20:
	ds_read2_b64 v[7:10], v14 offset1:2
	s_waitcnt lgkmcnt(0)
	v_add_f64 v[7:8], v[9:10], v[7:8]
	ds_write_b64 v14, v[7:8]
.LBB83_21:
	s_or_b64 exec, exec, s[0:1]
	v_mov_b32_e32 v8, v6
	v_cmp_gt_u32_e32 vcc, 20, v0
	v_mov_b32_e32 v7, v5
	s_waitcnt lgkmcnt(0)
	s_barrier
	s_and_saveexec_b64 s[0:1], vcc
	s_cbranch_execz .LBB83_23
; %bb.22:
	s_movk_i32 s2, 0x98
	v_mad_u32_u24 v7, v0, s2, v14
	ds_read_b128 v[7:10], v7
	s_waitcnt lgkmcnt(0)
	v_add_f64 v[7:8], v[7:8], v[9:10]
.LBB83_23:
	s_or_b64 exec, exec, s[0:1]
	s_branch .LBB83_36
.LBB83_24:
                                        ; implicit-def: $vgpr7_vgpr8
	s_cbranch_execz .LBB83_36
; %bb.25:
	s_movk_i32 s0, 0x50
	v_cmp_gt_u32_e32 vcc, s0, v0
	s_and_saveexec_b64 s[0:1], vcc
	s_cbranch_execz .LBB83_27
; %bb.26:
	ds_read2st64_b64 v[7:10], v14 offset1:5
	s_waitcnt lgkmcnt(0)
	v_add_f64 v[7:8], v[9:10], v[7:8]
	ds_write_b64 v14, v[7:8]
.LBB83_27:
	s_or_b64 exec, exec, s[0:1]
	s_movk_i32 s0, 0xa0
	v_cmp_gt_u32_e64 s[0:1], s0, v0
	s_waitcnt lgkmcnt(0)
	s_barrier
	s_and_saveexec_b64 s[2:3], s[0:1]
	s_cbranch_execz .LBB83_29
; %bb.28:
	ds_read2_b64 v[7:10], v14 offset1:160
	s_waitcnt lgkmcnt(0)
	v_add_f64 v[7:8], v[9:10], v[7:8]
	ds_write_b64 v14, v[7:8]
.LBB83_29:
	s_or_b64 exec, exec, s[2:3]
	s_waitcnt lgkmcnt(0)
	s_barrier
	s_and_saveexec_b64 s[0:1], vcc
	s_cbranch_execz .LBB83_31
; %bb.30:
	ds_read2_b64 v[7:10], v14 offset1:80
	s_waitcnt lgkmcnt(0)
	v_add_f64 v[7:8], v[9:10], v[7:8]
	ds_write_b64 v14, v[7:8]
.LBB83_31:
	s_or_b64 exec, exec, s[0:1]
	v_cmp_gt_u32_e32 vcc, 40, v0
	s_waitcnt lgkmcnt(0)
	s_barrier
	s_and_saveexec_b64 s[0:1], vcc
	s_cbranch_execz .LBB83_33
; %bb.32:
	ds_read2_b64 v[7:10], v14 offset1:40
	s_waitcnt lgkmcnt(0)
	v_add_f64 v[7:8], v[9:10], v[7:8]
	ds_write_b64 v14, v[7:8]
.LBB83_33:
	s_or_b64 exec, exec, s[0:1]
	v_cmp_gt_u32_e32 vcc, 20, v0
	s_waitcnt lgkmcnt(0)
	s_and_saveexec_b64 s[0:1], vcc
	s_cbranch_execz .LBB83_35
; %bb.34:
	ds_read2_b64 v[5:8], v14 offset1:20
	s_waitcnt lgkmcnt(0)
	v_add_f64 v[5:6], v[5:6], v[7:8]
.LBB83_35:
	s_or_b64 exec, exec, s[0:1]
	v_mov_b32_e32 v8, v6
	v_mov_b32_e32 v7, v5
.LBB83_36:
	v_cmp_gt_u32_e32 vcc, 20, v0
	s_and_b64 exec, exec, vcc
	s_cbranch_execz .LBB83_41
; %bb.37:
	v_cmp_eq_f64_e32 vcc, 0, v[1:2]
	v_mul_f64 v[3:4], v[3:4], v[7:8]
	s_and_saveexec_b64 s[0:1], vcc
	s_xor_b64 s[0:1], exec, s[0:1]
	s_cbranch_execz .LBB83_39
; %bb.38:
	v_mad_u64_u32 v[0:1], s[2:3], s6, 20, v[0:1]
	v_mov_b32_e32 v1, 0
	v_mov_b32_e32 v2, s9
	v_lshlrev_b64 v[0:1], 3, v[0:1]
	v_add_co_u32_e32 v0, vcc, s8, v0
	v_addc_co_u32_e32 v1, vcc, v2, v1, vcc
	global_store_dwordx2 v[0:1], v[3:4], off
                                        ; implicit-def: $vgpr0
                                        ; implicit-def: $vgpr1_vgpr2
                                        ; implicit-def: $vgpr3_vgpr4
.LBB83_39:
	s_andn2_saveexec_b64 s[0:1], s[0:1]
	s_cbranch_execz .LBB83_41
; %bb.40:
	v_mad_u64_u32 v[5:6], s[0:1], s6, 20, v[0:1]
	v_mov_b32_e32 v6, 0
	v_mov_b32_e32 v0, s9
	v_lshlrev_b64 v[5:6], 3, v[5:6]
	v_add_co_u32_e32 v5, vcc, s8, v5
	v_addc_co_u32_e32 v6, vcc, v0, v6, vcc
	global_load_dwordx2 v[7:8], v[5:6], off
	s_waitcnt vmcnt(0)
	v_fma_f64 v[0:1], v[1:2], v[7:8], v[3:4]
	global_store_dwordx2 v[5:6], v[0:1], off
.LBB83_41:
	s_endpgm
	.section	.rodata,"a",@progbits
	.p2align	6, 0x0
	.amdhsa_kernel _ZN9rocsparseL20bsrxmvn_17_32_kernelILj20EdlidddEEvT2_20rocsparse_direction_NS_24const_host_device_scalarIT0_EES1_PKS1_PKT1_SA_S7_PKT3_PKT4_S5_PT5_21rocsparse_index_base_b
		.amdhsa_group_segment_fixed_size 3200
		.amdhsa_private_segment_fixed_size 0
		.amdhsa_kernarg_size 96
		.amdhsa_user_sgpr_count 6
		.amdhsa_user_sgpr_private_segment_buffer 1
		.amdhsa_user_sgpr_dispatch_ptr 0
		.amdhsa_user_sgpr_queue_ptr 0
		.amdhsa_user_sgpr_kernarg_segment_ptr 1
		.amdhsa_user_sgpr_dispatch_id 0
		.amdhsa_user_sgpr_flat_scratch_init 0
		.amdhsa_user_sgpr_private_segment_size 0
		.amdhsa_uses_dynamic_stack 0
		.amdhsa_system_sgpr_private_segment_wavefront_offset 0
		.amdhsa_system_sgpr_workgroup_id_x 1
		.amdhsa_system_sgpr_workgroup_id_y 0
		.amdhsa_system_sgpr_workgroup_id_z 0
		.amdhsa_system_sgpr_workgroup_info 0
		.amdhsa_system_vgpr_workitem_id 0
		.amdhsa_next_free_vgpr 25
		.amdhsa_next_free_sgpr 61
		.amdhsa_reserve_vcc 1
		.amdhsa_reserve_flat_scratch 0
		.amdhsa_float_round_mode_32 0
		.amdhsa_float_round_mode_16_64 0
		.amdhsa_float_denorm_mode_32 3
		.amdhsa_float_denorm_mode_16_64 3
		.amdhsa_dx10_clamp 1
		.amdhsa_ieee_mode 1
		.amdhsa_fp16_overflow 0
		.amdhsa_exception_fp_ieee_invalid_op 0
		.amdhsa_exception_fp_denorm_src 0
		.amdhsa_exception_fp_ieee_div_zero 0
		.amdhsa_exception_fp_ieee_overflow 0
		.amdhsa_exception_fp_ieee_underflow 0
		.amdhsa_exception_fp_ieee_inexact 0
		.amdhsa_exception_int_div_zero 0
	.end_amdhsa_kernel
	.section	.text._ZN9rocsparseL20bsrxmvn_17_32_kernelILj20EdlidddEEvT2_20rocsparse_direction_NS_24const_host_device_scalarIT0_EES1_PKS1_PKT1_SA_S7_PKT3_PKT4_S5_PT5_21rocsparse_index_base_b,"axG",@progbits,_ZN9rocsparseL20bsrxmvn_17_32_kernelILj20EdlidddEEvT2_20rocsparse_direction_NS_24const_host_device_scalarIT0_EES1_PKS1_PKT1_SA_S7_PKT3_PKT4_S5_PT5_21rocsparse_index_base_b,comdat
.Lfunc_end83:
	.size	_ZN9rocsparseL20bsrxmvn_17_32_kernelILj20EdlidddEEvT2_20rocsparse_direction_NS_24const_host_device_scalarIT0_EES1_PKS1_PKT1_SA_S7_PKT3_PKT4_S5_PT5_21rocsparse_index_base_b, .Lfunc_end83-_ZN9rocsparseL20bsrxmvn_17_32_kernelILj20EdlidddEEvT2_20rocsparse_direction_NS_24const_host_device_scalarIT0_EES1_PKS1_PKT1_SA_S7_PKT3_PKT4_S5_PT5_21rocsparse_index_base_b
                                        ; -- End function
	.set _ZN9rocsparseL20bsrxmvn_17_32_kernelILj20EdlidddEEvT2_20rocsparse_direction_NS_24const_host_device_scalarIT0_EES1_PKS1_PKT1_SA_S7_PKT3_PKT4_S5_PT5_21rocsparse_index_base_b.num_vgpr, 22
	.set _ZN9rocsparseL20bsrxmvn_17_32_kernelILj20EdlidddEEvT2_20rocsparse_direction_NS_24const_host_device_scalarIT0_EES1_PKS1_PKT1_SA_S7_PKT3_PKT4_S5_PT5_21rocsparse_index_base_b.num_agpr, 0
	.set _ZN9rocsparseL20bsrxmvn_17_32_kernelILj20EdlidddEEvT2_20rocsparse_direction_NS_24const_host_device_scalarIT0_EES1_PKS1_PKT1_SA_S7_PKT3_PKT4_S5_PT5_21rocsparse_index_base_b.numbered_sgpr, 24
	.set _ZN9rocsparseL20bsrxmvn_17_32_kernelILj20EdlidddEEvT2_20rocsparse_direction_NS_24const_host_device_scalarIT0_EES1_PKS1_PKT1_SA_S7_PKT3_PKT4_S5_PT5_21rocsparse_index_base_b.num_named_barrier, 0
	.set _ZN9rocsparseL20bsrxmvn_17_32_kernelILj20EdlidddEEvT2_20rocsparse_direction_NS_24const_host_device_scalarIT0_EES1_PKS1_PKT1_SA_S7_PKT3_PKT4_S5_PT5_21rocsparse_index_base_b.private_seg_size, 0
	.set _ZN9rocsparseL20bsrxmvn_17_32_kernelILj20EdlidddEEvT2_20rocsparse_direction_NS_24const_host_device_scalarIT0_EES1_PKS1_PKT1_SA_S7_PKT3_PKT4_S5_PT5_21rocsparse_index_base_b.uses_vcc, 1
	.set _ZN9rocsparseL20bsrxmvn_17_32_kernelILj20EdlidddEEvT2_20rocsparse_direction_NS_24const_host_device_scalarIT0_EES1_PKS1_PKT1_SA_S7_PKT3_PKT4_S5_PT5_21rocsparse_index_base_b.uses_flat_scratch, 0
	.set _ZN9rocsparseL20bsrxmvn_17_32_kernelILj20EdlidddEEvT2_20rocsparse_direction_NS_24const_host_device_scalarIT0_EES1_PKS1_PKT1_SA_S7_PKT3_PKT4_S5_PT5_21rocsparse_index_base_b.has_dyn_sized_stack, 0
	.set _ZN9rocsparseL20bsrxmvn_17_32_kernelILj20EdlidddEEvT2_20rocsparse_direction_NS_24const_host_device_scalarIT0_EES1_PKS1_PKT1_SA_S7_PKT3_PKT4_S5_PT5_21rocsparse_index_base_b.has_recursion, 0
	.set _ZN9rocsparseL20bsrxmvn_17_32_kernelILj20EdlidddEEvT2_20rocsparse_direction_NS_24const_host_device_scalarIT0_EES1_PKS1_PKT1_SA_S7_PKT3_PKT4_S5_PT5_21rocsparse_index_base_b.has_indirect_call, 0
	.section	.AMDGPU.csdata,"",@progbits
; Kernel info:
; codeLenInByte = 1400
; TotalNumSgprs: 28
; NumVgprs: 22
; ScratchSize: 0
; MemoryBound: 0
; FloatMode: 240
; IeeeMode: 1
; LDSByteSize: 3200 bytes/workgroup (compile time only)
; SGPRBlocks: 8
; VGPRBlocks: 6
; NumSGPRsForWavesPerEU: 65
; NumVGPRsForWavesPerEU: 25
; Occupancy: 9
; WaveLimiterHint : 1
; COMPUTE_PGM_RSRC2:SCRATCH_EN: 0
; COMPUTE_PGM_RSRC2:USER_SGPR: 6
; COMPUTE_PGM_RSRC2:TRAP_HANDLER: 0
; COMPUTE_PGM_RSRC2:TGID_X_EN: 1
; COMPUTE_PGM_RSRC2:TGID_Y_EN: 0
; COMPUTE_PGM_RSRC2:TGID_Z_EN: 0
; COMPUTE_PGM_RSRC2:TIDIG_COMP_CNT: 0
	.section	.text._ZN9rocsparseL20bsrxmvn_17_32_kernelILj21EdlidddEEvT2_20rocsparse_direction_NS_24const_host_device_scalarIT0_EES1_PKS1_PKT1_SA_S7_PKT3_PKT4_S5_PT5_21rocsparse_index_base_b,"axG",@progbits,_ZN9rocsparseL20bsrxmvn_17_32_kernelILj21EdlidddEEvT2_20rocsparse_direction_NS_24const_host_device_scalarIT0_EES1_PKS1_PKT1_SA_S7_PKT3_PKT4_S5_PT5_21rocsparse_index_base_b,comdat
	.globl	_ZN9rocsparseL20bsrxmvn_17_32_kernelILj21EdlidddEEvT2_20rocsparse_direction_NS_24const_host_device_scalarIT0_EES1_PKS1_PKT1_SA_S7_PKT3_PKT4_S5_PT5_21rocsparse_index_base_b ; -- Begin function _ZN9rocsparseL20bsrxmvn_17_32_kernelILj21EdlidddEEvT2_20rocsparse_direction_NS_24const_host_device_scalarIT0_EES1_PKS1_PKT1_SA_S7_PKT3_PKT4_S5_PT5_21rocsparse_index_base_b
	.p2align	8
	.type	_ZN9rocsparseL20bsrxmvn_17_32_kernelILj21EdlidddEEvT2_20rocsparse_direction_NS_24const_host_device_scalarIT0_EES1_PKS1_PKT1_SA_S7_PKT3_PKT4_S5_PT5_21rocsparse_index_base_b,@function
_ZN9rocsparseL20bsrxmvn_17_32_kernelILj21EdlidddEEvT2_20rocsparse_direction_NS_24const_host_device_scalarIT0_EES1_PKS1_PKT1_SA_S7_PKT3_PKT4_S5_PT5_21rocsparse_index_base_b: ; @_ZN9rocsparseL20bsrxmvn_17_32_kernelILj21EdlidddEEvT2_20rocsparse_direction_NS_24const_host_device_scalarIT0_EES1_PKS1_PKT1_SA_S7_PKT3_PKT4_S5_PT5_21rocsparse_index_base_b
; %bb.0:
	s_load_dwordx2 s[14:15], s[4:5], 0x58
	s_load_dwordx2 s[8:9], s[4:5], 0x8
	;; [unrolled: 1-line block ×3, first 2 shown]
	s_waitcnt lgkmcnt(0)
	s_bitcmp1_b32 s15, 0
	s_cselect_b64 s[10:11], -1, 0
	v_mov_b32_e32 v3, s8
	s_xor_b64 s[2:3], s[10:11], -1
	s_and_b64 vcc, exec, s[10:11]
	v_mov_b32_e32 v4, s9
	s_cbranch_vccnz .LBB84_2
; %bb.1:
	v_mov_b32_e32 v1, s8
	v_mov_b32_e32 v2, s9
	flat_load_dwordx2 v[3:4], v[1:2]
.LBB84_2:
	v_mov_b32_e32 v2, s1
	s_andn2_b64 vcc, exec, s[2:3]
	v_mov_b32_e32 v1, s0
	s_cbranch_vccnz .LBB84_4
; %bb.3:
	v_mov_b32_e32 v2, s1
	v_mov_b32_e32 v1, s0
	flat_load_dwordx2 v[1:2], v[1:2]
.LBB84_4:
	s_waitcnt vmcnt(0) lgkmcnt(0)
	v_cmp_neq_f64_e32 vcc, 0, v[3:4]
	v_cmp_neq_f64_e64 s[0:1], 1.0, v[1:2]
	s_or_b64 s[0:1], vcc, s[0:1]
	s_and_saveexec_b64 s[2:3], s[0:1]
	s_cbranch_execz .LBB84_41
; %bb.5:
	s_load_dwordx4 s[0:3], s[4:5], 0x18
	s_load_dwordx2 s[8:9], s[4:5], 0x28
	s_waitcnt lgkmcnt(0)
	s_cmp_eq_u64 s[0:1], 0
	s_cbranch_scc1 .LBB84_7
; %bb.6:
	s_ashr_i32 s7, s6, 31
	s_lshl_b64 s[6:7], s[6:7], 2
	s_add_u32 s0, s0, s6
	s_addc_u32 s1, s1, s7
	s_load_dword s0, s[0:1], 0x0
	s_waitcnt lgkmcnt(0)
	s_sub_i32 s6, s0, s14
.LBB84_7:
	s_load_dword s7, s[4:5], 0x4
	s_load_dwordx2 s[12:13], s[4:5], 0x50
	v_mul_u32_u24_e32 v7, 0xc31, v0
	v_mov_b32_e32 v5, 21
	v_mul_lo_u16_sdwa v5, v7, v5 dst_sel:DWORD dst_unused:UNUSED_PAD src0_sel:WORD_1 src1_sel:DWORD
	s_waitcnt lgkmcnt(0)
	s_cmp_eq_u32 s7, 1
	s_cselect_b64 s[0:1], -1, 0
	s_cmp_lg_u32 s7, 1
	s_cselect_b64 s[16:17], -1, 0
	s_ashr_i32 s7, s6, 31
	s_lshl_b64 s[10:11], s[6:7], 3
	s_add_u32 s2, s2, s10
	s_addc_u32 s3, s3, s11
	s_add_u32 s7, s2, 8
	s_addc_u32 s15, s3, 0
	;; [unrolled: 2-line block ×3, first 2 shown]
	s_cmp_eq_u64 s[8:9], 0
	s_cselect_b32 s9, s15, s11
	s_cselect_b32 s8, s7, s10
	s_load_dwordx2 s[18:19], s[8:9], 0x0
	s_load_dwordx2 s[20:21], s[2:3], 0x0
	v_sub_u16_e32 v15, v0, v5
	v_lshlrev_b32_e32 v14, 3, v0
	s_waitcnt lgkmcnt(0)
	v_mov_b32_e32 v5, s18
	v_mov_b32_e32 v6, s19
	v_cmp_ge_i64_e32 vcc, s[20:21], v[5:6]
	v_mov_b32_e32 v5, 0
	v_mov_b32_e32 v6, 0
	s_cbranch_vccnz .LBB84_12
; %bb.8:
	v_mov_b32_e32 v5, 25
	v_mul_lo_u16_sdwa v5, v7, v5 dst_sel:DWORD dst_unused:UNUSED_PAD src0_sel:WORD_1 src1_sel:DWORD
	s_load_dwordx4 s[8:11], s[4:5], 0x30
	s_load_dwordx2 s[2:3], s[4:5], 0x40
	s_sub_u32 s4, s18, s14
	v_lshrrev_b16_e32 v5, 9, v5
	s_subb_u32 s5, s19, 0
	v_mul_lo_u16_e32 v5, 21, v5
	v_sub_u16_sdwa v5, v7, v5 dst_sel:DWORD dst_unused:UNUSED_PAD src0_sel:WORD_1 src1_sel:DWORD
	s_sub_u32 s18, s20, s14
	v_and_b32_e32 v5, 0xff, v5
	s_subb_u32 s19, s21, 0
	v_cndmask_b32_e64 v7, v15, v5, s[0:1]
	s_mul_i32 s0, s19, 0xdc8
	s_mul_hi_u32 s1, s18, 0xdc8
	s_add_i32 s1, s1, s0
	s_mul_i32 s0, s18, 0xdc8
	s_waitcnt lgkmcnt(0)
	s_add_u32 s0, s10, s0
	s_addc_u32 s1, s11, s1
	v_mov_b32_e32 v5, s1
	v_add_co_u32_e32 v8, vcc, s0, v14
	s_movk_i32 s0, 0x253
	v_addc_co_u32_e32 v9, vcc, 0, v5, vcc
	v_mul_u32_u24_sdwa v5, v0, s0 dst_sel:DWORD dst_unused:UNUSED_PAD src0_sel:WORD_0 src1_sel:DWORD
	v_lshrrev_b32_e32 v16, 18, v5
	v_mov_b32_e32 v5, s21
	v_add_co_u32_e32 v6, vcc, s20, v16
	v_addc_co_u32_e32 v10, vcc, 0, v5, vcc
	v_subrev_co_u32_e32 v5, vcc, s14, v6
	v_subbrev_co_u32_e32 v6, vcc, 0, v10, vcc
	v_lshlrev_b64 v[5:6], 2, v[5:6]
	v_mov_b32_e32 v11, s9
	v_add_co_u32_e32 v10, vcc, s8, v5
	v_addc_co_u32_e32 v11, vcc, v11, v6, vcc
	v_mov_b32_e32 v5, 0
	v_mov_b32_e32 v13, s5
	;; [unrolled: 1-line block ×4, first 2 shown]
	s_branch .LBB84_10
.LBB84_9:                               ;   in Loop: Header=BB84_10 Depth=1
	s_or_b64 exec, exec, s[0:1]
	s_add_u32 s18, s18, 1
	s_addc_u32 s19, s19, 0
	v_cmp_lt_i64_e32 vcc, s[18:19], v[12:13]
	v_add_co_u32_e64 v10, s[0:1], 4, v10
	v_addc_co_u32_e64 v11, s[0:1], 0, v11, s[0:1]
	s_cbranch_vccz .LBB84_12
.LBB84_10:                              ; =>This Inner Loop Header: Depth=1
	v_mov_b32_e32 v18, s19
	v_add_co_u32_e32 v17, vcc, s18, v16
	v_addc_co_u32_e32 v18, vcc, 0, v18, vcc
	v_cmp_gt_i64_e32 vcc, s[4:5], v[17:18]
	s_and_saveexec_b64 s[0:1], vcc
	s_cbranch_execz .LBB84_9
; %bb.11:                               ;   in Loop: Header=BB84_10 Depth=1
	global_load_dword v17, v[10:11], off
	v_mov_b32_e32 v21, s3
	global_load_dwordx2 v[19:20], v[8:9], off
	s_waitcnt vmcnt(1)
	v_subrev_u32_e32 v17, s14, v17
	v_mad_u64_u32 v[17:18], s[8:9], v17, 21, v[7:8]
	v_ashrrev_i32_e32 v18, 31, v17
	v_lshlrev_b64 v[17:18], 3, v[17:18]
	v_add_co_u32_e32 v17, vcc, s2, v17
	v_addc_co_u32_e32 v18, vcc, v21, v18, vcc
	global_load_dwordx2 v[17:18], v[17:18], off
	v_add_co_u32_e32 v8, vcc, 0xdc8, v8
	v_addc_co_u32_e32 v9, vcc, 0, v9, vcc
	s_waitcnt vmcnt(0)
	v_fma_f64 v[5:6], v[19:20], v[17:18], v[5:6]
	s_branch .LBB84_9
.LBB84_12:
	s_and_b64 vcc, exec, s[16:17]
	ds_write_b64 v14, v[5:6]
	s_waitcnt lgkmcnt(0)
	s_barrier
	s_cbranch_vccz .LBB84_24
; %bb.13:
	v_cmp_gt_u16_e32 vcc, 5, v15
	s_and_saveexec_b64 s[0:1], vcc
	s_cbranch_execz .LBB84_15
; %bb.14:
	ds_read2_b64 v[7:10], v14 offset1:16
	s_waitcnt lgkmcnt(0)
	v_add_f64 v[7:8], v[9:10], v[7:8]
	ds_write_b64 v14, v[7:8]
.LBB84_15:
	s_or_b64 exec, exec, s[0:1]
	v_cmp_gt_u16_e32 vcc, 8, v15
	s_waitcnt lgkmcnt(0)
	s_barrier
	s_and_saveexec_b64 s[0:1], vcc
	s_cbranch_execz .LBB84_17
; %bb.16:
	ds_read2_b64 v[7:10], v14 offset1:8
	s_waitcnt lgkmcnt(0)
	v_add_f64 v[7:8], v[9:10], v[7:8]
	ds_write_b64 v14, v[7:8]
.LBB84_17:
	s_or_b64 exec, exec, s[0:1]
	v_cmp_gt_u16_e32 vcc, 4, v15
	s_waitcnt lgkmcnt(0)
	s_barrier
	;; [unrolled: 12-line block ×3, first 2 shown]
	s_and_saveexec_b64 s[0:1], vcc
	s_cbranch_execz .LBB84_21
; %bb.20:
	ds_read2_b64 v[7:10], v14 offset1:2
	s_waitcnt lgkmcnt(0)
	v_add_f64 v[7:8], v[9:10], v[7:8]
	ds_write_b64 v14, v[7:8]
.LBB84_21:
	s_or_b64 exec, exec, s[0:1]
	v_mov_b32_e32 v8, v6
	v_cmp_gt_u32_e32 vcc, 21, v0
	v_mov_b32_e32 v7, v5
	s_waitcnt lgkmcnt(0)
	s_barrier
	s_and_saveexec_b64 s[0:1], vcc
	s_cbranch_execz .LBB84_23
; %bb.22:
	s_movk_i32 s2, 0xa0
	v_mad_u32_u24 v7, v0, s2, v14
	ds_read2_b64 v[7:10], v7 offset1:1
	s_waitcnt lgkmcnt(0)
	v_add_f64 v[7:8], v[7:8], v[9:10]
.LBB84_23:
	s_or_b64 exec, exec, s[0:1]
	s_branch .LBB84_36
.LBB84_24:
                                        ; implicit-def: $vgpr7_vgpr8
	s_cbranch_execz .LBB84_36
; %bb.25:
	s_movk_i32 s0, 0x69
	v_cmp_gt_u32_e32 vcc, s0, v0
	s_and_saveexec_b64 s[0:1], vcc
	s_cbranch_execz .LBB84_27
; %bb.26:
	ds_read_b64 v[7:8], v14 offset:2688
	ds_read_b64 v[9:10], v14
	s_waitcnt lgkmcnt(0)
	v_add_f64 v[7:8], v[7:8], v[9:10]
	ds_write_b64 v14, v[7:8]
.LBB84_27:
	s_or_b64 exec, exec, s[0:1]
	s_movk_i32 s0, 0xa8
	v_cmp_gt_u32_e32 vcc, s0, v0
	s_waitcnt lgkmcnt(0)
	s_barrier
	s_and_saveexec_b64 s[0:1], vcc
	s_cbranch_execz .LBB84_29
; %bb.28:
	ds_read2_b64 v[7:10], v14 offset1:168
	s_waitcnt lgkmcnt(0)
	v_add_f64 v[7:8], v[9:10], v[7:8]
	ds_write_b64 v14, v[7:8]
.LBB84_29:
	s_or_b64 exec, exec, s[0:1]
	s_movk_i32 s0, 0x54
	v_cmp_gt_u32_e32 vcc, s0, v0
	s_waitcnt lgkmcnt(0)
	s_barrier
	s_and_saveexec_b64 s[0:1], vcc
	s_cbranch_execz .LBB84_31
; %bb.30:
	ds_read2_b64 v[7:10], v14 offset1:84
	s_waitcnt lgkmcnt(0)
	v_add_f64 v[7:8], v[9:10], v[7:8]
	ds_write_b64 v14, v[7:8]
.LBB84_31:
	s_or_b64 exec, exec, s[0:1]
	v_cmp_gt_u32_e32 vcc, 42, v0
	s_waitcnt lgkmcnt(0)
	s_barrier
	s_and_saveexec_b64 s[0:1], vcc
	s_cbranch_execz .LBB84_33
; %bb.32:
	ds_read2_b64 v[7:10], v14 offset1:42
	s_waitcnt lgkmcnt(0)
	v_add_f64 v[7:8], v[9:10], v[7:8]
	ds_write_b64 v14, v[7:8]
.LBB84_33:
	s_or_b64 exec, exec, s[0:1]
	v_cmp_gt_u32_e32 vcc, 21, v0
	s_waitcnt lgkmcnt(0)
	s_and_saveexec_b64 s[0:1], vcc
	s_cbranch_execz .LBB84_35
; %bb.34:
	ds_read2_b64 v[5:8], v14 offset1:21
	s_waitcnt lgkmcnt(0)
	v_add_f64 v[5:6], v[5:6], v[7:8]
.LBB84_35:
	s_or_b64 exec, exec, s[0:1]
	v_mov_b32_e32 v8, v6
	v_mov_b32_e32 v7, v5
.LBB84_36:
	v_cmp_gt_u32_e32 vcc, 21, v0
	s_and_b64 exec, exec, vcc
	s_cbranch_execz .LBB84_41
; %bb.37:
	v_cmp_eq_f64_e32 vcc, 0, v[1:2]
	v_mul_f64 v[3:4], v[3:4], v[7:8]
	s_and_saveexec_b64 s[0:1], vcc
	s_xor_b64 s[0:1], exec, s[0:1]
	s_cbranch_execz .LBB84_39
; %bb.38:
	v_mad_u64_u32 v[0:1], s[2:3], s6, 21, v[0:1]
	v_mov_b32_e32 v1, 0
	v_mov_b32_e32 v2, s13
	v_lshlrev_b64 v[0:1], 3, v[0:1]
	v_add_co_u32_e32 v0, vcc, s12, v0
	v_addc_co_u32_e32 v1, vcc, v2, v1, vcc
	global_store_dwordx2 v[0:1], v[3:4], off
                                        ; implicit-def: $vgpr0
                                        ; implicit-def: $vgpr1_vgpr2
                                        ; implicit-def: $vgpr3_vgpr4
.LBB84_39:
	s_andn2_saveexec_b64 s[0:1], s[0:1]
	s_cbranch_execz .LBB84_41
; %bb.40:
	v_mad_u64_u32 v[5:6], s[0:1], s6, 21, v[0:1]
	v_mov_b32_e32 v6, 0
	v_mov_b32_e32 v0, s13
	v_lshlrev_b64 v[5:6], 3, v[5:6]
	v_add_co_u32_e32 v5, vcc, s12, v5
	v_addc_co_u32_e32 v6, vcc, v0, v6, vcc
	global_load_dwordx2 v[7:8], v[5:6], off
	s_waitcnt vmcnt(0)
	v_fma_f64 v[0:1], v[1:2], v[7:8], v[3:4]
	global_store_dwordx2 v[5:6], v[0:1], off
.LBB84_41:
	s_endpgm
	.section	.rodata,"a",@progbits
	.p2align	6, 0x0
	.amdhsa_kernel _ZN9rocsparseL20bsrxmvn_17_32_kernelILj21EdlidddEEvT2_20rocsparse_direction_NS_24const_host_device_scalarIT0_EES1_PKS1_PKT1_SA_S7_PKT3_PKT4_S5_PT5_21rocsparse_index_base_b
		.amdhsa_group_segment_fixed_size 3528
		.amdhsa_private_segment_fixed_size 0
		.amdhsa_kernarg_size 96
		.amdhsa_user_sgpr_count 6
		.amdhsa_user_sgpr_private_segment_buffer 1
		.amdhsa_user_sgpr_dispatch_ptr 0
		.amdhsa_user_sgpr_queue_ptr 0
		.amdhsa_user_sgpr_kernarg_segment_ptr 1
		.amdhsa_user_sgpr_dispatch_id 0
		.amdhsa_user_sgpr_flat_scratch_init 0
		.amdhsa_user_sgpr_private_segment_size 0
		.amdhsa_uses_dynamic_stack 0
		.amdhsa_system_sgpr_private_segment_wavefront_offset 0
		.amdhsa_system_sgpr_workgroup_id_x 1
		.amdhsa_system_sgpr_workgroup_id_y 0
		.amdhsa_system_sgpr_workgroup_id_z 0
		.amdhsa_system_sgpr_workgroup_info 0
		.amdhsa_system_vgpr_workitem_id 0
		.amdhsa_next_free_vgpr 25
		.amdhsa_next_free_sgpr 61
		.amdhsa_reserve_vcc 1
		.amdhsa_reserve_flat_scratch 0
		.amdhsa_float_round_mode_32 0
		.amdhsa_float_round_mode_16_64 0
		.amdhsa_float_denorm_mode_32 3
		.amdhsa_float_denorm_mode_16_64 3
		.amdhsa_dx10_clamp 1
		.amdhsa_ieee_mode 1
		.amdhsa_fp16_overflow 0
		.amdhsa_exception_fp_ieee_invalid_op 0
		.amdhsa_exception_fp_denorm_src 0
		.amdhsa_exception_fp_ieee_div_zero 0
		.amdhsa_exception_fp_ieee_overflow 0
		.amdhsa_exception_fp_ieee_underflow 0
		.amdhsa_exception_fp_ieee_inexact 0
		.amdhsa_exception_int_div_zero 0
	.end_amdhsa_kernel
	.section	.text._ZN9rocsparseL20bsrxmvn_17_32_kernelILj21EdlidddEEvT2_20rocsparse_direction_NS_24const_host_device_scalarIT0_EES1_PKS1_PKT1_SA_S7_PKT3_PKT4_S5_PT5_21rocsparse_index_base_b,"axG",@progbits,_ZN9rocsparseL20bsrxmvn_17_32_kernelILj21EdlidddEEvT2_20rocsparse_direction_NS_24const_host_device_scalarIT0_EES1_PKS1_PKT1_SA_S7_PKT3_PKT4_S5_PT5_21rocsparse_index_base_b,comdat
.Lfunc_end84:
	.size	_ZN9rocsparseL20bsrxmvn_17_32_kernelILj21EdlidddEEvT2_20rocsparse_direction_NS_24const_host_device_scalarIT0_EES1_PKS1_PKT1_SA_S7_PKT3_PKT4_S5_PT5_21rocsparse_index_base_b, .Lfunc_end84-_ZN9rocsparseL20bsrxmvn_17_32_kernelILj21EdlidddEEvT2_20rocsparse_direction_NS_24const_host_device_scalarIT0_EES1_PKS1_PKT1_SA_S7_PKT3_PKT4_S5_PT5_21rocsparse_index_base_b
                                        ; -- End function
	.set _ZN9rocsparseL20bsrxmvn_17_32_kernelILj21EdlidddEEvT2_20rocsparse_direction_NS_24const_host_device_scalarIT0_EES1_PKS1_PKT1_SA_S7_PKT3_PKT4_S5_PT5_21rocsparse_index_base_b.num_vgpr, 22
	.set _ZN9rocsparseL20bsrxmvn_17_32_kernelILj21EdlidddEEvT2_20rocsparse_direction_NS_24const_host_device_scalarIT0_EES1_PKS1_PKT1_SA_S7_PKT3_PKT4_S5_PT5_21rocsparse_index_base_b.num_agpr, 0
	.set _ZN9rocsparseL20bsrxmvn_17_32_kernelILj21EdlidddEEvT2_20rocsparse_direction_NS_24const_host_device_scalarIT0_EES1_PKS1_PKT1_SA_S7_PKT3_PKT4_S5_PT5_21rocsparse_index_base_b.numbered_sgpr, 22
	.set _ZN9rocsparseL20bsrxmvn_17_32_kernelILj21EdlidddEEvT2_20rocsparse_direction_NS_24const_host_device_scalarIT0_EES1_PKS1_PKT1_SA_S7_PKT3_PKT4_S5_PT5_21rocsparse_index_base_b.num_named_barrier, 0
	.set _ZN9rocsparseL20bsrxmvn_17_32_kernelILj21EdlidddEEvT2_20rocsparse_direction_NS_24const_host_device_scalarIT0_EES1_PKS1_PKT1_SA_S7_PKT3_PKT4_S5_PT5_21rocsparse_index_base_b.private_seg_size, 0
	.set _ZN9rocsparseL20bsrxmvn_17_32_kernelILj21EdlidddEEvT2_20rocsparse_direction_NS_24const_host_device_scalarIT0_EES1_PKS1_PKT1_SA_S7_PKT3_PKT4_S5_PT5_21rocsparse_index_base_b.uses_vcc, 1
	.set _ZN9rocsparseL20bsrxmvn_17_32_kernelILj21EdlidddEEvT2_20rocsparse_direction_NS_24const_host_device_scalarIT0_EES1_PKS1_PKT1_SA_S7_PKT3_PKT4_S5_PT5_21rocsparse_index_base_b.uses_flat_scratch, 0
	.set _ZN9rocsparseL20bsrxmvn_17_32_kernelILj21EdlidddEEvT2_20rocsparse_direction_NS_24const_host_device_scalarIT0_EES1_PKS1_PKT1_SA_S7_PKT3_PKT4_S5_PT5_21rocsparse_index_base_b.has_dyn_sized_stack, 0
	.set _ZN9rocsparseL20bsrxmvn_17_32_kernelILj21EdlidddEEvT2_20rocsparse_direction_NS_24const_host_device_scalarIT0_EES1_PKS1_PKT1_SA_S7_PKT3_PKT4_S5_PT5_21rocsparse_index_base_b.has_recursion, 0
	.set _ZN9rocsparseL20bsrxmvn_17_32_kernelILj21EdlidddEEvT2_20rocsparse_direction_NS_24const_host_device_scalarIT0_EES1_PKS1_PKT1_SA_S7_PKT3_PKT4_S5_PT5_21rocsparse_index_base_b.has_indirect_call, 0
	.section	.AMDGPU.csdata,"",@progbits
; Kernel info:
; codeLenInByte = 1412
; TotalNumSgprs: 26
; NumVgprs: 22
; ScratchSize: 0
; MemoryBound: 0
; FloatMode: 240
; IeeeMode: 1
; LDSByteSize: 3528 bytes/workgroup (compile time only)
; SGPRBlocks: 8
; VGPRBlocks: 6
; NumSGPRsForWavesPerEU: 65
; NumVGPRsForWavesPerEU: 25
; Occupancy: 9
; WaveLimiterHint : 1
; COMPUTE_PGM_RSRC2:SCRATCH_EN: 0
; COMPUTE_PGM_RSRC2:USER_SGPR: 6
; COMPUTE_PGM_RSRC2:TRAP_HANDLER: 0
; COMPUTE_PGM_RSRC2:TGID_X_EN: 1
; COMPUTE_PGM_RSRC2:TGID_Y_EN: 0
; COMPUTE_PGM_RSRC2:TGID_Z_EN: 0
; COMPUTE_PGM_RSRC2:TIDIG_COMP_CNT: 0
	.section	.text._ZN9rocsparseL20bsrxmvn_17_32_kernelILj22EdlidddEEvT2_20rocsparse_direction_NS_24const_host_device_scalarIT0_EES1_PKS1_PKT1_SA_S7_PKT3_PKT4_S5_PT5_21rocsparse_index_base_b,"axG",@progbits,_ZN9rocsparseL20bsrxmvn_17_32_kernelILj22EdlidddEEvT2_20rocsparse_direction_NS_24const_host_device_scalarIT0_EES1_PKS1_PKT1_SA_S7_PKT3_PKT4_S5_PT5_21rocsparse_index_base_b,comdat
	.globl	_ZN9rocsparseL20bsrxmvn_17_32_kernelILj22EdlidddEEvT2_20rocsparse_direction_NS_24const_host_device_scalarIT0_EES1_PKS1_PKT1_SA_S7_PKT3_PKT4_S5_PT5_21rocsparse_index_base_b ; -- Begin function _ZN9rocsparseL20bsrxmvn_17_32_kernelILj22EdlidddEEvT2_20rocsparse_direction_NS_24const_host_device_scalarIT0_EES1_PKS1_PKT1_SA_S7_PKT3_PKT4_S5_PT5_21rocsparse_index_base_b
	.p2align	8
	.type	_ZN9rocsparseL20bsrxmvn_17_32_kernelILj22EdlidddEEvT2_20rocsparse_direction_NS_24const_host_device_scalarIT0_EES1_PKS1_PKT1_SA_S7_PKT3_PKT4_S5_PT5_21rocsparse_index_base_b,@function
_ZN9rocsparseL20bsrxmvn_17_32_kernelILj22EdlidddEEvT2_20rocsparse_direction_NS_24const_host_device_scalarIT0_EES1_PKS1_PKT1_SA_S7_PKT3_PKT4_S5_PT5_21rocsparse_index_base_b: ; @_ZN9rocsparseL20bsrxmvn_17_32_kernelILj22EdlidddEEvT2_20rocsparse_direction_NS_24const_host_device_scalarIT0_EES1_PKS1_PKT1_SA_S7_PKT3_PKT4_S5_PT5_21rocsparse_index_base_b
; %bb.0:
	s_load_dwordx2 s[10:11], s[4:5], 0x58
	s_load_dwordx2 s[8:9], s[4:5], 0x8
	;; [unrolled: 1-line block ×3, first 2 shown]
	s_waitcnt lgkmcnt(0)
	s_bitcmp1_b32 s11, 0
	s_cselect_b64 s[12:13], -1, 0
	v_mov_b32_e32 v3, s8
	s_xor_b64 s[2:3], s[12:13], -1
	s_and_b64 vcc, exec, s[12:13]
	v_mov_b32_e32 v4, s9
	s_cbranch_vccnz .LBB85_2
; %bb.1:
	v_mov_b32_e32 v1, s8
	v_mov_b32_e32 v2, s9
	flat_load_dwordx2 v[3:4], v[1:2]
.LBB85_2:
	v_mov_b32_e32 v2, s1
	s_andn2_b64 vcc, exec, s[2:3]
	v_mov_b32_e32 v1, s0
	s_cbranch_vccnz .LBB85_4
; %bb.3:
	v_mov_b32_e32 v2, s1
	v_mov_b32_e32 v1, s0
	flat_load_dwordx2 v[1:2], v[1:2]
.LBB85_4:
	s_waitcnt vmcnt(0) lgkmcnt(0)
	v_cmp_neq_f64_e32 vcc, 0, v[3:4]
	v_cmp_neq_f64_e64 s[0:1], 1.0, v[1:2]
	s_or_b64 s[0:1], vcc, s[0:1]
	s_and_saveexec_b64 s[2:3], s[0:1]
	s_cbranch_execz .LBB85_41
; %bb.5:
	s_load_dwordx4 s[0:3], s[4:5], 0x18
	s_load_dwordx2 s[14:15], s[4:5], 0x28
	s_waitcnt lgkmcnt(0)
	s_cmp_eq_u64 s[0:1], 0
	s_cbranch_scc1 .LBB85_7
; %bb.6:
	s_ashr_i32 s7, s6, 31
	s_lshl_b64 s[6:7], s[6:7], 2
	s_add_u32 s0, s0, s6
	s_addc_u32 s1, s1, s7
	s_load_dword s0, s[0:1], 0x0
	s_waitcnt lgkmcnt(0)
	s_sub_i32 s6, s0, s10
.LBB85_7:
	s_load_dword s7, s[4:5], 0x4
	s_load_dwordx2 s[8:9], s[4:5], 0x50
	v_mul_u32_u24_e32 v7, 0xba3, v0
	v_mov_b32_e32 v8, 22
	v_mul_lo_u16_sdwa v5, v7, v8 dst_sel:DWORD dst_unused:UNUSED_PAD src0_sel:WORD_1 src1_sel:DWORD
	s_waitcnt lgkmcnt(0)
	s_cmp_eq_u32 s7, 1
	s_cselect_b64 s[0:1], -1, 0
	s_cmp_lg_u32 s7, 1
	s_cselect_b64 s[12:13], -1, 0
	s_ashr_i32 s7, s6, 31
	s_lshl_b64 s[16:17], s[6:7], 3
	s_add_u32 s2, s2, s16
	s_addc_u32 s3, s3, s17
	s_add_u32 s7, s2, 8
	s_addc_u32 s11, s3, 0
	;; [unrolled: 2-line block ×3, first 2 shown]
	s_cmp_eq_u64 s[14:15], 0
	s_cselect_b32 s19, s11, s17
	s_cselect_b32 s18, s7, s16
	s_load_dwordx2 s[14:15], s[18:19], 0x0
	s_load_dwordx2 s[16:17], s[2:3], 0x0
	v_sub_u16_e32 v15, v0, v5
	v_lshlrev_b32_e32 v14, 3, v0
	s_waitcnt lgkmcnt(0)
	v_mov_b32_e32 v5, s14
	v_mov_b32_e32 v6, s15
	v_cmp_ge_i64_e32 vcc, s[16:17], v[5:6]
	v_mov_b32_e32 v5, 0
	v_mov_b32_e32 v6, 0
	s_cbranch_vccnz .LBB85_12
; %bb.8:
	v_mov_b32_e32 v5, 12
	s_load_dwordx4 s[20:23], s[4:5], 0x30
	s_load_dwordx2 s[2:3], s[4:5], 0x40
	s_sub_u32 s4, s14, s10
	v_mul_lo_u16_sdwa v5, v7, v5 dst_sel:DWORD dst_unused:UNUSED_PAD src0_sel:WORD_1 src1_sel:DWORD
	s_subb_u32 s5, s15, 0
	v_mul_lo_u16_sdwa v5, v5, v8 dst_sel:DWORD dst_unused:UNUSED_PAD src0_sel:BYTE_1 src1_sel:DWORD
	v_sub_u16_sdwa v5, v7, v5 dst_sel:DWORD dst_unused:UNUSED_PAD src0_sel:WORD_1 src1_sel:DWORD
	s_sub_u32 s14, s16, s10
	v_and_b32_e32 v5, 0xff, v5
	s_subb_u32 s15, s17, 0
	v_cndmask_b32_e64 v7, v15, v5, s[0:1]
	s_mul_i32 s0, s15, 0xf20
	s_mul_hi_u32 s1, s14, 0xf20
	s_add_i32 s1, s1, s0
	s_mul_i32 s0, s14, 0xf20
	s_waitcnt lgkmcnt(0)
	s_add_u32 s0, s22, s0
	s_addc_u32 s1, s23, s1
	v_mov_b32_e32 v5, s1
	v_add_co_u32_e32 v8, vcc, s0, v14
	s_movk_i32 s0, 0x10f
	v_addc_co_u32_e32 v9, vcc, 0, v5, vcc
	v_mul_u32_u24_sdwa v5, v0, s0 dst_sel:DWORD dst_unused:UNUSED_PAD src0_sel:WORD_0 src1_sel:DWORD
	v_lshrrev_b32_e32 v16, 17, v5
	v_mov_b32_e32 v5, s17
	v_add_co_u32_e32 v6, vcc, s16, v16
	v_addc_co_u32_e32 v10, vcc, 0, v5, vcc
	v_subrev_co_u32_e32 v5, vcc, s10, v6
	v_subbrev_co_u32_e32 v6, vcc, 0, v10, vcc
	v_lshlrev_b64 v[5:6], 2, v[5:6]
	v_mov_b32_e32 v11, s21
	v_add_co_u32_e32 v10, vcc, s20, v5
	v_addc_co_u32_e32 v11, vcc, v11, v6, vcc
	v_mov_b32_e32 v5, 0
	v_mov_b32_e32 v13, s5
	;; [unrolled: 1-line block ×4, first 2 shown]
	s_branch .LBB85_10
.LBB85_9:                               ;   in Loop: Header=BB85_10 Depth=1
	s_or_b64 exec, exec, s[0:1]
	s_add_u32 s14, s14, 1
	s_addc_u32 s15, s15, 0
	v_cmp_lt_i64_e32 vcc, s[14:15], v[12:13]
	v_add_co_u32_e64 v10, s[0:1], 4, v10
	v_addc_co_u32_e64 v11, s[0:1], 0, v11, s[0:1]
	s_cbranch_vccz .LBB85_12
.LBB85_10:                              ; =>This Inner Loop Header: Depth=1
	v_mov_b32_e32 v18, s15
	v_add_co_u32_e32 v17, vcc, s14, v16
	v_addc_co_u32_e32 v18, vcc, 0, v18, vcc
	v_cmp_gt_i64_e32 vcc, s[4:5], v[17:18]
	s_and_saveexec_b64 s[0:1], vcc
	s_cbranch_execz .LBB85_9
; %bb.11:                               ;   in Loop: Header=BB85_10 Depth=1
	global_load_dword v17, v[10:11], off
	v_mov_b32_e32 v21, s3
	global_load_dwordx2 v[19:20], v[8:9], off
	s_waitcnt vmcnt(1)
	v_subrev_u32_e32 v17, s10, v17
	v_mad_u64_u32 v[17:18], s[16:17], v17, 22, v[7:8]
	v_ashrrev_i32_e32 v18, 31, v17
	v_lshlrev_b64 v[17:18], 3, v[17:18]
	v_add_co_u32_e32 v17, vcc, s2, v17
	v_addc_co_u32_e32 v18, vcc, v21, v18, vcc
	global_load_dwordx2 v[17:18], v[17:18], off
	v_add_co_u32_e32 v8, vcc, 0xf20, v8
	v_addc_co_u32_e32 v9, vcc, 0, v9, vcc
	s_waitcnt vmcnt(0)
	v_fma_f64 v[5:6], v[19:20], v[17:18], v[5:6]
	s_branch .LBB85_9
.LBB85_12:
	s_and_b64 vcc, exec, s[12:13]
	ds_write_b64 v14, v[5:6]
	s_waitcnt lgkmcnt(0)
	s_barrier
	s_cbranch_vccz .LBB85_24
; %bb.13:
	v_cmp_gt_u16_e32 vcc, 6, v15
	s_and_saveexec_b64 s[0:1], vcc
	s_cbranch_execz .LBB85_15
; %bb.14:
	ds_read2_b64 v[7:10], v14 offset1:16
	s_waitcnt lgkmcnt(0)
	v_add_f64 v[7:8], v[9:10], v[7:8]
	ds_write_b64 v14, v[7:8]
.LBB85_15:
	s_or_b64 exec, exec, s[0:1]
	v_cmp_gt_u16_e32 vcc, 8, v15
	s_waitcnt lgkmcnt(0)
	s_barrier
	s_and_saveexec_b64 s[0:1], vcc
	s_cbranch_execz .LBB85_17
; %bb.16:
	ds_read2_b64 v[7:10], v14 offset1:8
	s_waitcnt lgkmcnt(0)
	v_add_f64 v[7:8], v[9:10], v[7:8]
	ds_write_b64 v14, v[7:8]
.LBB85_17:
	s_or_b64 exec, exec, s[0:1]
	v_cmp_gt_u16_e32 vcc, 4, v15
	s_waitcnt lgkmcnt(0)
	s_barrier
	;; [unrolled: 12-line block ×3, first 2 shown]
	s_and_saveexec_b64 s[0:1], vcc
	s_cbranch_execz .LBB85_21
; %bb.20:
	ds_read2_b64 v[7:10], v14 offset1:2
	s_waitcnt lgkmcnt(0)
	v_add_f64 v[7:8], v[9:10], v[7:8]
	ds_write_b64 v14, v[7:8]
.LBB85_21:
	s_or_b64 exec, exec, s[0:1]
	v_mov_b32_e32 v8, v6
	v_cmp_gt_u32_e32 vcc, 22, v0
	v_mov_b32_e32 v7, v5
	s_waitcnt lgkmcnt(0)
	s_barrier
	s_and_saveexec_b64 s[0:1], vcc
	s_cbranch_execz .LBB85_23
; %bb.22:
	s_movk_i32 s2, 0xa8
	v_mad_u32_u24 v7, v0, s2, v14
	ds_read_b128 v[7:10], v7
	s_waitcnt lgkmcnt(0)
	v_add_f64 v[7:8], v[7:8], v[9:10]
.LBB85_23:
	s_or_b64 exec, exec, s[0:1]
	s_branch .LBB85_36
.LBB85_24:
                                        ; implicit-def: $vgpr7_vgpr8
	s_cbranch_execz .LBB85_36
; %bb.25:
	s_movk_i32 s0, 0x84
	v_cmp_gt_u32_e32 vcc, s0, v0
	s_and_saveexec_b64 s[0:1], vcc
	s_cbranch_execz .LBB85_27
; %bb.26:
	ds_read_b64 v[7:8], v14 offset:2816
	ds_read_b64 v[9:10], v14
	s_waitcnt lgkmcnt(0)
	v_add_f64 v[7:8], v[7:8], v[9:10]
	ds_write_b64 v14, v[7:8]
.LBB85_27:
	s_or_b64 exec, exec, s[0:1]
	s_movk_i32 s0, 0xb0
	v_cmp_gt_u32_e32 vcc, s0, v0
	s_waitcnt lgkmcnt(0)
	s_barrier
	s_and_saveexec_b64 s[0:1], vcc
	s_cbranch_execz .LBB85_29
; %bb.28:
	ds_read2_b64 v[7:10], v14 offset1:176
	s_waitcnt lgkmcnt(0)
	v_add_f64 v[7:8], v[9:10], v[7:8]
	ds_write_b64 v14, v[7:8]
.LBB85_29:
	s_or_b64 exec, exec, s[0:1]
	s_movk_i32 s0, 0x58
	v_cmp_gt_u32_e32 vcc, s0, v0
	s_waitcnt lgkmcnt(0)
	s_barrier
	s_and_saveexec_b64 s[0:1], vcc
	s_cbranch_execz .LBB85_31
; %bb.30:
	ds_read2_b64 v[7:10], v14 offset1:88
	s_waitcnt lgkmcnt(0)
	v_add_f64 v[7:8], v[9:10], v[7:8]
	ds_write_b64 v14, v[7:8]
.LBB85_31:
	s_or_b64 exec, exec, s[0:1]
	v_cmp_gt_u32_e32 vcc, 44, v0
	s_waitcnt lgkmcnt(0)
	s_barrier
	s_and_saveexec_b64 s[0:1], vcc
	s_cbranch_execz .LBB85_33
; %bb.32:
	ds_read2_b64 v[7:10], v14 offset1:44
	s_waitcnt lgkmcnt(0)
	v_add_f64 v[7:8], v[9:10], v[7:8]
	ds_write_b64 v14, v[7:8]
.LBB85_33:
	s_or_b64 exec, exec, s[0:1]
	v_cmp_gt_u32_e32 vcc, 22, v0
	s_waitcnt lgkmcnt(0)
	s_and_saveexec_b64 s[0:1], vcc
	s_cbranch_execz .LBB85_35
; %bb.34:
	ds_read2_b64 v[5:8], v14 offset1:22
	s_waitcnt lgkmcnt(0)
	v_add_f64 v[5:6], v[5:6], v[7:8]
.LBB85_35:
	s_or_b64 exec, exec, s[0:1]
	v_mov_b32_e32 v8, v6
	v_mov_b32_e32 v7, v5
.LBB85_36:
	v_cmp_gt_u32_e32 vcc, 22, v0
	s_and_b64 exec, exec, vcc
	s_cbranch_execz .LBB85_41
; %bb.37:
	v_cmp_eq_f64_e32 vcc, 0, v[1:2]
	v_mul_f64 v[3:4], v[3:4], v[7:8]
	s_and_saveexec_b64 s[0:1], vcc
	s_xor_b64 s[0:1], exec, s[0:1]
	s_cbranch_execz .LBB85_39
; %bb.38:
	v_mad_u64_u32 v[0:1], s[2:3], s6, 22, v[0:1]
	v_mov_b32_e32 v1, 0
	v_mov_b32_e32 v2, s9
	v_lshlrev_b64 v[0:1], 3, v[0:1]
	v_add_co_u32_e32 v0, vcc, s8, v0
	v_addc_co_u32_e32 v1, vcc, v2, v1, vcc
	global_store_dwordx2 v[0:1], v[3:4], off
                                        ; implicit-def: $vgpr0
                                        ; implicit-def: $vgpr1_vgpr2
                                        ; implicit-def: $vgpr3_vgpr4
.LBB85_39:
	s_andn2_saveexec_b64 s[0:1], s[0:1]
	s_cbranch_execz .LBB85_41
; %bb.40:
	v_mad_u64_u32 v[5:6], s[0:1], s6, 22, v[0:1]
	v_mov_b32_e32 v6, 0
	v_mov_b32_e32 v0, s9
	v_lshlrev_b64 v[5:6], 3, v[5:6]
	v_add_co_u32_e32 v5, vcc, s8, v5
	v_addc_co_u32_e32 v6, vcc, v0, v6, vcc
	global_load_dwordx2 v[7:8], v[5:6], off
	s_waitcnt vmcnt(0)
	v_fma_f64 v[0:1], v[1:2], v[7:8], v[3:4]
	global_store_dwordx2 v[5:6], v[0:1], off
.LBB85_41:
	s_endpgm
	.section	.rodata,"a",@progbits
	.p2align	6, 0x0
	.amdhsa_kernel _ZN9rocsparseL20bsrxmvn_17_32_kernelILj22EdlidddEEvT2_20rocsparse_direction_NS_24const_host_device_scalarIT0_EES1_PKS1_PKT1_SA_S7_PKT3_PKT4_S5_PT5_21rocsparse_index_base_b
		.amdhsa_group_segment_fixed_size 3872
		.amdhsa_private_segment_fixed_size 0
		.amdhsa_kernarg_size 96
		.amdhsa_user_sgpr_count 6
		.amdhsa_user_sgpr_private_segment_buffer 1
		.amdhsa_user_sgpr_dispatch_ptr 0
		.amdhsa_user_sgpr_queue_ptr 0
		.amdhsa_user_sgpr_kernarg_segment_ptr 1
		.amdhsa_user_sgpr_dispatch_id 0
		.amdhsa_user_sgpr_flat_scratch_init 0
		.amdhsa_user_sgpr_private_segment_size 0
		.amdhsa_uses_dynamic_stack 0
		.amdhsa_system_sgpr_private_segment_wavefront_offset 0
		.amdhsa_system_sgpr_workgroup_id_x 1
		.amdhsa_system_sgpr_workgroup_id_y 0
		.amdhsa_system_sgpr_workgroup_id_z 0
		.amdhsa_system_sgpr_workgroup_info 0
		.amdhsa_system_vgpr_workitem_id 0
		.amdhsa_next_free_vgpr 22
		.amdhsa_next_free_sgpr 24
		.amdhsa_reserve_vcc 1
		.amdhsa_reserve_flat_scratch 0
		.amdhsa_float_round_mode_32 0
		.amdhsa_float_round_mode_16_64 0
		.amdhsa_float_denorm_mode_32 3
		.amdhsa_float_denorm_mode_16_64 3
		.amdhsa_dx10_clamp 1
		.amdhsa_ieee_mode 1
		.amdhsa_fp16_overflow 0
		.amdhsa_exception_fp_ieee_invalid_op 0
		.amdhsa_exception_fp_denorm_src 0
		.amdhsa_exception_fp_ieee_div_zero 0
		.amdhsa_exception_fp_ieee_overflow 0
		.amdhsa_exception_fp_ieee_underflow 0
		.amdhsa_exception_fp_ieee_inexact 0
		.amdhsa_exception_int_div_zero 0
	.end_amdhsa_kernel
	.section	.text._ZN9rocsparseL20bsrxmvn_17_32_kernelILj22EdlidddEEvT2_20rocsparse_direction_NS_24const_host_device_scalarIT0_EES1_PKS1_PKT1_SA_S7_PKT3_PKT4_S5_PT5_21rocsparse_index_base_b,"axG",@progbits,_ZN9rocsparseL20bsrxmvn_17_32_kernelILj22EdlidddEEvT2_20rocsparse_direction_NS_24const_host_device_scalarIT0_EES1_PKS1_PKT1_SA_S7_PKT3_PKT4_S5_PT5_21rocsparse_index_base_b,comdat
.Lfunc_end85:
	.size	_ZN9rocsparseL20bsrxmvn_17_32_kernelILj22EdlidddEEvT2_20rocsparse_direction_NS_24const_host_device_scalarIT0_EES1_PKS1_PKT1_SA_S7_PKT3_PKT4_S5_PT5_21rocsparse_index_base_b, .Lfunc_end85-_ZN9rocsparseL20bsrxmvn_17_32_kernelILj22EdlidddEEvT2_20rocsparse_direction_NS_24const_host_device_scalarIT0_EES1_PKS1_PKT1_SA_S7_PKT3_PKT4_S5_PT5_21rocsparse_index_base_b
                                        ; -- End function
	.set _ZN9rocsparseL20bsrxmvn_17_32_kernelILj22EdlidddEEvT2_20rocsparse_direction_NS_24const_host_device_scalarIT0_EES1_PKS1_PKT1_SA_S7_PKT3_PKT4_S5_PT5_21rocsparse_index_base_b.num_vgpr, 22
	.set _ZN9rocsparseL20bsrxmvn_17_32_kernelILj22EdlidddEEvT2_20rocsparse_direction_NS_24const_host_device_scalarIT0_EES1_PKS1_PKT1_SA_S7_PKT3_PKT4_S5_PT5_21rocsparse_index_base_b.num_agpr, 0
	.set _ZN9rocsparseL20bsrxmvn_17_32_kernelILj22EdlidddEEvT2_20rocsparse_direction_NS_24const_host_device_scalarIT0_EES1_PKS1_PKT1_SA_S7_PKT3_PKT4_S5_PT5_21rocsparse_index_base_b.numbered_sgpr, 24
	.set _ZN9rocsparseL20bsrxmvn_17_32_kernelILj22EdlidddEEvT2_20rocsparse_direction_NS_24const_host_device_scalarIT0_EES1_PKS1_PKT1_SA_S7_PKT3_PKT4_S5_PT5_21rocsparse_index_base_b.num_named_barrier, 0
	.set _ZN9rocsparseL20bsrxmvn_17_32_kernelILj22EdlidddEEvT2_20rocsparse_direction_NS_24const_host_device_scalarIT0_EES1_PKS1_PKT1_SA_S7_PKT3_PKT4_S5_PT5_21rocsparse_index_base_b.private_seg_size, 0
	.set _ZN9rocsparseL20bsrxmvn_17_32_kernelILj22EdlidddEEvT2_20rocsparse_direction_NS_24const_host_device_scalarIT0_EES1_PKS1_PKT1_SA_S7_PKT3_PKT4_S5_PT5_21rocsparse_index_base_b.uses_vcc, 1
	.set _ZN9rocsparseL20bsrxmvn_17_32_kernelILj22EdlidddEEvT2_20rocsparse_direction_NS_24const_host_device_scalarIT0_EES1_PKS1_PKT1_SA_S7_PKT3_PKT4_S5_PT5_21rocsparse_index_base_b.uses_flat_scratch, 0
	.set _ZN9rocsparseL20bsrxmvn_17_32_kernelILj22EdlidddEEvT2_20rocsparse_direction_NS_24const_host_device_scalarIT0_EES1_PKS1_PKT1_SA_S7_PKT3_PKT4_S5_PT5_21rocsparse_index_base_b.has_dyn_sized_stack, 0
	.set _ZN9rocsparseL20bsrxmvn_17_32_kernelILj22EdlidddEEvT2_20rocsparse_direction_NS_24const_host_device_scalarIT0_EES1_PKS1_PKT1_SA_S7_PKT3_PKT4_S5_PT5_21rocsparse_index_base_b.has_recursion, 0
	.set _ZN9rocsparseL20bsrxmvn_17_32_kernelILj22EdlidddEEvT2_20rocsparse_direction_NS_24const_host_device_scalarIT0_EES1_PKS1_PKT1_SA_S7_PKT3_PKT4_S5_PT5_21rocsparse_index_base_b.has_indirect_call, 0
	.section	.AMDGPU.csdata,"",@progbits
; Kernel info:
; codeLenInByte = 1412
; TotalNumSgprs: 28
; NumVgprs: 22
; ScratchSize: 0
; MemoryBound: 0
; FloatMode: 240
; IeeeMode: 1
; LDSByteSize: 3872 bytes/workgroup (compile time only)
; SGPRBlocks: 3
; VGPRBlocks: 5
; NumSGPRsForWavesPerEU: 28
; NumVGPRsForWavesPerEU: 22
; Occupancy: 10
; WaveLimiterHint : 1
; COMPUTE_PGM_RSRC2:SCRATCH_EN: 0
; COMPUTE_PGM_RSRC2:USER_SGPR: 6
; COMPUTE_PGM_RSRC2:TRAP_HANDLER: 0
; COMPUTE_PGM_RSRC2:TGID_X_EN: 1
; COMPUTE_PGM_RSRC2:TGID_Y_EN: 0
; COMPUTE_PGM_RSRC2:TGID_Z_EN: 0
; COMPUTE_PGM_RSRC2:TIDIG_COMP_CNT: 0
	.section	.text._ZN9rocsparseL20bsrxmvn_17_32_kernelILj23EdlidddEEvT2_20rocsparse_direction_NS_24const_host_device_scalarIT0_EES1_PKS1_PKT1_SA_S7_PKT3_PKT4_S5_PT5_21rocsparse_index_base_b,"axG",@progbits,_ZN9rocsparseL20bsrxmvn_17_32_kernelILj23EdlidddEEvT2_20rocsparse_direction_NS_24const_host_device_scalarIT0_EES1_PKS1_PKT1_SA_S7_PKT3_PKT4_S5_PT5_21rocsparse_index_base_b,comdat
	.globl	_ZN9rocsparseL20bsrxmvn_17_32_kernelILj23EdlidddEEvT2_20rocsparse_direction_NS_24const_host_device_scalarIT0_EES1_PKS1_PKT1_SA_S7_PKT3_PKT4_S5_PT5_21rocsparse_index_base_b ; -- Begin function _ZN9rocsparseL20bsrxmvn_17_32_kernelILj23EdlidddEEvT2_20rocsparse_direction_NS_24const_host_device_scalarIT0_EES1_PKS1_PKT1_SA_S7_PKT3_PKT4_S5_PT5_21rocsparse_index_base_b
	.p2align	8
	.type	_ZN9rocsparseL20bsrxmvn_17_32_kernelILj23EdlidddEEvT2_20rocsparse_direction_NS_24const_host_device_scalarIT0_EES1_PKS1_PKT1_SA_S7_PKT3_PKT4_S5_PT5_21rocsparse_index_base_b,@function
_ZN9rocsparseL20bsrxmvn_17_32_kernelILj23EdlidddEEvT2_20rocsparse_direction_NS_24const_host_device_scalarIT0_EES1_PKS1_PKT1_SA_S7_PKT3_PKT4_S5_PT5_21rocsparse_index_base_b: ; @_ZN9rocsparseL20bsrxmvn_17_32_kernelILj23EdlidddEEvT2_20rocsparse_direction_NS_24const_host_device_scalarIT0_EES1_PKS1_PKT1_SA_S7_PKT3_PKT4_S5_PT5_21rocsparse_index_base_b
; %bb.0:
	s_load_dwordx2 s[14:15], s[4:5], 0x58
	s_load_dwordx2 s[8:9], s[4:5], 0x8
	s_load_dwordx2 s[0:1], s[4:5], 0x48
	s_waitcnt lgkmcnt(0)
	s_bitcmp1_b32 s15, 0
	s_cselect_b64 s[10:11], -1, 0
	v_mov_b32_e32 v3, s8
	s_xor_b64 s[2:3], s[10:11], -1
	s_and_b64 vcc, exec, s[10:11]
	v_mov_b32_e32 v4, s9
	s_cbranch_vccnz .LBB86_2
; %bb.1:
	v_mov_b32_e32 v1, s8
	v_mov_b32_e32 v2, s9
	flat_load_dwordx2 v[3:4], v[1:2]
.LBB86_2:
	v_mov_b32_e32 v2, s1
	s_andn2_b64 vcc, exec, s[2:3]
	v_mov_b32_e32 v1, s0
	s_cbranch_vccnz .LBB86_4
; %bb.3:
	v_mov_b32_e32 v2, s1
	v_mov_b32_e32 v1, s0
	flat_load_dwordx2 v[1:2], v[1:2]
.LBB86_4:
	s_waitcnt vmcnt(0) lgkmcnt(0)
	v_cmp_neq_f64_e32 vcc, 0, v[3:4]
	v_cmp_neq_f64_e64 s[0:1], 1.0, v[1:2]
	s_or_b64 s[0:1], vcc, s[0:1]
	s_and_saveexec_b64 s[2:3], s[0:1]
	s_cbranch_execz .LBB86_41
; %bb.5:
	s_load_dwordx4 s[0:3], s[4:5], 0x18
	s_load_dwordx2 s[8:9], s[4:5], 0x28
	s_waitcnt lgkmcnt(0)
	s_cmp_eq_u64 s[0:1], 0
	s_cbranch_scc1 .LBB86_7
; %bb.6:
	s_ashr_i32 s7, s6, 31
	s_lshl_b64 s[6:7], s[6:7], 2
	s_add_u32 s0, s0, s6
	s_addc_u32 s1, s1, s7
	s_load_dword s0, s[0:1], 0x0
	s_waitcnt lgkmcnt(0)
	s_sub_i32 s6, s0, s14
.LBB86_7:
	s_load_dword s7, s[4:5], 0x4
	s_load_dwordx2 s[12:13], s[4:5], 0x50
	v_mul_u32_u24_e32 v7, 0xb22, v0
	v_mov_b32_e32 v5, 23
	v_mul_lo_u16_sdwa v5, v7, v5 dst_sel:DWORD dst_unused:UNUSED_PAD src0_sel:WORD_1 src1_sel:DWORD
	s_waitcnt lgkmcnt(0)
	s_cmp_eq_u32 s7, 1
	s_cselect_b64 s[0:1], -1, 0
	s_cmp_lg_u32 s7, 1
	s_cselect_b64 s[16:17], -1, 0
	s_ashr_i32 s7, s6, 31
	s_lshl_b64 s[10:11], s[6:7], 3
	s_add_u32 s2, s2, s10
	s_addc_u32 s3, s3, s11
	s_add_u32 s7, s2, 8
	s_addc_u32 s15, s3, 0
	;; [unrolled: 2-line block ×3, first 2 shown]
	s_cmp_eq_u64 s[8:9], 0
	s_cselect_b32 s9, s15, s11
	s_cselect_b32 s8, s7, s10
	s_load_dwordx2 s[18:19], s[8:9], 0x0
	s_load_dwordx2 s[20:21], s[2:3], 0x0
	v_sub_u16_e32 v15, v0, v5
	v_lshlrev_b32_e32 v14, 3, v0
	s_waitcnt lgkmcnt(0)
	v_mov_b32_e32 v5, s18
	v_mov_b32_e32 v6, s19
	v_cmp_ge_i64_e32 vcc, s[20:21], v[5:6]
	v_mov_b32_e32 v5, 0
	v_mov_b32_e32 v6, 0
	s_cbranch_vccnz .LBB86_12
; %bb.8:
	s_load_dwordx4 s[8:11], s[4:5], 0x30
	s_load_dwordx2 s[2:3], s[4:5], 0x40
	s_sub_u32 s4, s18, s14
	s_mov_b32 s7, 0xffff
	s_subb_u32 s5, s19, 0
	s_movk_i32 s15, 0x211
	v_and_b32_sdwa v5, s7, v7 dst_sel:DWORD dst_unused:UNUSED_PAD src0_sel:DWORD src1_sel:WORD_1
	v_subrev_u32_e32 v6, 23, v5
	v_cmp_gt_u32_e32 vcc, s15, v0
	s_sub_u32 s18, s20, s14
	v_cndmask_b32_e32 v5, v6, v5, vcc
	s_subb_u32 s19, s21, 0
	v_cndmask_b32_e64 v7, v15, v5, s[0:1]
	s_mul_i32 s0, s19, 0x1088
	s_mul_hi_u32 s1, s18, 0x1088
	s_add_i32 s1, s1, s0
	s_mul_i32 s0, s18, 0x1088
	s_waitcnt lgkmcnt(0)
	s_add_u32 s0, s10, s0
	s_addc_u32 s1, s11, s1
	v_mov_b32_e32 v5, s1
	v_add_co_u32_e32 v8, vcc, s0, v14
	v_addc_co_u32_e32 v9, vcc, 0, v5, vcc
	s_movk_i32 s0, 0x210
	v_cmp_lt_u32_e32 vcc, s0, v0
	v_cndmask_b32_e64 v16, 0, 1, vcc
	v_mov_b32_e32 v5, s21
	v_add_co_u32_e32 v6, vcc, s20, v16
	v_addc_co_u32_e32 v10, vcc, 0, v5, vcc
	v_subrev_co_u32_e32 v5, vcc, s14, v6
	v_subbrev_co_u32_e32 v6, vcc, 0, v10, vcc
	v_lshlrev_b64 v[5:6], 2, v[5:6]
	v_mov_b32_e32 v11, s9
	v_add_co_u32_e32 v10, vcc, s8, v5
	v_addc_co_u32_e32 v11, vcc, v11, v6, vcc
	v_mov_b32_e32 v5, 0
	v_mov_b32_e32 v13, s5
	;; [unrolled: 1-line block ×4, first 2 shown]
	s_branch .LBB86_10
.LBB86_9:                               ;   in Loop: Header=BB86_10 Depth=1
	s_or_b64 exec, exec, s[0:1]
	s_add_u32 s18, s18, 1
	s_addc_u32 s19, s19, 0
	v_cmp_lt_i64_e32 vcc, s[18:19], v[12:13]
	v_add_co_u32_e64 v10, s[0:1], 4, v10
	v_addc_co_u32_e64 v11, s[0:1], 0, v11, s[0:1]
	s_cbranch_vccz .LBB86_12
.LBB86_10:                              ; =>This Inner Loop Header: Depth=1
	v_mov_b32_e32 v18, s19
	v_add_co_u32_e32 v17, vcc, s18, v16
	v_addc_co_u32_e32 v18, vcc, 0, v18, vcc
	v_cmp_gt_i64_e32 vcc, s[4:5], v[17:18]
	s_and_saveexec_b64 s[0:1], vcc
	s_cbranch_execz .LBB86_9
; %bb.11:                               ;   in Loop: Header=BB86_10 Depth=1
	global_load_dword v17, v[10:11], off
	v_mov_b32_e32 v21, s3
	global_load_dwordx2 v[19:20], v[8:9], off
	s_waitcnt vmcnt(1)
	v_subrev_u32_e32 v17, s14, v17
	v_mad_u64_u32 v[17:18], s[8:9], v17, 23, v[7:8]
	v_ashrrev_i32_e32 v18, 31, v17
	v_lshlrev_b64 v[17:18], 3, v[17:18]
	v_add_co_u32_e32 v17, vcc, s2, v17
	v_addc_co_u32_e32 v18, vcc, v21, v18, vcc
	global_load_dwordx2 v[17:18], v[17:18], off
	v_add_co_u32_e32 v8, vcc, 0x1088, v8
	v_addc_co_u32_e32 v9, vcc, 0, v9, vcc
	s_waitcnt vmcnt(0)
	v_fma_f64 v[5:6], v[19:20], v[17:18], v[5:6]
	s_branch .LBB86_9
.LBB86_12:
	s_and_b64 vcc, exec, s[16:17]
	ds_write_b64 v14, v[5:6]
	s_waitcnt lgkmcnt(0)
	s_barrier
	s_cbranch_vccz .LBB86_24
; %bb.13:
	v_cmp_gt_u16_e32 vcc, 7, v15
	s_and_saveexec_b64 s[0:1], vcc
	s_cbranch_execz .LBB86_15
; %bb.14:
	ds_read2_b64 v[7:10], v14 offset1:16
	s_waitcnt lgkmcnt(0)
	v_add_f64 v[7:8], v[9:10], v[7:8]
	ds_write_b64 v14, v[7:8]
.LBB86_15:
	s_or_b64 exec, exec, s[0:1]
	v_cmp_gt_u16_e32 vcc, 8, v15
	s_waitcnt lgkmcnt(0)
	s_barrier
	s_and_saveexec_b64 s[0:1], vcc
	s_cbranch_execz .LBB86_17
; %bb.16:
	ds_read2_b64 v[7:10], v14 offset1:8
	s_waitcnt lgkmcnt(0)
	v_add_f64 v[7:8], v[9:10], v[7:8]
	ds_write_b64 v14, v[7:8]
.LBB86_17:
	s_or_b64 exec, exec, s[0:1]
	v_cmp_gt_u16_e32 vcc, 4, v15
	s_waitcnt lgkmcnt(0)
	s_barrier
	;; [unrolled: 12-line block ×3, first 2 shown]
	s_and_saveexec_b64 s[0:1], vcc
	s_cbranch_execz .LBB86_21
; %bb.20:
	ds_read2_b64 v[7:10], v14 offset1:2
	s_waitcnt lgkmcnt(0)
	v_add_f64 v[7:8], v[9:10], v[7:8]
	ds_write_b64 v14, v[7:8]
.LBB86_21:
	s_or_b64 exec, exec, s[0:1]
	v_mov_b32_e32 v8, v6
	v_cmp_gt_u32_e32 vcc, 23, v0
	v_mov_b32_e32 v7, v5
	s_waitcnt lgkmcnt(0)
	s_barrier
	s_and_saveexec_b64 s[0:1], vcc
	s_cbranch_execz .LBB86_23
; %bb.22:
	s_movk_i32 s2, 0xb0
	v_mad_u32_u24 v7, v0, s2, v14
	ds_read2_b64 v[7:10], v7 offset1:1
	s_waitcnt lgkmcnt(0)
	v_add_f64 v[7:8], v[7:8], v[9:10]
.LBB86_23:
	s_or_b64 exec, exec, s[0:1]
	s_branch .LBB86_36
.LBB86_24:
                                        ; implicit-def: $vgpr7_vgpr8
	s_cbranch_execz .LBB86_36
; %bb.25:
	s_movk_i32 s0, 0xa1
	v_cmp_gt_u32_e32 vcc, s0, v0
	s_and_saveexec_b64 s[0:1], vcc
	s_cbranch_execz .LBB86_27
; %bb.26:
	ds_read_b64 v[7:8], v14 offset:2944
	ds_read_b64 v[9:10], v14
	s_waitcnt lgkmcnt(0)
	v_add_f64 v[7:8], v[7:8], v[9:10]
	ds_write_b64 v14, v[7:8]
.LBB86_27:
	s_or_b64 exec, exec, s[0:1]
	s_movk_i32 s0, 0xb8
	v_cmp_gt_u32_e32 vcc, s0, v0
	s_waitcnt lgkmcnt(0)
	s_barrier
	s_and_saveexec_b64 s[0:1], vcc
	s_cbranch_execz .LBB86_29
; %bb.28:
	ds_read2_b64 v[7:10], v14 offset1:184
	s_waitcnt lgkmcnt(0)
	v_add_f64 v[7:8], v[9:10], v[7:8]
	ds_write_b64 v14, v[7:8]
.LBB86_29:
	s_or_b64 exec, exec, s[0:1]
	s_movk_i32 s0, 0x5c
	v_cmp_gt_u32_e32 vcc, s0, v0
	s_waitcnt lgkmcnt(0)
	s_barrier
	s_and_saveexec_b64 s[0:1], vcc
	s_cbranch_execz .LBB86_31
; %bb.30:
	ds_read2_b64 v[7:10], v14 offset1:92
	s_waitcnt lgkmcnt(0)
	v_add_f64 v[7:8], v[9:10], v[7:8]
	ds_write_b64 v14, v[7:8]
.LBB86_31:
	s_or_b64 exec, exec, s[0:1]
	v_cmp_gt_u32_e32 vcc, 46, v0
	s_waitcnt lgkmcnt(0)
	s_barrier
	s_and_saveexec_b64 s[0:1], vcc
	s_cbranch_execz .LBB86_33
; %bb.32:
	ds_read2_b64 v[7:10], v14 offset1:46
	s_waitcnt lgkmcnt(0)
	v_add_f64 v[7:8], v[9:10], v[7:8]
	ds_write_b64 v14, v[7:8]
.LBB86_33:
	s_or_b64 exec, exec, s[0:1]
	v_cmp_gt_u32_e32 vcc, 23, v0
	s_waitcnt lgkmcnt(0)
	s_and_saveexec_b64 s[0:1], vcc
	s_cbranch_execz .LBB86_35
; %bb.34:
	ds_read2_b64 v[5:8], v14 offset1:23
	s_waitcnt lgkmcnt(0)
	v_add_f64 v[5:6], v[5:6], v[7:8]
.LBB86_35:
	s_or_b64 exec, exec, s[0:1]
	v_mov_b32_e32 v8, v6
	v_mov_b32_e32 v7, v5
.LBB86_36:
	v_cmp_gt_u32_e32 vcc, 23, v0
	s_and_b64 exec, exec, vcc
	s_cbranch_execz .LBB86_41
; %bb.37:
	v_cmp_eq_f64_e32 vcc, 0, v[1:2]
	v_mul_f64 v[3:4], v[3:4], v[7:8]
	s_and_saveexec_b64 s[0:1], vcc
	s_xor_b64 s[0:1], exec, s[0:1]
	s_cbranch_execz .LBB86_39
; %bb.38:
	v_mad_u64_u32 v[0:1], s[2:3], s6, 23, v[0:1]
	v_mov_b32_e32 v1, 0
	v_mov_b32_e32 v2, s13
	v_lshlrev_b64 v[0:1], 3, v[0:1]
	v_add_co_u32_e32 v0, vcc, s12, v0
	v_addc_co_u32_e32 v1, vcc, v2, v1, vcc
	global_store_dwordx2 v[0:1], v[3:4], off
                                        ; implicit-def: $vgpr0
                                        ; implicit-def: $vgpr1_vgpr2
                                        ; implicit-def: $vgpr3_vgpr4
.LBB86_39:
	s_andn2_saveexec_b64 s[0:1], s[0:1]
	s_cbranch_execz .LBB86_41
; %bb.40:
	v_mad_u64_u32 v[5:6], s[0:1], s6, 23, v[0:1]
	v_mov_b32_e32 v6, 0
	v_mov_b32_e32 v0, s13
	v_lshlrev_b64 v[5:6], 3, v[5:6]
	v_add_co_u32_e32 v5, vcc, s12, v5
	v_addc_co_u32_e32 v6, vcc, v0, v6, vcc
	global_load_dwordx2 v[7:8], v[5:6], off
	s_waitcnt vmcnt(0)
	v_fma_f64 v[0:1], v[1:2], v[7:8], v[3:4]
	global_store_dwordx2 v[5:6], v[0:1], off
.LBB86_41:
	s_endpgm
	.section	.rodata,"a",@progbits
	.p2align	6, 0x0
	.amdhsa_kernel _ZN9rocsparseL20bsrxmvn_17_32_kernelILj23EdlidddEEvT2_20rocsparse_direction_NS_24const_host_device_scalarIT0_EES1_PKS1_PKT1_SA_S7_PKT3_PKT4_S5_PT5_21rocsparse_index_base_b
		.amdhsa_group_segment_fixed_size 4232
		.amdhsa_private_segment_fixed_size 0
		.amdhsa_kernarg_size 96
		.amdhsa_user_sgpr_count 6
		.amdhsa_user_sgpr_private_segment_buffer 1
		.amdhsa_user_sgpr_dispatch_ptr 0
		.amdhsa_user_sgpr_queue_ptr 0
		.amdhsa_user_sgpr_kernarg_segment_ptr 1
		.amdhsa_user_sgpr_dispatch_id 0
		.amdhsa_user_sgpr_flat_scratch_init 0
		.amdhsa_user_sgpr_private_segment_size 0
		.amdhsa_uses_dynamic_stack 0
		.amdhsa_system_sgpr_private_segment_wavefront_offset 0
		.amdhsa_system_sgpr_workgroup_id_x 1
		.amdhsa_system_sgpr_workgroup_id_y 0
		.amdhsa_system_sgpr_workgroup_id_z 0
		.amdhsa_system_sgpr_workgroup_info 0
		.amdhsa_system_vgpr_workitem_id 0
		.amdhsa_next_free_vgpr 25
		.amdhsa_next_free_sgpr 61
		.amdhsa_reserve_vcc 1
		.amdhsa_reserve_flat_scratch 0
		.amdhsa_float_round_mode_32 0
		.amdhsa_float_round_mode_16_64 0
		.amdhsa_float_denorm_mode_32 3
		.amdhsa_float_denorm_mode_16_64 3
		.amdhsa_dx10_clamp 1
		.amdhsa_ieee_mode 1
		.amdhsa_fp16_overflow 0
		.amdhsa_exception_fp_ieee_invalid_op 0
		.amdhsa_exception_fp_denorm_src 0
		.amdhsa_exception_fp_ieee_div_zero 0
		.amdhsa_exception_fp_ieee_overflow 0
		.amdhsa_exception_fp_ieee_underflow 0
		.amdhsa_exception_fp_ieee_inexact 0
		.amdhsa_exception_int_div_zero 0
	.end_amdhsa_kernel
	.section	.text._ZN9rocsparseL20bsrxmvn_17_32_kernelILj23EdlidddEEvT2_20rocsparse_direction_NS_24const_host_device_scalarIT0_EES1_PKS1_PKT1_SA_S7_PKT3_PKT4_S5_PT5_21rocsparse_index_base_b,"axG",@progbits,_ZN9rocsparseL20bsrxmvn_17_32_kernelILj23EdlidddEEvT2_20rocsparse_direction_NS_24const_host_device_scalarIT0_EES1_PKS1_PKT1_SA_S7_PKT3_PKT4_S5_PT5_21rocsparse_index_base_b,comdat
.Lfunc_end86:
	.size	_ZN9rocsparseL20bsrxmvn_17_32_kernelILj23EdlidddEEvT2_20rocsparse_direction_NS_24const_host_device_scalarIT0_EES1_PKS1_PKT1_SA_S7_PKT3_PKT4_S5_PT5_21rocsparse_index_base_b, .Lfunc_end86-_ZN9rocsparseL20bsrxmvn_17_32_kernelILj23EdlidddEEvT2_20rocsparse_direction_NS_24const_host_device_scalarIT0_EES1_PKS1_PKT1_SA_S7_PKT3_PKT4_S5_PT5_21rocsparse_index_base_b
                                        ; -- End function
	.set _ZN9rocsparseL20bsrxmvn_17_32_kernelILj23EdlidddEEvT2_20rocsparse_direction_NS_24const_host_device_scalarIT0_EES1_PKS1_PKT1_SA_S7_PKT3_PKT4_S5_PT5_21rocsparse_index_base_b.num_vgpr, 22
	.set _ZN9rocsparseL20bsrxmvn_17_32_kernelILj23EdlidddEEvT2_20rocsparse_direction_NS_24const_host_device_scalarIT0_EES1_PKS1_PKT1_SA_S7_PKT3_PKT4_S5_PT5_21rocsparse_index_base_b.num_agpr, 0
	.set _ZN9rocsparseL20bsrxmvn_17_32_kernelILj23EdlidddEEvT2_20rocsparse_direction_NS_24const_host_device_scalarIT0_EES1_PKS1_PKT1_SA_S7_PKT3_PKT4_S5_PT5_21rocsparse_index_base_b.numbered_sgpr, 22
	.set _ZN9rocsparseL20bsrxmvn_17_32_kernelILj23EdlidddEEvT2_20rocsparse_direction_NS_24const_host_device_scalarIT0_EES1_PKS1_PKT1_SA_S7_PKT3_PKT4_S5_PT5_21rocsparse_index_base_b.num_named_barrier, 0
	.set _ZN9rocsparseL20bsrxmvn_17_32_kernelILj23EdlidddEEvT2_20rocsparse_direction_NS_24const_host_device_scalarIT0_EES1_PKS1_PKT1_SA_S7_PKT3_PKT4_S5_PT5_21rocsparse_index_base_b.private_seg_size, 0
	.set _ZN9rocsparseL20bsrxmvn_17_32_kernelILj23EdlidddEEvT2_20rocsparse_direction_NS_24const_host_device_scalarIT0_EES1_PKS1_PKT1_SA_S7_PKT3_PKT4_S5_PT5_21rocsparse_index_base_b.uses_vcc, 1
	.set _ZN9rocsparseL20bsrxmvn_17_32_kernelILj23EdlidddEEvT2_20rocsparse_direction_NS_24const_host_device_scalarIT0_EES1_PKS1_PKT1_SA_S7_PKT3_PKT4_S5_PT5_21rocsparse_index_base_b.uses_flat_scratch, 0
	.set _ZN9rocsparseL20bsrxmvn_17_32_kernelILj23EdlidddEEvT2_20rocsparse_direction_NS_24const_host_device_scalarIT0_EES1_PKS1_PKT1_SA_S7_PKT3_PKT4_S5_PT5_21rocsparse_index_base_b.has_dyn_sized_stack, 0
	.set _ZN9rocsparseL20bsrxmvn_17_32_kernelILj23EdlidddEEvT2_20rocsparse_direction_NS_24const_host_device_scalarIT0_EES1_PKS1_PKT1_SA_S7_PKT3_PKT4_S5_PT5_21rocsparse_index_base_b.has_recursion, 0
	.set _ZN9rocsparseL20bsrxmvn_17_32_kernelILj23EdlidddEEvT2_20rocsparse_direction_NS_24const_host_device_scalarIT0_EES1_PKS1_PKT1_SA_S7_PKT3_PKT4_S5_PT5_21rocsparse_index_base_b.has_indirect_call, 0
	.section	.AMDGPU.csdata,"",@progbits
; Kernel info:
; codeLenInByte = 1408
; TotalNumSgprs: 26
; NumVgprs: 22
; ScratchSize: 0
; MemoryBound: 0
; FloatMode: 240
; IeeeMode: 1
; LDSByteSize: 4232 bytes/workgroup (compile time only)
; SGPRBlocks: 8
; VGPRBlocks: 6
; NumSGPRsForWavesPerEU: 65
; NumVGPRsForWavesPerEU: 25
; Occupancy: 9
; WaveLimiterHint : 1
; COMPUTE_PGM_RSRC2:SCRATCH_EN: 0
; COMPUTE_PGM_RSRC2:USER_SGPR: 6
; COMPUTE_PGM_RSRC2:TRAP_HANDLER: 0
; COMPUTE_PGM_RSRC2:TGID_X_EN: 1
; COMPUTE_PGM_RSRC2:TGID_Y_EN: 0
; COMPUTE_PGM_RSRC2:TGID_Z_EN: 0
; COMPUTE_PGM_RSRC2:TIDIG_COMP_CNT: 0
	.section	.text._ZN9rocsparseL20bsrxmvn_17_32_kernelILj24EdlidddEEvT2_20rocsparse_direction_NS_24const_host_device_scalarIT0_EES1_PKS1_PKT1_SA_S7_PKT3_PKT4_S5_PT5_21rocsparse_index_base_b,"axG",@progbits,_ZN9rocsparseL20bsrxmvn_17_32_kernelILj24EdlidddEEvT2_20rocsparse_direction_NS_24const_host_device_scalarIT0_EES1_PKS1_PKT1_SA_S7_PKT3_PKT4_S5_PT5_21rocsparse_index_base_b,comdat
	.globl	_ZN9rocsparseL20bsrxmvn_17_32_kernelILj24EdlidddEEvT2_20rocsparse_direction_NS_24const_host_device_scalarIT0_EES1_PKS1_PKT1_SA_S7_PKT3_PKT4_S5_PT5_21rocsparse_index_base_b ; -- Begin function _ZN9rocsparseL20bsrxmvn_17_32_kernelILj24EdlidddEEvT2_20rocsparse_direction_NS_24const_host_device_scalarIT0_EES1_PKS1_PKT1_SA_S7_PKT3_PKT4_S5_PT5_21rocsparse_index_base_b
	.p2align	8
	.type	_ZN9rocsparseL20bsrxmvn_17_32_kernelILj24EdlidddEEvT2_20rocsparse_direction_NS_24const_host_device_scalarIT0_EES1_PKS1_PKT1_SA_S7_PKT3_PKT4_S5_PT5_21rocsparse_index_base_b,@function
_ZN9rocsparseL20bsrxmvn_17_32_kernelILj24EdlidddEEvT2_20rocsparse_direction_NS_24const_host_device_scalarIT0_EES1_PKS1_PKT1_SA_S7_PKT3_PKT4_S5_PT5_21rocsparse_index_base_b: ; @_ZN9rocsparseL20bsrxmvn_17_32_kernelILj24EdlidddEEvT2_20rocsparse_direction_NS_24const_host_device_scalarIT0_EES1_PKS1_PKT1_SA_S7_PKT3_PKT4_S5_PT5_21rocsparse_index_base_b
; %bb.0:
	s_load_dwordx2 s[14:15], s[4:5], 0x58
	s_load_dwordx2 s[8:9], s[4:5], 0x8
	;; [unrolled: 1-line block ×3, first 2 shown]
	s_waitcnt lgkmcnt(0)
	s_bitcmp1_b32 s15, 0
	s_cselect_b64 s[10:11], -1, 0
	v_mov_b32_e32 v3, s8
	s_xor_b64 s[2:3], s[10:11], -1
	s_and_b64 vcc, exec, s[10:11]
	v_mov_b32_e32 v4, s9
	s_cbranch_vccnz .LBB87_2
; %bb.1:
	v_mov_b32_e32 v1, s8
	v_mov_b32_e32 v2, s9
	flat_load_dwordx2 v[3:4], v[1:2]
.LBB87_2:
	v_mov_b32_e32 v2, s1
	s_andn2_b64 vcc, exec, s[2:3]
	v_mov_b32_e32 v1, s0
	s_cbranch_vccnz .LBB87_4
; %bb.3:
	v_mov_b32_e32 v2, s1
	v_mov_b32_e32 v1, s0
	flat_load_dwordx2 v[1:2], v[1:2]
.LBB87_4:
	s_waitcnt vmcnt(0) lgkmcnt(0)
	v_cmp_neq_f64_e32 vcc, 0, v[3:4]
	v_cmp_neq_f64_e64 s[0:1], 1.0, v[1:2]
	s_or_b64 s[0:1], vcc, s[0:1]
	s_and_saveexec_b64 s[2:3], s[0:1]
	s_cbranch_execz .LBB87_41
; %bb.5:
	s_load_dwordx4 s[0:3], s[4:5], 0x18
	s_load_dwordx2 s[8:9], s[4:5], 0x28
	s_waitcnt lgkmcnt(0)
	s_cmp_eq_u64 s[0:1], 0
	s_cbranch_scc1 .LBB87_7
; %bb.6:
	s_ashr_i32 s7, s6, 31
	s_lshl_b64 s[6:7], s[6:7], 2
	s_add_u32 s0, s0, s6
	s_addc_u32 s1, s1, s7
	s_load_dword s0, s[0:1], 0x0
	s_waitcnt lgkmcnt(0)
	s_sub_i32 s6, s0, s14
.LBB87_7:
	s_load_dword s7, s[4:5], 0x4
	s_load_dwordx2 s[12:13], s[4:5], 0x50
	v_mul_u32_u24_e32 v7, 0xaab, v0
	v_mov_b32_e32 v5, 24
	v_mul_lo_u16_sdwa v5, v7, v5 dst_sel:DWORD dst_unused:UNUSED_PAD src0_sel:WORD_1 src1_sel:DWORD
	s_waitcnt lgkmcnt(0)
	s_cmp_eq_u32 s7, 1
	s_cselect_b64 s[0:1], -1, 0
	s_cmp_lg_u32 s7, 1
	s_cselect_b64 s[16:17], -1, 0
	s_ashr_i32 s7, s6, 31
	s_lshl_b64 s[10:11], s[6:7], 3
	s_add_u32 s2, s2, s10
	s_addc_u32 s3, s3, s11
	s_add_u32 s7, s2, 8
	s_addc_u32 s15, s3, 0
	;; [unrolled: 2-line block ×3, first 2 shown]
	s_cmp_eq_u64 s[8:9], 0
	s_cselect_b32 s9, s15, s11
	s_cselect_b32 s8, s7, s10
	s_load_dwordx2 s[18:19], s[8:9], 0x0
	s_load_dwordx2 s[20:21], s[2:3], 0x0
	v_sub_u16_e32 v15, v0, v5
	v_lshlrev_b32_e32 v14, 3, v0
	s_waitcnt lgkmcnt(0)
	v_mov_b32_e32 v5, s18
	v_mov_b32_e32 v6, s19
	v_cmp_ge_i64_e32 vcc, s[20:21], v[5:6]
	v_mov_b32_e32 v5, 0
	v_mov_b32_e32 v6, 0
	s_cbranch_vccnz .LBB87_12
; %bb.8:
	s_load_dwordx4 s[8:11], s[4:5], 0x30
	s_load_dwordx2 s[2:3], s[4:5], 0x40
	s_sub_u32 s4, s18, s14
	s_mov_b32 s7, 0xffff
	s_subb_u32 s5, s19, 0
	s_movk_i32 s15, 0x240
	v_and_b32_sdwa v5, s7, v7 dst_sel:DWORD dst_unused:UNUSED_PAD src0_sel:DWORD src1_sel:WORD_1
	v_subrev_u32_e32 v6, 24, v5
	v_cmp_gt_u32_e32 vcc, s15, v0
	s_sub_u32 s18, s20, s14
	v_cndmask_b32_e32 v5, v6, v5, vcc
	s_subb_u32 s19, s21, 0
	v_cndmask_b32_e64 v7, v15, v5, s[0:1]
	s_mul_i32 s0, s19, 0x1200
	s_mul_hi_u32 s1, s18, 0x1200
	s_add_i32 s1, s1, s0
	s_mul_i32 s0, s18, 0x1200
	s_waitcnt lgkmcnt(0)
	s_add_u32 s0, s10, s0
	s_addc_u32 s1, s11, s1
	v_mov_b32_e32 v5, s1
	v_add_co_u32_e32 v8, vcc, s0, v14
	v_addc_co_u32_e32 v9, vcc, 0, v5, vcc
	s_movk_i32 s0, 0x23f
	v_cmp_lt_u32_e32 vcc, s0, v0
	v_cndmask_b32_e64 v16, 0, 1, vcc
	v_mov_b32_e32 v5, s21
	v_add_co_u32_e32 v6, vcc, s20, v16
	v_addc_co_u32_e32 v10, vcc, 0, v5, vcc
	v_subrev_co_u32_e32 v5, vcc, s14, v6
	v_subbrev_co_u32_e32 v6, vcc, 0, v10, vcc
	v_lshlrev_b64 v[5:6], 2, v[5:6]
	v_mov_b32_e32 v11, s9
	v_add_co_u32_e32 v10, vcc, s8, v5
	v_addc_co_u32_e32 v11, vcc, v11, v6, vcc
	v_mov_b32_e32 v5, 0
	v_mov_b32_e32 v13, s5
	;; [unrolled: 1-line block ×4, first 2 shown]
	s_branch .LBB87_10
.LBB87_9:                               ;   in Loop: Header=BB87_10 Depth=1
	s_or_b64 exec, exec, s[0:1]
	s_add_u32 s18, s18, 1
	s_addc_u32 s19, s19, 0
	v_cmp_lt_i64_e32 vcc, s[18:19], v[12:13]
	v_add_co_u32_e64 v10, s[0:1], 4, v10
	v_addc_co_u32_e64 v11, s[0:1], 0, v11, s[0:1]
	s_cbranch_vccz .LBB87_12
.LBB87_10:                              ; =>This Inner Loop Header: Depth=1
	v_mov_b32_e32 v18, s19
	v_add_co_u32_e32 v17, vcc, s18, v16
	v_addc_co_u32_e32 v18, vcc, 0, v18, vcc
	v_cmp_gt_i64_e32 vcc, s[4:5], v[17:18]
	s_and_saveexec_b64 s[0:1], vcc
	s_cbranch_execz .LBB87_9
; %bb.11:                               ;   in Loop: Header=BB87_10 Depth=1
	global_load_dword v17, v[10:11], off
	v_mov_b32_e32 v21, s3
	global_load_dwordx2 v[19:20], v[8:9], off
	s_waitcnt vmcnt(1)
	v_subrev_u32_e32 v17, s14, v17
	v_mad_u64_u32 v[17:18], s[8:9], v17, 24, v[7:8]
	v_ashrrev_i32_e32 v18, 31, v17
	v_lshlrev_b64 v[17:18], 3, v[17:18]
	v_add_co_u32_e32 v17, vcc, s2, v17
	v_addc_co_u32_e32 v18, vcc, v21, v18, vcc
	global_load_dwordx2 v[17:18], v[17:18], off
	v_add_co_u32_e32 v8, vcc, 0x1200, v8
	v_addc_co_u32_e32 v9, vcc, 0, v9, vcc
	s_waitcnt vmcnt(0)
	v_fma_f64 v[5:6], v[19:20], v[17:18], v[5:6]
	s_branch .LBB87_9
.LBB87_12:
	s_and_b64 vcc, exec, s[16:17]
	ds_write_b64 v14, v[5:6]
	s_waitcnt lgkmcnt(0)
	s_barrier
	s_cbranch_vccz .LBB87_24
; %bb.13:
	v_cmp_gt_u16_e32 vcc, 8, v15
	s_and_saveexec_b64 s[0:1], vcc
	s_cbranch_execz .LBB87_15
; %bb.14:
	ds_read2_b64 v[7:10], v14 offset1:16
	s_waitcnt lgkmcnt(0)
	v_add_f64 v[7:8], v[9:10], v[7:8]
	ds_write_b64 v14, v[7:8]
.LBB87_15:
	s_or_b64 exec, exec, s[0:1]
	s_waitcnt lgkmcnt(0)
	s_barrier
	s_and_saveexec_b64 s[0:1], vcc
	s_cbranch_execz .LBB87_17
; %bb.16:
	ds_read2_b64 v[7:10], v14 offset1:8
	s_waitcnt lgkmcnt(0)
	v_add_f64 v[7:8], v[9:10], v[7:8]
	ds_write_b64 v14, v[7:8]
.LBB87_17:
	s_or_b64 exec, exec, s[0:1]
	v_cmp_gt_u16_e32 vcc, 4, v15
	s_waitcnt lgkmcnt(0)
	s_barrier
	s_and_saveexec_b64 s[0:1], vcc
	s_cbranch_execz .LBB87_19
; %bb.18:
	ds_read2_b64 v[7:10], v14 offset1:4
	s_waitcnt lgkmcnt(0)
	v_add_f64 v[7:8], v[9:10], v[7:8]
	ds_write_b64 v14, v[7:8]
.LBB87_19:
	s_or_b64 exec, exec, s[0:1]
	v_cmp_gt_u16_e32 vcc, 2, v15
	s_waitcnt lgkmcnt(0)
	s_barrier
	s_and_saveexec_b64 s[0:1], vcc
	s_cbranch_execz .LBB87_21
; %bb.20:
	ds_read2_b64 v[7:10], v14 offset1:2
	s_waitcnt lgkmcnt(0)
	v_add_f64 v[7:8], v[9:10], v[7:8]
	ds_write_b64 v14, v[7:8]
.LBB87_21:
	s_or_b64 exec, exec, s[0:1]
	v_mov_b32_e32 v8, v6
	v_cmp_gt_u32_e32 vcc, 24, v0
	v_mov_b32_e32 v7, v5
	s_waitcnt lgkmcnt(0)
	s_barrier
	s_and_saveexec_b64 s[0:1], vcc
	s_cbranch_execz .LBB87_23
; %bb.22:
	s_movk_i32 s2, 0xb8
	v_mad_u32_u24 v7, v0, s2, v14
	ds_read_b128 v[7:10], v7
	s_waitcnt lgkmcnt(0)
	v_add_f64 v[7:8], v[7:8], v[9:10]
.LBB87_23:
	s_or_b64 exec, exec, s[0:1]
	s_branch .LBB87_36
.LBB87_24:
                                        ; implicit-def: $vgpr7_vgpr8
	s_cbranch_execz .LBB87_36
; %bb.25:
	s_movk_i32 s0, 0xc0
	v_cmp_gt_u32_e32 vcc, s0, v0
	s_and_saveexec_b64 s[0:1], vcc
	s_cbranch_execz .LBB87_27
; %bb.26:
	ds_read2st64_b64 v[7:10], v14 offset1:6
	s_waitcnt lgkmcnt(0)
	v_add_f64 v[7:8], v[9:10], v[7:8]
	ds_write_b64 v14, v[7:8]
.LBB87_27:
	s_or_b64 exec, exec, s[0:1]
	s_waitcnt lgkmcnt(0)
	s_barrier
	s_and_saveexec_b64 s[0:1], vcc
	s_cbranch_execz .LBB87_29
; %bb.28:
	ds_read2st64_b64 v[7:10], v14 offset1:3
	s_waitcnt lgkmcnt(0)
	v_add_f64 v[7:8], v[9:10], v[7:8]
	ds_write_b64 v14, v[7:8]
.LBB87_29:
	s_or_b64 exec, exec, s[0:1]
	s_movk_i32 s0, 0x60
	v_cmp_gt_u32_e32 vcc, s0, v0
	s_waitcnt lgkmcnt(0)
	s_barrier
	s_and_saveexec_b64 s[0:1], vcc
	s_cbranch_execz .LBB87_31
; %bb.30:
	ds_read2_b64 v[7:10], v14 offset1:96
	s_waitcnt lgkmcnt(0)
	v_add_f64 v[7:8], v[9:10], v[7:8]
	ds_write_b64 v14, v[7:8]
.LBB87_31:
	s_or_b64 exec, exec, s[0:1]
	v_cmp_gt_u32_e32 vcc, 48, v0
	s_waitcnt lgkmcnt(0)
	s_barrier
	s_and_saveexec_b64 s[0:1], vcc
	s_cbranch_execz .LBB87_33
; %bb.32:
	ds_read2_b64 v[7:10], v14 offset1:48
	s_waitcnt lgkmcnt(0)
	v_add_f64 v[7:8], v[9:10], v[7:8]
	ds_write_b64 v14, v[7:8]
.LBB87_33:
	s_or_b64 exec, exec, s[0:1]
	v_cmp_gt_u32_e32 vcc, 24, v0
	s_waitcnt lgkmcnt(0)
	s_and_saveexec_b64 s[0:1], vcc
	s_cbranch_execz .LBB87_35
; %bb.34:
	ds_read2_b64 v[5:8], v14 offset1:24
	s_waitcnt lgkmcnt(0)
	v_add_f64 v[5:6], v[5:6], v[7:8]
.LBB87_35:
	s_or_b64 exec, exec, s[0:1]
	v_mov_b32_e32 v8, v6
	v_mov_b32_e32 v7, v5
.LBB87_36:
	v_cmp_gt_u32_e32 vcc, 24, v0
	s_and_b64 exec, exec, vcc
	s_cbranch_execz .LBB87_41
; %bb.37:
	v_cmp_eq_f64_e32 vcc, 0, v[1:2]
	v_mul_f64 v[3:4], v[3:4], v[7:8]
	s_and_saveexec_b64 s[0:1], vcc
	s_xor_b64 s[0:1], exec, s[0:1]
	s_cbranch_execz .LBB87_39
; %bb.38:
	v_mad_u64_u32 v[0:1], s[2:3], s6, 24, v[0:1]
	v_mov_b32_e32 v1, 0
	v_mov_b32_e32 v2, s13
	v_lshlrev_b64 v[0:1], 3, v[0:1]
	v_add_co_u32_e32 v0, vcc, s12, v0
	v_addc_co_u32_e32 v1, vcc, v2, v1, vcc
	global_store_dwordx2 v[0:1], v[3:4], off
                                        ; implicit-def: $vgpr0
                                        ; implicit-def: $vgpr1_vgpr2
                                        ; implicit-def: $vgpr3_vgpr4
.LBB87_39:
	s_andn2_saveexec_b64 s[0:1], s[0:1]
	s_cbranch_execz .LBB87_41
; %bb.40:
	v_mad_u64_u32 v[5:6], s[0:1], s6, 24, v[0:1]
	v_mov_b32_e32 v6, 0
	v_mov_b32_e32 v0, s13
	v_lshlrev_b64 v[5:6], 3, v[5:6]
	v_add_co_u32_e32 v5, vcc, s12, v5
	v_addc_co_u32_e32 v6, vcc, v0, v6, vcc
	global_load_dwordx2 v[7:8], v[5:6], off
	s_waitcnt vmcnt(0)
	v_fma_f64 v[0:1], v[1:2], v[7:8], v[3:4]
	global_store_dwordx2 v[5:6], v[0:1], off
.LBB87_41:
	s_endpgm
	.section	.rodata,"a",@progbits
	.p2align	6, 0x0
	.amdhsa_kernel _ZN9rocsparseL20bsrxmvn_17_32_kernelILj24EdlidddEEvT2_20rocsparse_direction_NS_24const_host_device_scalarIT0_EES1_PKS1_PKT1_SA_S7_PKT3_PKT4_S5_PT5_21rocsparse_index_base_b
		.amdhsa_group_segment_fixed_size 4608
		.amdhsa_private_segment_fixed_size 0
		.amdhsa_kernarg_size 96
		.amdhsa_user_sgpr_count 6
		.amdhsa_user_sgpr_private_segment_buffer 1
		.amdhsa_user_sgpr_dispatch_ptr 0
		.amdhsa_user_sgpr_queue_ptr 0
		.amdhsa_user_sgpr_kernarg_segment_ptr 1
		.amdhsa_user_sgpr_dispatch_id 0
		.amdhsa_user_sgpr_flat_scratch_init 0
		.amdhsa_user_sgpr_private_segment_size 0
		.amdhsa_uses_dynamic_stack 0
		.amdhsa_system_sgpr_private_segment_wavefront_offset 0
		.amdhsa_system_sgpr_workgroup_id_x 1
		.amdhsa_system_sgpr_workgroup_id_y 0
		.amdhsa_system_sgpr_workgroup_id_z 0
		.amdhsa_system_sgpr_workgroup_info 0
		.amdhsa_system_vgpr_workitem_id 0
		.amdhsa_next_free_vgpr 25
		.amdhsa_next_free_sgpr 61
		.amdhsa_reserve_vcc 1
		.amdhsa_reserve_flat_scratch 0
		.amdhsa_float_round_mode_32 0
		.amdhsa_float_round_mode_16_64 0
		.amdhsa_float_denorm_mode_32 3
		.amdhsa_float_denorm_mode_16_64 3
		.amdhsa_dx10_clamp 1
		.amdhsa_ieee_mode 1
		.amdhsa_fp16_overflow 0
		.amdhsa_exception_fp_ieee_invalid_op 0
		.amdhsa_exception_fp_denorm_src 0
		.amdhsa_exception_fp_ieee_div_zero 0
		.amdhsa_exception_fp_ieee_overflow 0
		.amdhsa_exception_fp_ieee_underflow 0
		.amdhsa_exception_fp_ieee_inexact 0
		.amdhsa_exception_int_div_zero 0
	.end_amdhsa_kernel
	.section	.text._ZN9rocsparseL20bsrxmvn_17_32_kernelILj24EdlidddEEvT2_20rocsparse_direction_NS_24const_host_device_scalarIT0_EES1_PKS1_PKT1_SA_S7_PKT3_PKT4_S5_PT5_21rocsparse_index_base_b,"axG",@progbits,_ZN9rocsparseL20bsrxmvn_17_32_kernelILj24EdlidddEEvT2_20rocsparse_direction_NS_24const_host_device_scalarIT0_EES1_PKS1_PKT1_SA_S7_PKT3_PKT4_S5_PT5_21rocsparse_index_base_b,comdat
.Lfunc_end87:
	.size	_ZN9rocsparseL20bsrxmvn_17_32_kernelILj24EdlidddEEvT2_20rocsparse_direction_NS_24const_host_device_scalarIT0_EES1_PKS1_PKT1_SA_S7_PKT3_PKT4_S5_PT5_21rocsparse_index_base_b, .Lfunc_end87-_ZN9rocsparseL20bsrxmvn_17_32_kernelILj24EdlidddEEvT2_20rocsparse_direction_NS_24const_host_device_scalarIT0_EES1_PKS1_PKT1_SA_S7_PKT3_PKT4_S5_PT5_21rocsparse_index_base_b
                                        ; -- End function
	.set _ZN9rocsparseL20bsrxmvn_17_32_kernelILj24EdlidddEEvT2_20rocsparse_direction_NS_24const_host_device_scalarIT0_EES1_PKS1_PKT1_SA_S7_PKT3_PKT4_S5_PT5_21rocsparse_index_base_b.num_vgpr, 22
	.set _ZN9rocsparseL20bsrxmvn_17_32_kernelILj24EdlidddEEvT2_20rocsparse_direction_NS_24const_host_device_scalarIT0_EES1_PKS1_PKT1_SA_S7_PKT3_PKT4_S5_PT5_21rocsparse_index_base_b.num_agpr, 0
	.set _ZN9rocsparseL20bsrxmvn_17_32_kernelILj24EdlidddEEvT2_20rocsparse_direction_NS_24const_host_device_scalarIT0_EES1_PKS1_PKT1_SA_S7_PKT3_PKT4_S5_PT5_21rocsparse_index_base_b.numbered_sgpr, 22
	.set _ZN9rocsparseL20bsrxmvn_17_32_kernelILj24EdlidddEEvT2_20rocsparse_direction_NS_24const_host_device_scalarIT0_EES1_PKS1_PKT1_SA_S7_PKT3_PKT4_S5_PT5_21rocsparse_index_base_b.num_named_barrier, 0
	.set _ZN9rocsparseL20bsrxmvn_17_32_kernelILj24EdlidddEEvT2_20rocsparse_direction_NS_24const_host_device_scalarIT0_EES1_PKS1_PKT1_SA_S7_PKT3_PKT4_S5_PT5_21rocsparse_index_base_b.private_seg_size, 0
	.set _ZN9rocsparseL20bsrxmvn_17_32_kernelILj24EdlidddEEvT2_20rocsparse_direction_NS_24const_host_device_scalarIT0_EES1_PKS1_PKT1_SA_S7_PKT3_PKT4_S5_PT5_21rocsparse_index_base_b.uses_vcc, 1
	.set _ZN9rocsparseL20bsrxmvn_17_32_kernelILj24EdlidddEEvT2_20rocsparse_direction_NS_24const_host_device_scalarIT0_EES1_PKS1_PKT1_SA_S7_PKT3_PKT4_S5_PT5_21rocsparse_index_base_b.uses_flat_scratch, 0
	.set _ZN9rocsparseL20bsrxmvn_17_32_kernelILj24EdlidddEEvT2_20rocsparse_direction_NS_24const_host_device_scalarIT0_EES1_PKS1_PKT1_SA_S7_PKT3_PKT4_S5_PT5_21rocsparse_index_base_b.has_dyn_sized_stack, 0
	.set _ZN9rocsparseL20bsrxmvn_17_32_kernelILj24EdlidddEEvT2_20rocsparse_direction_NS_24const_host_device_scalarIT0_EES1_PKS1_PKT1_SA_S7_PKT3_PKT4_S5_PT5_21rocsparse_index_base_b.has_recursion, 0
	.set _ZN9rocsparseL20bsrxmvn_17_32_kernelILj24EdlidddEEvT2_20rocsparse_direction_NS_24const_host_device_scalarIT0_EES1_PKS1_PKT1_SA_S7_PKT3_PKT4_S5_PT5_21rocsparse_index_base_b.has_indirect_call, 0
	.section	.AMDGPU.csdata,"",@progbits
; Kernel info:
; codeLenInByte = 1388
; TotalNumSgprs: 26
; NumVgprs: 22
; ScratchSize: 0
; MemoryBound: 0
; FloatMode: 240
; IeeeMode: 1
; LDSByteSize: 4608 bytes/workgroup (compile time only)
; SGPRBlocks: 8
; VGPRBlocks: 6
; NumSGPRsForWavesPerEU: 65
; NumVGPRsForWavesPerEU: 25
; Occupancy: 9
; WaveLimiterHint : 1
; COMPUTE_PGM_RSRC2:SCRATCH_EN: 0
; COMPUTE_PGM_RSRC2:USER_SGPR: 6
; COMPUTE_PGM_RSRC2:TRAP_HANDLER: 0
; COMPUTE_PGM_RSRC2:TGID_X_EN: 1
; COMPUTE_PGM_RSRC2:TGID_Y_EN: 0
; COMPUTE_PGM_RSRC2:TGID_Z_EN: 0
; COMPUTE_PGM_RSRC2:TIDIG_COMP_CNT: 0
	.section	.text._ZN9rocsparseL20bsrxmvn_17_32_kernelILj25EdlidddEEvT2_20rocsparse_direction_NS_24const_host_device_scalarIT0_EES1_PKS1_PKT1_SA_S7_PKT3_PKT4_S5_PT5_21rocsparse_index_base_b,"axG",@progbits,_ZN9rocsparseL20bsrxmvn_17_32_kernelILj25EdlidddEEvT2_20rocsparse_direction_NS_24const_host_device_scalarIT0_EES1_PKS1_PKT1_SA_S7_PKT3_PKT4_S5_PT5_21rocsparse_index_base_b,comdat
	.globl	_ZN9rocsparseL20bsrxmvn_17_32_kernelILj25EdlidddEEvT2_20rocsparse_direction_NS_24const_host_device_scalarIT0_EES1_PKS1_PKT1_SA_S7_PKT3_PKT4_S5_PT5_21rocsparse_index_base_b ; -- Begin function _ZN9rocsparseL20bsrxmvn_17_32_kernelILj25EdlidddEEvT2_20rocsparse_direction_NS_24const_host_device_scalarIT0_EES1_PKS1_PKT1_SA_S7_PKT3_PKT4_S5_PT5_21rocsparse_index_base_b
	.p2align	8
	.type	_ZN9rocsparseL20bsrxmvn_17_32_kernelILj25EdlidddEEvT2_20rocsparse_direction_NS_24const_host_device_scalarIT0_EES1_PKS1_PKT1_SA_S7_PKT3_PKT4_S5_PT5_21rocsparse_index_base_b,@function
_ZN9rocsparseL20bsrxmvn_17_32_kernelILj25EdlidddEEvT2_20rocsparse_direction_NS_24const_host_device_scalarIT0_EES1_PKS1_PKT1_SA_S7_PKT3_PKT4_S5_PT5_21rocsparse_index_base_b: ; @_ZN9rocsparseL20bsrxmvn_17_32_kernelILj25EdlidddEEvT2_20rocsparse_direction_NS_24const_host_device_scalarIT0_EES1_PKS1_PKT1_SA_S7_PKT3_PKT4_S5_PT5_21rocsparse_index_base_b
; %bb.0:
	s_load_dwordx2 s[14:15], s[4:5], 0x58
	s_load_dwordx2 s[8:9], s[4:5], 0x8
	;; [unrolled: 1-line block ×3, first 2 shown]
	s_waitcnt lgkmcnt(0)
	s_bitcmp1_b32 s15, 0
	s_cselect_b64 s[10:11], -1, 0
	v_mov_b32_e32 v3, s8
	s_xor_b64 s[2:3], s[10:11], -1
	s_and_b64 vcc, exec, s[10:11]
	v_mov_b32_e32 v4, s9
	s_cbranch_vccnz .LBB88_2
; %bb.1:
	v_mov_b32_e32 v1, s8
	v_mov_b32_e32 v2, s9
	flat_load_dwordx2 v[3:4], v[1:2]
.LBB88_2:
	v_mov_b32_e32 v2, s1
	s_andn2_b64 vcc, exec, s[2:3]
	v_mov_b32_e32 v1, s0
	s_cbranch_vccnz .LBB88_4
; %bb.3:
	v_mov_b32_e32 v2, s1
	v_mov_b32_e32 v1, s0
	flat_load_dwordx2 v[1:2], v[1:2]
.LBB88_4:
	s_waitcnt vmcnt(0) lgkmcnt(0)
	v_cmp_neq_f64_e32 vcc, 0, v[3:4]
	v_cmp_neq_f64_e64 s[0:1], 1.0, v[1:2]
	s_or_b64 s[0:1], vcc, s[0:1]
	s_and_saveexec_b64 s[2:3], s[0:1]
	s_cbranch_execz .LBB88_41
; %bb.5:
	s_load_dwordx4 s[0:3], s[4:5], 0x18
	s_load_dwordx2 s[8:9], s[4:5], 0x28
	s_waitcnt lgkmcnt(0)
	s_cmp_eq_u64 s[0:1], 0
	s_cbranch_scc1 .LBB88_7
; %bb.6:
	s_ashr_i32 s7, s6, 31
	s_lshl_b64 s[6:7], s[6:7], 2
	s_add_u32 s0, s0, s6
	s_addc_u32 s1, s1, s7
	s_load_dword s0, s[0:1], 0x0
	s_waitcnt lgkmcnt(0)
	s_sub_i32 s6, s0, s14
.LBB88_7:
	s_load_dword s7, s[4:5], 0x4
	s_load_dwordx2 s[12:13], s[4:5], 0x50
	v_mul_u32_u24_e32 v7, 0xa3e, v0
	v_mov_b32_e32 v5, 25
	v_mul_lo_u16_sdwa v5, v7, v5 dst_sel:DWORD dst_unused:UNUSED_PAD src0_sel:WORD_1 src1_sel:DWORD
	s_waitcnt lgkmcnt(0)
	s_cmp_eq_u32 s7, 1
	s_cselect_b64 s[0:1], -1, 0
	s_cmp_lg_u32 s7, 1
	s_cselect_b64 s[16:17], -1, 0
	s_ashr_i32 s7, s6, 31
	s_lshl_b64 s[10:11], s[6:7], 3
	s_add_u32 s2, s2, s10
	s_addc_u32 s3, s3, s11
	s_add_u32 s7, s2, 8
	s_addc_u32 s15, s3, 0
	;; [unrolled: 2-line block ×3, first 2 shown]
	s_cmp_eq_u64 s[8:9], 0
	s_cselect_b32 s9, s15, s11
	s_cselect_b32 s8, s7, s10
	s_load_dwordx2 s[18:19], s[8:9], 0x0
	s_load_dwordx2 s[20:21], s[2:3], 0x0
	v_sub_u16_e32 v15, v0, v5
	v_lshlrev_b32_e32 v14, 3, v0
	s_waitcnt lgkmcnt(0)
	v_mov_b32_e32 v5, s18
	v_mov_b32_e32 v6, s19
	v_cmp_ge_i64_e32 vcc, s[20:21], v[5:6]
	v_mov_b32_e32 v5, 0
	v_mov_b32_e32 v6, 0
	s_cbranch_vccnz .LBB88_12
; %bb.8:
	s_load_dwordx4 s[8:11], s[4:5], 0x30
	s_load_dwordx2 s[2:3], s[4:5], 0x40
	s_sub_u32 s4, s18, s14
	s_mov_b32 s7, 0xffff
	s_subb_u32 s5, s19, 0
	s_movk_i32 s15, 0x271
	v_and_b32_sdwa v5, s7, v7 dst_sel:DWORD dst_unused:UNUSED_PAD src0_sel:DWORD src1_sel:WORD_1
	v_subrev_u32_e32 v6, 25, v5
	v_cmp_gt_u32_e32 vcc, s15, v0
	s_sub_u32 s18, s20, s14
	v_cndmask_b32_e32 v5, v6, v5, vcc
	s_subb_u32 s19, s21, 0
	v_cndmask_b32_e64 v7, v15, v5, s[0:1]
	s_mul_i32 s0, s19, 0x1388
	s_mul_hi_u32 s1, s18, 0x1388
	s_add_i32 s1, s1, s0
	s_mul_i32 s0, s18, 0x1388
	s_waitcnt lgkmcnt(0)
	s_add_u32 s0, s10, s0
	s_addc_u32 s1, s11, s1
	v_mov_b32_e32 v5, s1
	v_add_co_u32_e32 v8, vcc, s0, v14
	v_addc_co_u32_e32 v9, vcc, 0, v5, vcc
	s_movk_i32 s0, 0x270
	v_cmp_lt_u32_e32 vcc, s0, v0
	v_cndmask_b32_e64 v16, 0, 1, vcc
	v_mov_b32_e32 v5, s21
	v_add_co_u32_e32 v6, vcc, s20, v16
	v_addc_co_u32_e32 v10, vcc, 0, v5, vcc
	v_subrev_co_u32_e32 v5, vcc, s14, v6
	v_subbrev_co_u32_e32 v6, vcc, 0, v10, vcc
	v_lshlrev_b64 v[5:6], 2, v[5:6]
	v_mov_b32_e32 v11, s9
	v_add_co_u32_e32 v10, vcc, s8, v5
	v_addc_co_u32_e32 v11, vcc, v11, v6, vcc
	v_mov_b32_e32 v5, 0
	v_mov_b32_e32 v13, s5
	;; [unrolled: 1-line block ×4, first 2 shown]
	s_branch .LBB88_10
.LBB88_9:                               ;   in Loop: Header=BB88_10 Depth=1
	s_or_b64 exec, exec, s[0:1]
	s_add_u32 s18, s18, 1
	s_addc_u32 s19, s19, 0
	v_cmp_lt_i64_e32 vcc, s[18:19], v[12:13]
	v_add_co_u32_e64 v10, s[0:1], 4, v10
	v_addc_co_u32_e64 v11, s[0:1], 0, v11, s[0:1]
	s_cbranch_vccz .LBB88_12
.LBB88_10:                              ; =>This Inner Loop Header: Depth=1
	v_mov_b32_e32 v18, s19
	v_add_co_u32_e32 v17, vcc, s18, v16
	v_addc_co_u32_e32 v18, vcc, 0, v18, vcc
	v_cmp_gt_i64_e32 vcc, s[4:5], v[17:18]
	s_and_saveexec_b64 s[0:1], vcc
	s_cbranch_execz .LBB88_9
; %bb.11:                               ;   in Loop: Header=BB88_10 Depth=1
	global_load_dword v17, v[10:11], off
	v_mov_b32_e32 v21, s3
	global_load_dwordx2 v[19:20], v[8:9], off
	s_waitcnt vmcnt(1)
	v_subrev_u32_e32 v17, s14, v17
	v_mad_u64_u32 v[17:18], s[8:9], v17, 25, v[7:8]
	v_ashrrev_i32_e32 v18, 31, v17
	v_lshlrev_b64 v[17:18], 3, v[17:18]
	v_add_co_u32_e32 v17, vcc, s2, v17
	v_addc_co_u32_e32 v18, vcc, v21, v18, vcc
	global_load_dwordx2 v[17:18], v[17:18], off
	v_add_co_u32_e32 v8, vcc, 0x1388, v8
	v_addc_co_u32_e32 v9, vcc, 0, v9, vcc
	s_waitcnt vmcnt(0)
	v_fma_f64 v[5:6], v[19:20], v[17:18], v[5:6]
	s_branch .LBB88_9
.LBB88_12:
	s_and_b64 vcc, exec, s[16:17]
	ds_write_b64 v14, v[5:6]
	s_waitcnt lgkmcnt(0)
	s_barrier
	s_cbranch_vccz .LBB88_24
; %bb.13:
	v_cmp_gt_u16_e32 vcc, 9, v15
	s_and_saveexec_b64 s[0:1], vcc
	s_cbranch_execz .LBB88_15
; %bb.14:
	ds_read2_b64 v[7:10], v14 offset1:16
	s_waitcnt lgkmcnt(0)
	v_add_f64 v[7:8], v[9:10], v[7:8]
	ds_write_b64 v14, v[7:8]
.LBB88_15:
	s_or_b64 exec, exec, s[0:1]
	v_cmp_gt_u16_e32 vcc, 8, v15
	s_waitcnt lgkmcnt(0)
	s_barrier
	s_and_saveexec_b64 s[0:1], vcc
	s_cbranch_execz .LBB88_17
; %bb.16:
	ds_read2_b64 v[7:10], v14 offset1:8
	s_waitcnt lgkmcnt(0)
	v_add_f64 v[7:8], v[9:10], v[7:8]
	ds_write_b64 v14, v[7:8]
.LBB88_17:
	s_or_b64 exec, exec, s[0:1]
	v_cmp_gt_u16_e32 vcc, 4, v15
	s_waitcnt lgkmcnt(0)
	s_barrier
	;; [unrolled: 12-line block ×3, first 2 shown]
	s_and_saveexec_b64 s[0:1], vcc
	s_cbranch_execz .LBB88_21
; %bb.20:
	ds_read2_b64 v[7:10], v14 offset1:2
	s_waitcnt lgkmcnt(0)
	v_add_f64 v[7:8], v[9:10], v[7:8]
	ds_write_b64 v14, v[7:8]
.LBB88_21:
	s_or_b64 exec, exec, s[0:1]
	v_mov_b32_e32 v8, v6
	v_cmp_gt_u32_e32 vcc, 25, v0
	v_mov_b32_e32 v7, v5
	s_waitcnt lgkmcnt(0)
	s_barrier
	s_and_saveexec_b64 s[0:1], vcc
	s_cbranch_execz .LBB88_23
; %bb.22:
	s_movk_i32 s2, 0xc0
	v_mad_u32_u24 v7, v0, s2, v14
	ds_read2_b64 v[7:10], v7 offset1:1
	s_waitcnt lgkmcnt(0)
	v_add_f64 v[7:8], v[7:8], v[9:10]
.LBB88_23:
	s_or_b64 exec, exec, s[0:1]
	s_branch .LBB88_36
.LBB88_24:
                                        ; implicit-def: $vgpr7_vgpr8
	s_cbranch_execz .LBB88_36
; %bb.25:
	s_movk_i32 s0, 0xe1
	v_cmp_gt_u32_e32 vcc, s0, v0
	s_and_saveexec_b64 s[0:1], vcc
	s_cbranch_execz .LBB88_27
; %bb.26:
	ds_read_b64 v[7:8], v14 offset:3200
	ds_read_b64 v[9:10], v14
	s_waitcnt lgkmcnt(0)
	v_add_f64 v[7:8], v[7:8], v[9:10]
	ds_write_b64 v14, v[7:8]
.LBB88_27:
	s_or_b64 exec, exec, s[0:1]
	s_movk_i32 s0, 0xc8
	v_cmp_gt_u32_e32 vcc, s0, v0
	s_waitcnt lgkmcnt(0)
	s_barrier
	s_and_saveexec_b64 s[0:1], vcc
	s_cbranch_execz .LBB88_29
; %bb.28:
	ds_read2_b64 v[7:10], v14 offset1:200
	s_waitcnt lgkmcnt(0)
	v_add_f64 v[7:8], v[9:10], v[7:8]
	ds_write_b64 v14, v[7:8]
.LBB88_29:
	s_or_b64 exec, exec, s[0:1]
	s_movk_i32 s0, 0x64
	v_cmp_gt_u32_e32 vcc, s0, v0
	s_waitcnt lgkmcnt(0)
	s_barrier
	s_and_saveexec_b64 s[0:1], vcc
	s_cbranch_execz .LBB88_31
; %bb.30:
	ds_read2_b64 v[7:10], v14 offset1:100
	s_waitcnt lgkmcnt(0)
	v_add_f64 v[7:8], v[9:10], v[7:8]
	ds_write_b64 v14, v[7:8]
.LBB88_31:
	s_or_b64 exec, exec, s[0:1]
	v_cmp_gt_u32_e32 vcc, 50, v0
	s_waitcnt lgkmcnt(0)
	s_barrier
	s_and_saveexec_b64 s[0:1], vcc
	s_cbranch_execz .LBB88_33
; %bb.32:
	ds_read2_b64 v[7:10], v14 offset1:50
	s_waitcnt lgkmcnt(0)
	v_add_f64 v[7:8], v[9:10], v[7:8]
	ds_write_b64 v14, v[7:8]
.LBB88_33:
	s_or_b64 exec, exec, s[0:1]
	v_cmp_gt_u32_e32 vcc, 25, v0
	s_waitcnt lgkmcnt(0)
	s_and_saveexec_b64 s[0:1], vcc
	s_cbranch_execz .LBB88_35
; %bb.34:
	ds_read2_b64 v[5:8], v14 offset1:25
	s_waitcnt lgkmcnt(0)
	v_add_f64 v[5:6], v[5:6], v[7:8]
.LBB88_35:
	s_or_b64 exec, exec, s[0:1]
	v_mov_b32_e32 v8, v6
	v_mov_b32_e32 v7, v5
.LBB88_36:
	v_cmp_gt_u32_e32 vcc, 25, v0
	s_and_b64 exec, exec, vcc
	s_cbranch_execz .LBB88_41
; %bb.37:
	v_cmp_eq_f64_e32 vcc, 0, v[1:2]
	v_mul_f64 v[3:4], v[3:4], v[7:8]
	s_and_saveexec_b64 s[0:1], vcc
	s_xor_b64 s[0:1], exec, s[0:1]
	s_cbranch_execz .LBB88_39
; %bb.38:
	v_mad_u64_u32 v[0:1], s[2:3], s6, 25, v[0:1]
	v_mov_b32_e32 v1, 0
	v_mov_b32_e32 v2, s13
	v_lshlrev_b64 v[0:1], 3, v[0:1]
	v_add_co_u32_e32 v0, vcc, s12, v0
	v_addc_co_u32_e32 v1, vcc, v2, v1, vcc
	global_store_dwordx2 v[0:1], v[3:4], off
                                        ; implicit-def: $vgpr0
                                        ; implicit-def: $vgpr1_vgpr2
                                        ; implicit-def: $vgpr3_vgpr4
.LBB88_39:
	s_andn2_saveexec_b64 s[0:1], s[0:1]
	s_cbranch_execz .LBB88_41
; %bb.40:
	v_mad_u64_u32 v[5:6], s[0:1], s6, 25, v[0:1]
	v_mov_b32_e32 v6, 0
	v_mov_b32_e32 v0, s13
	v_lshlrev_b64 v[5:6], 3, v[5:6]
	v_add_co_u32_e32 v5, vcc, s12, v5
	v_addc_co_u32_e32 v6, vcc, v0, v6, vcc
	global_load_dwordx2 v[7:8], v[5:6], off
	s_waitcnt vmcnt(0)
	v_fma_f64 v[0:1], v[1:2], v[7:8], v[3:4]
	global_store_dwordx2 v[5:6], v[0:1], off
.LBB88_41:
	s_endpgm
	.section	.rodata,"a",@progbits
	.p2align	6, 0x0
	.amdhsa_kernel _ZN9rocsparseL20bsrxmvn_17_32_kernelILj25EdlidddEEvT2_20rocsparse_direction_NS_24const_host_device_scalarIT0_EES1_PKS1_PKT1_SA_S7_PKT3_PKT4_S5_PT5_21rocsparse_index_base_b
		.amdhsa_group_segment_fixed_size 5000
		.amdhsa_private_segment_fixed_size 0
		.amdhsa_kernarg_size 96
		.amdhsa_user_sgpr_count 6
		.amdhsa_user_sgpr_private_segment_buffer 1
		.amdhsa_user_sgpr_dispatch_ptr 0
		.amdhsa_user_sgpr_queue_ptr 0
		.amdhsa_user_sgpr_kernarg_segment_ptr 1
		.amdhsa_user_sgpr_dispatch_id 0
		.amdhsa_user_sgpr_flat_scratch_init 0
		.amdhsa_user_sgpr_private_segment_size 0
		.amdhsa_uses_dynamic_stack 0
		.amdhsa_system_sgpr_private_segment_wavefront_offset 0
		.amdhsa_system_sgpr_workgroup_id_x 1
		.amdhsa_system_sgpr_workgroup_id_y 0
		.amdhsa_system_sgpr_workgroup_id_z 0
		.amdhsa_system_sgpr_workgroup_info 0
		.amdhsa_system_vgpr_workitem_id 0
		.amdhsa_next_free_vgpr 22
		.amdhsa_next_free_sgpr 22
		.amdhsa_reserve_vcc 1
		.amdhsa_reserve_flat_scratch 0
		.amdhsa_float_round_mode_32 0
		.amdhsa_float_round_mode_16_64 0
		.amdhsa_float_denorm_mode_32 3
		.amdhsa_float_denorm_mode_16_64 3
		.amdhsa_dx10_clamp 1
		.amdhsa_ieee_mode 1
		.amdhsa_fp16_overflow 0
		.amdhsa_exception_fp_ieee_invalid_op 0
		.amdhsa_exception_fp_denorm_src 0
		.amdhsa_exception_fp_ieee_div_zero 0
		.amdhsa_exception_fp_ieee_overflow 0
		.amdhsa_exception_fp_ieee_underflow 0
		.amdhsa_exception_fp_ieee_inexact 0
		.amdhsa_exception_int_div_zero 0
	.end_amdhsa_kernel
	.section	.text._ZN9rocsparseL20bsrxmvn_17_32_kernelILj25EdlidddEEvT2_20rocsparse_direction_NS_24const_host_device_scalarIT0_EES1_PKS1_PKT1_SA_S7_PKT3_PKT4_S5_PT5_21rocsparse_index_base_b,"axG",@progbits,_ZN9rocsparseL20bsrxmvn_17_32_kernelILj25EdlidddEEvT2_20rocsparse_direction_NS_24const_host_device_scalarIT0_EES1_PKS1_PKT1_SA_S7_PKT3_PKT4_S5_PT5_21rocsparse_index_base_b,comdat
.Lfunc_end88:
	.size	_ZN9rocsparseL20bsrxmvn_17_32_kernelILj25EdlidddEEvT2_20rocsparse_direction_NS_24const_host_device_scalarIT0_EES1_PKS1_PKT1_SA_S7_PKT3_PKT4_S5_PT5_21rocsparse_index_base_b, .Lfunc_end88-_ZN9rocsparseL20bsrxmvn_17_32_kernelILj25EdlidddEEvT2_20rocsparse_direction_NS_24const_host_device_scalarIT0_EES1_PKS1_PKT1_SA_S7_PKT3_PKT4_S5_PT5_21rocsparse_index_base_b
                                        ; -- End function
	.set _ZN9rocsparseL20bsrxmvn_17_32_kernelILj25EdlidddEEvT2_20rocsparse_direction_NS_24const_host_device_scalarIT0_EES1_PKS1_PKT1_SA_S7_PKT3_PKT4_S5_PT5_21rocsparse_index_base_b.num_vgpr, 22
	.set _ZN9rocsparseL20bsrxmvn_17_32_kernelILj25EdlidddEEvT2_20rocsparse_direction_NS_24const_host_device_scalarIT0_EES1_PKS1_PKT1_SA_S7_PKT3_PKT4_S5_PT5_21rocsparse_index_base_b.num_agpr, 0
	.set _ZN9rocsparseL20bsrxmvn_17_32_kernelILj25EdlidddEEvT2_20rocsparse_direction_NS_24const_host_device_scalarIT0_EES1_PKS1_PKT1_SA_S7_PKT3_PKT4_S5_PT5_21rocsparse_index_base_b.numbered_sgpr, 22
	.set _ZN9rocsparseL20bsrxmvn_17_32_kernelILj25EdlidddEEvT2_20rocsparse_direction_NS_24const_host_device_scalarIT0_EES1_PKS1_PKT1_SA_S7_PKT3_PKT4_S5_PT5_21rocsparse_index_base_b.num_named_barrier, 0
	.set _ZN9rocsparseL20bsrxmvn_17_32_kernelILj25EdlidddEEvT2_20rocsparse_direction_NS_24const_host_device_scalarIT0_EES1_PKS1_PKT1_SA_S7_PKT3_PKT4_S5_PT5_21rocsparse_index_base_b.private_seg_size, 0
	.set _ZN9rocsparseL20bsrxmvn_17_32_kernelILj25EdlidddEEvT2_20rocsparse_direction_NS_24const_host_device_scalarIT0_EES1_PKS1_PKT1_SA_S7_PKT3_PKT4_S5_PT5_21rocsparse_index_base_b.uses_vcc, 1
	.set _ZN9rocsparseL20bsrxmvn_17_32_kernelILj25EdlidddEEvT2_20rocsparse_direction_NS_24const_host_device_scalarIT0_EES1_PKS1_PKT1_SA_S7_PKT3_PKT4_S5_PT5_21rocsparse_index_base_b.uses_flat_scratch, 0
	.set _ZN9rocsparseL20bsrxmvn_17_32_kernelILj25EdlidddEEvT2_20rocsparse_direction_NS_24const_host_device_scalarIT0_EES1_PKS1_PKT1_SA_S7_PKT3_PKT4_S5_PT5_21rocsparse_index_base_b.has_dyn_sized_stack, 0
	.set _ZN9rocsparseL20bsrxmvn_17_32_kernelILj25EdlidddEEvT2_20rocsparse_direction_NS_24const_host_device_scalarIT0_EES1_PKS1_PKT1_SA_S7_PKT3_PKT4_S5_PT5_21rocsparse_index_base_b.has_recursion, 0
	.set _ZN9rocsparseL20bsrxmvn_17_32_kernelILj25EdlidddEEvT2_20rocsparse_direction_NS_24const_host_device_scalarIT0_EES1_PKS1_PKT1_SA_S7_PKT3_PKT4_S5_PT5_21rocsparse_index_base_b.has_indirect_call, 0
	.section	.AMDGPU.csdata,"",@progbits
; Kernel info:
; codeLenInByte = 1408
; TotalNumSgprs: 26
; NumVgprs: 22
; ScratchSize: 0
; MemoryBound: 0
; FloatMode: 240
; IeeeMode: 1
; LDSByteSize: 5000 bytes/workgroup (compile time only)
; SGPRBlocks: 3
; VGPRBlocks: 5
; NumSGPRsForWavesPerEU: 26
; NumVGPRsForWavesPerEU: 22
; Occupancy: 10
; WaveLimiterHint : 1
; COMPUTE_PGM_RSRC2:SCRATCH_EN: 0
; COMPUTE_PGM_RSRC2:USER_SGPR: 6
; COMPUTE_PGM_RSRC2:TRAP_HANDLER: 0
; COMPUTE_PGM_RSRC2:TGID_X_EN: 1
; COMPUTE_PGM_RSRC2:TGID_Y_EN: 0
; COMPUTE_PGM_RSRC2:TGID_Z_EN: 0
; COMPUTE_PGM_RSRC2:TIDIG_COMP_CNT: 0
	.section	.text._ZN9rocsparseL20bsrxmvn_17_32_kernelILj26EdlidddEEvT2_20rocsparse_direction_NS_24const_host_device_scalarIT0_EES1_PKS1_PKT1_SA_S7_PKT3_PKT4_S5_PT5_21rocsparse_index_base_b,"axG",@progbits,_ZN9rocsparseL20bsrxmvn_17_32_kernelILj26EdlidddEEvT2_20rocsparse_direction_NS_24const_host_device_scalarIT0_EES1_PKS1_PKT1_SA_S7_PKT3_PKT4_S5_PT5_21rocsparse_index_base_b,comdat
	.globl	_ZN9rocsparseL20bsrxmvn_17_32_kernelILj26EdlidddEEvT2_20rocsparse_direction_NS_24const_host_device_scalarIT0_EES1_PKS1_PKT1_SA_S7_PKT3_PKT4_S5_PT5_21rocsparse_index_base_b ; -- Begin function _ZN9rocsparseL20bsrxmvn_17_32_kernelILj26EdlidddEEvT2_20rocsparse_direction_NS_24const_host_device_scalarIT0_EES1_PKS1_PKT1_SA_S7_PKT3_PKT4_S5_PT5_21rocsparse_index_base_b
	.p2align	8
	.type	_ZN9rocsparseL20bsrxmvn_17_32_kernelILj26EdlidddEEvT2_20rocsparse_direction_NS_24const_host_device_scalarIT0_EES1_PKS1_PKT1_SA_S7_PKT3_PKT4_S5_PT5_21rocsparse_index_base_b,@function
_ZN9rocsparseL20bsrxmvn_17_32_kernelILj26EdlidddEEvT2_20rocsparse_direction_NS_24const_host_device_scalarIT0_EES1_PKS1_PKT1_SA_S7_PKT3_PKT4_S5_PT5_21rocsparse_index_base_b: ; @_ZN9rocsparseL20bsrxmvn_17_32_kernelILj26EdlidddEEvT2_20rocsparse_direction_NS_24const_host_device_scalarIT0_EES1_PKS1_PKT1_SA_S7_PKT3_PKT4_S5_PT5_21rocsparse_index_base_b
; %bb.0:
	s_load_dwordx2 s[14:15], s[4:5], 0x58
	s_load_dwordx2 s[8:9], s[4:5], 0x8
	;; [unrolled: 1-line block ×3, first 2 shown]
	s_waitcnt lgkmcnt(0)
	s_bitcmp1_b32 s15, 0
	s_cselect_b64 s[10:11], -1, 0
	v_mov_b32_e32 v3, s8
	s_xor_b64 s[2:3], s[10:11], -1
	s_and_b64 vcc, exec, s[10:11]
	v_mov_b32_e32 v4, s9
	s_cbranch_vccnz .LBB89_2
; %bb.1:
	v_mov_b32_e32 v1, s8
	v_mov_b32_e32 v2, s9
	flat_load_dwordx2 v[3:4], v[1:2]
.LBB89_2:
	v_mov_b32_e32 v2, s1
	s_andn2_b64 vcc, exec, s[2:3]
	v_mov_b32_e32 v1, s0
	s_cbranch_vccnz .LBB89_4
; %bb.3:
	v_mov_b32_e32 v2, s1
	v_mov_b32_e32 v1, s0
	flat_load_dwordx2 v[1:2], v[1:2]
.LBB89_4:
	s_waitcnt vmcnt(0) lgkmcnt(0)
	v_cmp_neq_f64_e32 vcc, 0, v[3:4]
	v_cmp_neq_f64_e64 s[0:1], 1.0, v[1:2]
	s_or_b64 s[0:1], vcc, s[0:1]
	s_and_saveexec_b64 s[2:3], s[0:1]
	s_cbranch_execz .LBB89_41
; %bb.5:
	s_load_dwordx4 s[0:3], s[4:5], 0x18
	s_load_dwordx2 s[8:9], s[4:5], 0x28
	s_waitcnt lgkmcnt(0)
	s_cmp_eq_u64 s[0:1], 0
	s_cbranch_scc1 .LBB89_7
; %bb.6:
	s_ashr_i32 s7, s6, 31
	s_lshl_b64 s[6:7], s[6:7], 2
	s_add_u32 s0, s0, s6
	s_addc_u32 s1, s1, s7
	s_load_dword s0, s[0:1], 0x0
	s_waitcnt lgkmcnt(0)
	s_sub_i32 s6, s0, s14
.LBB89_7:
	s_load_dword s7, s[4:5], 0x4
	s_load_dwordx2 s[12:13], s[4:5], 0x50
	v_mul_u32_u24_e32 v7, 0x9d9, v0
	v_mov_b32_e32 v5, 26
	v_mul_lo_u16_sdwa v5, v7, v5 dst_sel:DWORD dst_unused:UNUSED_PAD src0_sel:WORD_1 src1_sel:DWORD
	s_waitcnt lgkmcnt(0)
	s_cmp_eq_u32 s7, 1
	s_cselect_b64 s[0:1], -1, 0
	s_cmp_lg_u32 s7, 1
	s_cselect_b64 s[16:17], -1, 0
	s_ashr_i32 s7, s6, 31
	s_lshl_b64 s[10:11], s[6:7], 3
	s_add_u32 s2, s2, s10
	s_addc_u32 s3, s3, s11
	s_add_u32 s7, s2, 8
	s_addc_u32 s15, s3, 0
	;; [unrolled: 2-line block ×3, first 2 shown]
	s_cmp_eq_u64 s[8:9], 0
	s_cselect_b32 s9, s15, s11
	s_cselect_b32 s8, s7, s10
	s_load_dwordx2 s[18:19], s[8:9], 0x0
	s_load_dwordx2 s[20:21], s[2:3], 0x0
	v_sub_u16_e32 v15, v0, v5
	v_lshlrev_b32_e32 v14, 3, v0
	s_waitcnt lgkmcnt(0)
	v_mov_b32_e32 v5, s18
	v_mov_b32_e32 v6, s19
	v_cmp_ge_i64_e32 vcc, s[20:21], v[5:6]
	v_mov_b32_e32 v5, 0
	v_mov_b32_e32 v6, 0
	s_cbranch_vccnz .LBB89_12
; %bb.8:
	s_load_dwordx4 s[8:11], s[4:5], 0x30
	s_load_dwordx2 s[2:3], s[4:5], 0x40
	s_sub_u32 s4, s18, s14
	s_mov_b32 s7, 0xffff
	s_subb_u32 s5, s19, 0
	s_movk_i32 s15, 0x2a4
	v_and_b32_sdwa v5, s7, v7 dst_sel:DWORD dst_unused:UNUSED_PAD src0_sel:DWORD src1_sel:WORD_1
	v_subrev_u32_e32 v6, 26, v5
	v_cmp_gt_u32_e32 vcc, s15, v0
	s_sub_u32 s18, s20, s14
	v_cndmask_b32_e32 v5, v6, v5, vcc
	s_subb_u32 s19, s21, 0
	v_cndmask_b32_e64 v7, v15, v5, s[0:1]
	s_mul_i32 s0, s19, 0x1520
	s_mul_hi_u32 s1, s18, 0x1520
	s_add_i32 s1, s1, s0
	s_mul_i32 s0, s18, 0x1520
	s_waitcnt lgkmcnt(0)
	s_add_u32 s0, s10, s0
	s_addc_u32 s1, s11, s1
	v_mov_b32_e32 v5, s1
	v_add_co_u32_e32 v8, vcc, s0, v14
	v_addc_co_u32_e32 v9, vcc, 0, v5, vcc
	s_movk_i32 s0, 0x2a3
	v_cmp_lt_u32_e32 vcc, s0, v0
	v_cndmask_b32_e64 v16, 0, 1, vcc
	v_mov_b32_e32 v5, s21
	v_add_co_u32_e32 v6, vcc, s20, v16
	v_addc_co_u32_e32 v10, vcc, 0, v5, vcc
	v_subrev_co_u32_e32 v5, vcc, s14, v6
	v_subbrev_co_u32_e32 v6, vcc, 0, v10, vcc
	v_lshlrev_b64 v[5:6], 2, v[5:6]
	v_mov_b32_e32 v11, s9
	v_add_co_u32_e32 v10, vcc, s8, v5
	v_addc_co_u32_e32 v11, vcc, v11, v6, vcc
	v_mov_b32_e32 v5, 0
	v_mov_b32_e32 v13, s5
	;; [unrolled: 1-line block ×4, first 2 shown]
	s_branch .LBB89_10
.LBB89_9:                               ;   in Loop: Header=BB89_10 Depth=1
	s_or_b64 exec, exec, s[0:1]
	s_add_u32 s18, s18, 1
	s_addc_u32 s19, s19, 0
	v_cmp_lt_i64_e32 vcc, s[18:19], v[12:13]
	v_add_co_u32_e64 v10, s[0:1], 4, v10
	v_addc_co_u32_e64 v11, s[0:1], 0, v11, s[0:1]
	s_cbranch_vccz .LBB89_12
.LBB89_10:                              ; =>This Inner Loop Header: Depth=1
	v_mov_b32_e32 v18, s19
	v_add_co_u32_e32 v17, vcc, s18, v16
	v_addc_co_u32_e32 v18, vcc, 0, v18, vcc
	v_cmp_gt_i64_e32 vcc, s[4:5], v[17:18]
	s_and_saveexec_b64 s[0:1], vcc
	s_cbranch_execz .LBB89_9
; %bb.11:                               ;   in Loop: Header=BB89_10 Depth=1
	global_load_dword v17, v[10:11], off
	v_mov_b32_e32 v21, s3
	global_load_dwordx2 v[19:20], v[8:9], off
	s_waitcnt vmcnt(1)
	v_subrev_u32_e32 v17, s14, v17
	v_mad_u64_u32 v[17:18], s[8:9], v17, 26, v[7:8]
	v_ashrrev_i32_e32 v18, 31, v17
	v_lshlrev_b64 v[17:18], 3, v[17:18]
	v_add_co_u32_e32 v17, vcc, s2, v17
	v_addc_co_u32_e32 v18, vcc, v21, v18, vcc
	global_load_dwordx2 v[17:18], v[17:18], off
	v_add_co_u32_e32 v8, vcc, 0x1520, v8
	v_addc_co_u32_e32 v9, vcc, 0, v9, vcc
	s_waitcnt vmcnt(0)
	v_fma_f64 v[5:6], v[19:20], v[17:18], v[5:6]
	s_branch .LBB89_9
.LBB89_12:
	s_and_b64 vcc, exec, s[16:17]
	ds_write_b64 v14, v[5:6]
	s_waitcnt lgkmcnt(0)
	s_barrier
	s_cbranch_vccz .LBB89_24
; %bb.13:
	v_cmp_gt_u16_e32 vcc, 10, v15
	s_and_saveexec_b64 s[0:1], vcc
	s_cbranch_execz .LBB89_15
; %bb.14:
	ds_read2_b64 v[7:10], v14 offset1:16
	s_waitcnt lgkmcnt(0)
	v_add_f64 v[7:8], v[9:10], v[7:8]
	ds_write_b64 v14, v[7:8]
.LBB89_15:
	s_or_b64 exec, exec, s[0:1]
	v_cmp_gt_u16_e32 vcc, 8, v15
	s_waitcnt lgkmcnt(0)
	s_barrier
	s_and_saveexec_b64 s[0:1], vcc
	s_cbranch_execz .LBB89_17
; %bb.16:
	ds_read2_b64 v[7:10], v14 offset1:8
	s_waitcnt lgkmcnt(0)
	v_add_f64 v[7:8], v[9:10], v[7:8]
	ds_write_b64 v14, v[7:8]
.LBB89_17:
	s_or_b64 exec, exec, s[0:1]
	v_cmp_gt_u16_e32 vcc, 4, v15
	s_waitcnt lgkmcnt(0)
	s_barrier
	;; [unrolled: 12-line block ×3, first 2 shown]
	s_and_saveexec_b64 s[0:1], vcc
	s_cbranch_execz .LBB89_21
; %bb.20:
	ds_read2_b64 v[7:10], v14 offset1:2
	s_waitcnt lgkmcnt(0)
	v_add_f64 v[7:8], v[9:10], v[7:8]
	ds_write_b64 v14, v[7:8]
.LBB89_21:
	s_or_b64 exec, exec, s[0:1]
	v_mov_b32_e32 v8, v6
	v_cmp_gt_u32_e32 vcc, 26, v0
	v_mov_b32_e32 v7, v5
	s_waitcnt lgkmcnt(0)
	s_barrier
	s_and_saveexec_b64 s[0:1], vcc
	s_cbranch_execz .LBB89_23
; %bb.22:
	s_movk_i32 s2, 0xc8
	v_mad_u32_u24 v7, v0, s2, v14
	ds_read_b128 v[7:10], v7
	s_waitcnt lgkmcnt(0)
	v_add_f64 v[7:8], v[7:8], v[9:10]
.LBB89_23:
	s_or_b64 exec, exec, s[0:1]
	s_branch .LBB89_36
.LBB89_24:
                                        ; implicit-def: $vgpr7_vgpr8
	s_cbranch_execz .LBB89_36
; %bb.25:
	s_movk_i32 s0, 0x104
	v_cmp_gt_u32_e32 vcc, s0, v0
	s_and_saveexec_b64 s[0:1], vcc
	s_cbranch_execz .LBB89_27
; %bb.26:
	ds_read_b64 v[7:8], v14 offset:3328
	ds_read_b64 v[9:10], v14
	s_waitcnt lgkmcnt(0)
	v_add_f64 v[7:8], v[7:8], v[9:10]
	ds_write_b64 v14, v[7:8]
.LBB89_27:
	s_or_b64 exec, exec, s[0:1]
	s_movk_i32 s0, 0xd0
	v_cmp_gt_u32_e32 vcc, s0, v0
	s_waitcnt lgkmcnt(0)
	s_barrier
	s_and_saveexec_b64 s[0:1], vcc
	s_cbranch_execz .LBB89_29
; %bb.28:
	ds_read2_b64 v[7:10], v14 offset1:208
	s_waitcnt lgkmcnt(0)
	v_add_f64 v[7:8], v[9:10], v[7:8]
	ds_write_b64 v14, v[7:8]
.LBB89_29:
	s_or_b64 exec, exec, s[0:1]
	s_movk_i32 s0, 0x68
	v_cmp_gt_u32_e32 vcc, s0, v0
	s_waitcnt lgkmcnt(0)
	s_barrier
	s_and_saveexec_b64 s[0:1], vcc
	s_cbranch_execz .LBB89_31
; %bb.30:
	ds_read2_b64 v[7:10], v14 offset1:104
	s_waitcnt lgkmcnt(0)
	v_add_f64 v[7:8], v[9:10], v[7:8]
	ds_write_b64 v14, v[7:8]
.LBB89_31:
	s_or_b64 exec, exec, s[0:1]
	v_cmp_gt_u32_e32 vcc, 52, v0
	s_waitcnt lgkmcnt(0)
	s_barrier
	s_and_saveexec_b64 s[0:1], vcc
	s_cbranch_execz .LBB89_33
; %bb.32:
	ds_read2_b64 v[7:10], v14 offset1:52
	s_waitcnt lgkmcnt(0)
	v_add_f64 v[7:8], v[9:10], v[7:8]
	ds_write_b64 v14, v[7:8]
.LBB89_33:
	s_or_b64 exec, exec, s[0:1]
	v_cmp_gt_u32_e32 vcc, 26, v0
	s_waitcnt lgkmcnt(0)
	s_and_saveexec_b64 s[0:1], vcc
	s_cbranch_execz .LBB89_35
; %bb.34:
	ds_read2_b64 v[5:8], v14 offset1:26
	s_waitcnt lgkmcnt(0)
	v_add_f64 v[5:6], v[5:6], v[7:8]
.LBB89_35:
	s_or_b64 exec, exec, s[0:1]
	v_mov_b32_e32 v8, v6
	v_mov_b32_e32 v7, v5
.LBB89_36:
	v_cmp_gt_u32_e32 vcc, 26, v0
	s_and_b64 exec, exec, vcc
	s_cbranch_execz .LBB89_41
; %bb.37:
	v_cmp_eq_f64_e32 vcc, 0, v[1:2]
	v_mul_f64 v[3:4], v[3:4], v[7:8]
	s_and_saveexec_b64 s[0:1], vcc
	s_xor_b64 s[0:1], exec, s[0:1]
	s_cbranch_execz .LBB89_39
; %bb.38:
	v_mad_u64_u32 v[0:1], s[2:3], s6, 26, v[0:1]
	v_mov_b32_e32 v1, 0
	v_mov_b32_e32 v2, s13
	v_lshlrev_b64 v[0:1], 3, v[0:1]
	v_add_co_u32_e32 v0, vcc, s12, v0
	v_addc_co_u32_e32 v1, vcc, v2, v1, vcc
	global_store_dwordx2 v[0:1], v[3:4], off
                                        ; implicit-def: $vgpr0
                                        ; implicit-def: $vgpr1_vgpr2
                                        ; implicit-def: $vgpr3_vgpr4
.LBB89_39:
	s_andn2_saveexec_b64 s[0:1], s[0:1]
	s_cbranch_execz .LBB89_41
; %bb.40:
	v_mad_u64_u32 v[5:6], s[0:1], s6, 26, v[0:1]
	v_mov_b32_e32 v6, 0
	v_mov_b32_e32 v0, s13
	v_lshlrev_b64 v[5:6], 3, v[5:6]
	v_add_co_u32_e32 v5, vcc, s12, v5
	v_addc_co_u32_e32 v6, vcc, v0, v6, vcc
	global_load_dwordx2 v[7:8], v[5:6], off
	s_waitcnt vmcnt(0)
	v_fma_f64 v[0:1], v[1:2], v[7:8], v[3:4]
	global_store_dwordx2 v[5:6], v[0:1], off
.LBB89_41:
	s_endpgm
	.section	.rodata,"a",@progbits
	.p2align	6, 0x0
	.amdhsa_kernel _ZN9rocsparseL20bsrxmvn_17_32_kernelILj26EdlidddEEvT2_20rocsparse_direction_NS_24const_host_device_scalarIT0_EES1_PKS1_PKT1_SA_S7_PKT3_PKT4_S5_PT5_21rocsparse_index_base_b
		.amdhsa_group_segment_fixed_size 5408
		.amdhsa_private_segment_fixed_size 0
		.amdhsa_kernarg_size 96
		.amdhsa_user_sgpr_count 6
		.amdhsa_user_sgpr_private_segment_buffer 1
		.amdhsa_user_sgpr_dispatch_ptr 0
		.amdhsa_user_sgpr_queue_ptr 0
		.amdhsa_user_sgpr_kernarg_segment_ptr 1
		.amdhsa_user_sgpr_dispatch_id 0
		.amdhsa_user_sgpr_flat_scratch_init 0
		.amdhsa_user_sgpr_private_segment_size 0
		.amdhsa_uses_dynamic_stack 0
		.amdhsa_system_sgpr_private_segment_wavefront_offset 0
		.amdhsa_system_sgpr_workgroup_id_x 1
		.amdhsa_system_sgpr_workgroup_id_y 0
		.amdhsa_system_sgpr_workgroup_id_z 0
		.amdhsa_system_sgpr_workgroup_info 0
		.amdhsa_system_vgpr_workitem_id 0
		.amdhsa_next_free_vgpr 25
		.amdhsa_next_free_sgpr 61
		.amdhsa_reserve_vcc 1
		.amdhsa_reserve_flat_scratch 0
		.amdhsa_float_round_mode_32 0
		.amdhsa_float_round_mode_16_64 0
		.amdhsa_float_denorm_mode_32 3
		.amdhsa_float_denorm_mode_16_64 3
		.amdhsa_dx10_clamp 1
		.amdhsa_ieee_mode 1
		.amdhsa_fp16_overflow 0
		.amdhsa_exception_fp_ieee_invalid_op 0
		.amdhsa_exception_fp_denorm_src 0
		.amdhsa_exception_fp_ieee_div_zero 0
		.amdhsa_exception_fp_ieee_overflow 0
		.amdhsa_exception_fp_ieee_underflow 0
		.amdhsa_exception_fp_ieee_inexact 0
		.amdhsa_exception_int_div_zero 0
	.end_amdhsa_kernel
	.section	.text._ZN9rocsparseL20bsrxmvn_17_32_kernelILj26EdlidddEEvT2_20rocsparse_direction_NS_24const_host_device_scalarIT0_EES1_PKS1_PKT1_SA_S7_PKT3_PKT4_S5_PT5_21rocsparse_index_base_b,"axG",@progbits,_ZN9rocsparseL20bsrxmvn_17_32_kernelILj26EdlidddEEvT2_20rocsparse_direction_NS_24const_host_device_scalarIT0_EES1_PKS1_PKT1_SA_S7_PKT3_PKT4_S5_PT5_21rocsparse_index_base_b,comdat
.Lfunc_end89:
	.size	_ZN9rocsparseL20bsrxmvn_17_32_kernelILj26EdlidddEEvT2_20rocsparse_direction_NS_24const_host_device_scalarIT0_EES1_PKS1_PKT1_SA_S7_PKT3_PKT4_S5_PT5_21rocsparse_index_base_b, .Lfunc_end89-_ZN9rocsparseL20bsrxmvn_17_32_kernelILj26EdlidddEEvT2_20rocsparse_direction_NS_24const_host_device_scalarIT0_EES1_PKS1_PKT1_SA_S7_PKT3_PKT4_S5_PT5_21rocsparse_index_base_b
                                        ; -- End function
	.set _ZN9rocsparseL20bsrxmvn_17_32_kernelILj26EdlidddEEvT2_20rocsparse_direction_NS_24const_host_device_scalarIT0_EES1_PKS1_PKT1_SA_S7_PKT3_PKT4_S5_PT5_21rocsparse_index_base_b.num_vgpr, 22
	.set _ZN9rocsparseL20bsrxmvn_17_32_kernelILj26EdlidddEEvT2_20rocsparse_direction_NS_24const_host_device_scalarIT0_EES1_PKS1_PKT1_SA_S7_PKT3_PKT4_S5_PT5_21rocsparse_index_base_b.num_agpr, 0
	.set _ZN9rocsparseL20bsrxmvn_17_32_kernelILj26EdlidddEEvT2_20rocsparse_direction_NS_24const_host_device_scalarIT0_EES1_PKS1_PKT1_SA_S7_PKT3_PKT4_S5_PT5_21rocsparse_index_base_b.numbered_sgpr, 22
	.set _ZN9rocsparseL20bsrxmvn_17_32_kernelILj26EdlidddEEvT2_20rocsparse_direction_NS_24const_host_device_scalarIT0_EES1_PKS1_PKT1_SA_S7_PKT3_PKT4_S5_PT5_21rocsparse_index_base_b.num_named_barrier, 0
	.set _ZN9rocsparseL20bsrxmvn_17_32_kernelILj26EdlidddEEvT2_20rocsparse_direction_NS_24const_host_device_scalarIT0_EES1_PKS1_PKT1_SA_S7_PKT3_PKT4_S5_PT5_21rocsparse_index_base_b.private_seg_size, 0
	.set _ZN9rocsparseL20bsrxmvn_17_32_kernelILj26EdlidddEEvT2_20rocsparse_direction_NS_24const_host_device_scalarIT0_EES1_PKS1_PKT1_SA_S7_PKT3_PKT4_S5_PT5_21rocsparse_index_base_b.uses_vcc, 1
	.set _ZN9rocsparseL20bsrxmvn_17_32_kernelILj26EdlidddEEvT2_20rocsparse_direction_NS_24const_host_device_scalarIT0_EES1_PKS1_PKT1_SA_S7_PKT3_PKT4_S5_PT5_21rocsparse_index_base_b.uses_flat_scratch, 0
	.set _ZN9rocsparseL20bsrxmvn_17_32_kernelILj26EdlidddEEvT2_20rocsparse_direction_NS_24const_host_device_scalarIT0_EES1_PKS1_PKT1_SA_S7_PKT3_PKT4_S5_PT5_21rocsparse_index_base_b.has_dyn_sized_stack, 0
	.set _ZN9rocsparseL20bsrxmvn_17_32_kernelILj26EdlidddEEvT2_20rocsparse_direction_NS_24const_host_device_scalarIT0_EES1_PKS1_PKT1_SA_S7_PKT3_PKT4_S5_PT5_21rocsparse_index_base_b.has_recursion, 0
	.set _ZN9rocsparseL20bsrxmvn_17_32_kernelILj26EdlidddEEvT2_20rocsparse_direction_NS_24const_host_device_scalarIT0_EES1_PKS1_PKT1_SA_S7_PKT3_PKT4_S5_PT5_21rocsparse_index_base_b.has_indirect_call, 0
	.section	.AMDGPU.csdata,"",@progbits
; Kernel info:
; codeLenInByte = 1408
; TotalNumSgprs: 26
; NumVgprs: 22
; ScratchSize: 0
; MemoryBound: 0
; FloatMode: 240
; IeeeMode: 1
; LDSByteSize: 5408 bytes/workgroup (compile time only)
; SGPRBlocks: 8
; VGPRBlocks: 6
; NumSGPRsForWavesPerEU: 65
; NumVGPRsForWavesPerEU: 25
; Occupancy: 9
; WaveLimiterHint : 1
; COMPUTE_PGM_RSRC2:SCRATCH_EN: 0
; COMPUTE_PGM_RSRC2:USER_SGPR: 6
; COMPUTE_PGM_RSRC2:TRAP_HANDLER: 0
; COMPUTE_PGM_RSRC2:TGID_X_EN: 1
; COMPUTE_PGM_RSRC2:TGID_Y_EN: 0
; COMPUTE_PGM_RSRC2:TGID_Z_EN: 0
; COMPUTE_PGM_RSRC2:TIDIG_COMP_CNT: 0
	.section	.text._ZN9rocsparseL20bsrxmvn_17_32_kernelILj27EdlidddEEvT2_20rocsparse_direction_NS_24const_host_device_scalarIT0_EES1_PKS1_PKT1_SA_S7_PKT3_PKT4_S5_PT5_21rocsparse_index_base_b,"axG",@progbits,_ZN9rocsparseL20bsrxmvn_17_32_kernelILj27EdlidddEEvT2_20rocsparse_direction_NS_24const_host_device_scalarIT0_EES1_PKS1_PKT1_SA_S7_PKT3_PKT4_S5_PT5_21rocsparse_index_base_b,comdat
	.globl	_ZN9rocsparseL20bsrxmvn_17_32_kernelILj27EdlidddEEvT2_20rocsparse_direction_NS_24const_host_device_scalarIT0_EES1_PKS1_PKT1_SA_S7_PKT3_PKT4_S5_PT5_21rocsparse_index_base_b ; -- Begin function _ZN9rocsparseL20bsrxmvn_17_32_kernelILj27EdlidddEEvT2_20rocsparse_direction_NS_24const_host_device_scalarIT0_EES1_PKS1_PKT1_SA_S7_PKT3_PKT4_S5_PT5_21rocsparse_index_base_b
	.p2align	8
	.type	_ZN9rocsparseL20bsrxmvn_17_32_kernelILj27EdlidddEEvT2_20rocsparse_direction_NS_24const_host_device_scalarIT0_EES1_PKS1_PKT1_SA_S7_PKT3_PKT4_S5_PT5_21rocsparse_index_base_b,@function
_ZN9rocsparseL20bsrxmvn_17_32_kernelILj27EdlidddEEvT2_20rocsparse_direction_NS_24const_host_device_scalarIT0_EES1_PKS1_PKT1_SA_S7_PKT3_PKT4_S5_PT5_21rocsparse_index_base_b: ; @_ZN9rocsparseL20bsrxmvn_17_32_kernelILj27EdlidddEEvT2_20rocsparse_direction_NS_24const_host_device_scalarIT0_EES1_PKS1_PKT1_SA_S7_PKT3_PKT4_S5_PT5_21rocsparse_index_base_b
; %bb.0:
	s_load_dwordx2 s[14:15], s[4:5], 0x58
	s_load_dwordx2 s[8:9], s[4:5], 0x8
	;; [unrolled: 1-line block ×3, first 2 shown]
	s_waitcnt lgkmcnt(0)
	s_bitcmp1_b32 s15, 0
	s_cselect_b64 s[10:11], -1, 0
	v_mov_b32_e32 v3, s8
	s_xor_b64 s[2:3], s[10:11], -1
	s_and_b64 vcc, exec, s[10:11]
	v_mov_b32_e32 v4, s9
	s_cbranch_vccnz .LBB90_2
; %bb.1:
	v_mov_b32_e32 v1, s8
	v_mov_b32_e32 v2, s9
	flat_load_dwordx2 v[3:4], v[1:2]
.LBB90_2:
	v_mov_b32_e32 v2, s1
	s_andn2_b64 vcc, exec, s[2:3]
	v_mov_b32_e32 v1, s0
	s_cbranch_vccnz .LBB90_4
; %bb.3:
	v_mov_b32_e32 v2, s1
	v_mov_b32_e32 v1, s0
	flat_load_dwordx2 v[1:2], v[1:2]
.LBB90_4:
	s_waitcnt vmcnt(0) lgkmcnt(0)
	v_cmp_neq_f64_e32 vcc, 0, v[3:4]
	v_cmp_neq_f64_e64 s[0:1], 1.0, v[1:2]
	s_or_b64 s[0:1], vcc, s[0:1]
	s_and_saveexec_b64 s[2:3], s[0:1]
	s_cbranch_execz .LBB90_41
; %bb.5:
	s_load_dwordx4 s[0:3], s[4:5], 0x18
	s_load_dwordx2 s[8:9], s[4:5], 0x28
	s_waitcnt lgkmcnt(0)
	s_cmp_eq_u64 s[0:1], 0
	s_cbranch_scc1 .LBB90_7
; %bb.6:
	s_ashr_i32 s7, s6, 31
	s_lshl_b64 s[6:7], s[6:7], 2
	s_add_u32 s0, s0, s6
	s_addc_u32 s1, s1, s7
	s_load_dword s0, s[0:1], 0x0
	s_waitcnt lgkmcnt(0)
	s_sub_i32 s6, s0, s14
.LBB90_7:
	s_load_dword s7, s[4:5], 0x4
	s_load_dwordx2 s[12:13], s[4:5], 0x50
	v_mul_u32_u24_e32 v7, 0x97c, v0
	v_mov_b32_e32 v5, 27
	v_mul_lo_u16_sdwa v5, v7, v5 dst_sel:DWORD dst_unused:UNUSED_PAD src0_sel:WORD_1 src1_sel:DWORD
	s_waitcnt lgkmcnt(0)
	s_cmp_eq_u32 s7, 1
	s_cselect_b64 s[0:1], -1, 0
	s_cmp_lg_u32 s7, 1
	s_cselect_b64 s[16:17], -1, 0
	s_ashr_i32 s7, s6, 31
	s_lshl_b64 s[10:11], s[6:7], 3
	s_add_u32 s2, s2, s10
	s_addc_u32 s3, s3, s11
	s_add_u32 s7, s2, 8
	s_addc_u32 s15, s3, 0
	;; [unrolled: 2-line block ×3, first 2 shown]
	s_cmp_eq_u64 s[8:9], 0
	s_cselect_b32 s9, s15, s11
	s_cselect_b32 s8, s7, s10
	s_load_dwordx2 s[18:19], s[8:9], 0x0
	s_load_dwordx2 s[20:21], s[2:3], 0x0
	v_sub_u16_e32 v15, v0, v5
	v_lshlrev_b32_e32 v14, 3, v0
	s_waitcnt lgkmcnt(0)
	v_mov_b32_e32 v5, s18
	v_mov_b32_e32 v6, s19
	v_cmp_ge_i64_e32 vcc, s[20:21], v[5:6]
	v_mov_b32_e32 v5, 0
	v_mov_b32_e32 v6, 0
	s_cbranch_vccnz .LBB90_12
; %bb.8:
	s_load_dwordx4 s[8:11], s[4:5], 0x30
	s_load_dwordx2 s[2:3], s[4:5], 0x40
	s_sub_u32 s4, s18, s14
	s_mov_b32 s7, 0xffff
	s_subb_u32 s5, s19, 0
	s_movk_i32 s15, 0x2d9
	v_and_b32_sdwa v5, s7, v7 dst_sel:DWORD dst_unused:UNUSED_PAD src0_sel:DWORD src1_sel:WORD_1
	v_subrev_u32_e32 v6, 27, v5
	v_cmp_gt_u32_e32 vcc, s15, v0
	s_sub_u32 s18, s20, s14
	v_cndmask_b32_e32 v5, v6, v5, vcc
	s_subb_u32 s19, s21, 0
	v_cndmask_b32_e64 v7, v15, v5, s[0:1]
	s_mul_i32 s0, s19, 0x16c8
	s_mul_hi_u32 s1, s18, 0x16c8
	s_add_i32 s1, s1, s0
	s_mul_i32 s0, s18, 0x16c8
	s_waitcnt lgkmcnt(0)
	s_add_u32 s0, s10, s0
	s_addc_u32 s1, s11, s1
	v_mov_b32_e32 v5, s1
	v_add_co_u32_e32 v8, vcc, s0, v14
	v_addc_co_u32_e32 v9, vcc, 0, v5, vcc
	s_movk_i32 s0, 0x2d8
	v_cmp_lt_u32_e32 vcc, s0, v0
	v_cndmask_b32_e64 v16, 0, 1, vcc
	v_mov_b32_e32 v5, s21
	v_add_co_u32_e32 v6, vcc, s20, v16
	v_addc_co_u32_e32 v10, vcc, 0, v5, vcc
	v_subrev_co_u32_e32 v5, vcc, s14, v6
	v_subbrev_co_u32_e32 v6, vcc, 0, v10, vcc
	v_lshlrev_b64 v[5:6], 2, v[5:6]
	v_mov_b32_e32 v11, s9
	v_add_co_u32_e32 v10, vcc, s8, v5
	v_addc_co_u32_e32 v11, vcc, v11, v6, vcc
	v_mov_b32_e32 v5, 0
	v_mov_b32_e32 v13, s5
	;; [unrolled: 1-line block ×4, first 2 shown]
	s_branch .LBB90_10
.LBB90_9:                               ;   in Loop: Header=BB90_10 Depth=1
	s_or_b64 exec, exec, s[0:1]
	s_add_u32 s18, s18, 1
	s_addc_u32 s19, s19, 0
	v_cmp_lt_i64_e32 vcc, s[18:19], v[12:13]
	v_add_co_u32_e64 v10, s[0:1], 4, v10
	v_addc_co_u32_e64 v11, s[0:1], 0, v11, s[0:1]
	s_cbranch_vccz .LBB90_12
.LBB90_10:                              ; =>This Inner Loop Header: Depth=1
	v_mov_b32_e32 v18, s19
	v_add_co_u32_e32 v17, vcc, s18, v16
	v_addc_co_u32_e32 v18, vcc, 0, v18, vcc
	v_cmp_gt_i64_e32 vcc, s[4:5], v[17:18]
	s_and_saveexec_b64 s[0:1], vcc
	s_cbranch_execz .LBB90_9
; %bb.11:                               ;   in Loop: Header=BB90_10 Depth=1
	global_load_dword v17, v[10:11], off
	v_mov_b32_e32 v21, s3
	global_load_dwordx2 v[19:20], v[8:9], off
	s_waitcnt vmcnt(1)
	v_subrev_u32_e32 v17, s14, v17
	v_mad_u64_u32 v[17:18], s[8:9], v17, 27, v[7:8]
	v_ashrrev_i32_e32 v18, 31, v17
	v_lshlrev_b64 v[17:18], 3, v[17:18]
	v_add_co_u32_e32 v17, vcc, s2, v17
	v_addc_co_u32_e32 v18, vcc, v21, v18, vcc
	global_load_dwordx2 v[17:18], v[17:18], off
	v_add_co_u32_e32 v8, vcc, 0x16c8, v8
	v_addc_co_u32_e32 v9, vcc, 0, v9, vcc
	s_waitcnt vmcnt(0)
	v_fma_f64 v[5:6], v[19:20], v[17:18], v[5:6]
	s_branch .LBB90_9
.LBB90_12:
	s_and_b64 vcc, exec, s[16:17]
	ds_write_b64 v14, v[5:6]
	s_waitcnt lgkmcnt(0)
	s_barrier
	s_cbranch_vccz .LBB90_24
; %bb.13:
	v_cmp_gt_u16_e32 vcc, 11, v15
	s_and_saveexec_b64 s[0:1], vcc
	s_cbranch_execz .LBB90_15
; %bb.14:
	ds_read2_b64 v[7:10], v14 offset1:16
	s_waitcnt lgkmcnt(0)
	v_add_f64 v[7:8], v[9:10], v[7:8]
	ds_write_b64 v14, v[7:8]
.LBB90_15:
	s_or_b64 exec, exec, s[0:1]
	v_cmp_gt_u16_e32 vcc, 8, v15
	s_waitcnt lgkmcnt(0)
	s_barrier
	s_and_saveexec_b64 s[0:1], vcc
	s_cbranch_execz .LBB90_17
; %bb.16:
	ds_read2_b64 v[7:10], v14 offset1:8
	s_waitcnt lgkmcnt(0)
	v_add_f64 v[7:8], v[9:10], v[7:8]
	ds_write_b64 v14, v[7:8]
.LBB90_17:
	s_or_b64 exec, exec, s[0:1]
	v_cmp_gt_u16_e32 vcc, 4, v15
	s_waitcnt lgkmcnt(0)
	s_barrier
	s_and_saveexec_b64 s[0:1], vcc
	s_cbranch_execz .LBB90_19
; %bb.18:
	ds_read2_b64 v[7:10], v14 offset1:4
	s_waitcnt lgkmcnt(0)
	v_add_f64 v[7:8], v[9:10], v[7:8]
	ds_write_b64 v14, v[7:8]
.LBB90_19:
	s_or_b64 exec, exec, s[0:1]
	v_cmp_gt_u16_e32 vcc, 2, v15
	s_waitcnt lgkmcnt(0)
	s_barrier
	s_and_saveexec_b64 s[0:1], vcc
	s_cbranch_execz .LBB90_21
; %bb.20:
	ds_read2_b64 v[7:10], v14 offset1:2
	s_waitcnt lgkmcnt(0)
	v_add_f64 v[7:8], v[9:10], v[7:8]
	ds_write_b64 v14, v[7:8]
.LBB90_21:
	s_or_b64 exec, exec, s[0:1]
	v_mov_b32_e32 v8, v6
	v_cmp_gt_u32_e32 vcc, 27, v0
	v_mov_b32_e32 v7, v5
	s_waitcnt lgkmcnt(0)
	s_barrier
	s_and_saveexec_b64 s[0:1], vcc
	s_cbranch_execz .LBB90_23
; %bb.22:
	s_movk_i32 s2, 0xd0
	v_mad_u32_u24 v7, v0, s2, v14
	ds_read2_b64 v[7:10], v7 offset1:1
	s_waitcnt lgkmcnt(0)
	v_add_f64 v[7:8], v[7:8], v[9:10]
.LBB90_23:
	s_or_b64 exec, exec, s[0:1]
	s_branch .LBB90_36
.LBB90_24:
                                        ; implicit-def: $vgpr7_vgpr8
	s_cbranch_execz .LBB90_36
; %bb.25:
	s_movk_i32 s0, 0x129
	v_cmp_gt_u32_e32 vcc, s0, v0
	s_and_saveexec_b64 s[0:1], vcc
	s_cbranch_execz .LBB90_27
; %bb.26:
	ds_read_b64 v[7:8], v14 offset:3456
	ds_read_b64 v[9:10], v14
	s_waitcnt lgkmcnt(0)
	v_add_f64 v[7:8], v[7:8], v[9:10]
	ds_write_b64 v14, v[7:8]
.LBB90_27:
	s_or_b64 exec, exec, s[0:1]
	s_movk_i32 s0, 0xd8
	v_cmp_gt_u32_e32 vcc, s0, v0
	s_waitcnt lgkmcnt(0)
	s_barrier
	s_and_saveexec_b64 s[0:1], vcc
	s_cbranch_execz .LBB90_29
; %bb.28:
	ds_read2_b64 v[7:10], v14 offset1:216
	s_waitcnt lgkmcnt(0)
	v_add_f64 v[7:8], v[9:10], v[7:8]
	ds_write_b64 v14, v[7:8]
.LBB90_29:
	s_or_b64 exec, exec, s[0:1]
	s_movk_i32 s0, 0x6c
	v_cmp_gt_u32_e32 vcc, s0, v0
	s_waitcnt lgkmcnt(0)
	s_barrier
	s_and_saveexec_b64 s[0:1], vcc
	s_cbranch_execz .LBB90_31
; %bb.30:
	ds_read2_b64 v[7:10], v14 offset1:108
	s_waitcnt lgkmcnt(0)
	v_add_f64 v[7:8], v[9:10], v[7:8]
	ds_write_b64 v14, v[7:8]
.LBB90_31:
	s_or_b64 exec, exec, s[0:1]
	v_cmp_gt_u32_e32 vcc, 54, v0
	s_waitcnt lgkmcnt(0)
	s_barrier
	s_and_saveexec_b64 s[0:1], vcc
	s_cbranch_execz .LBB90_33
; %bb.32:
	ds_read2_b64 v[7:10], v14 offset1:54
	s_waitcnt lgkmcnt(0)
	v_add_f64 v[7:8], v[9:10], v[7:8]
	ds_write_b64 v14, v[7:8]
.LBB90_33:
	s_or_b64 exec, exec, s[0:1]
	v_cmp_gt_u32_e32 vcc, 27, v0
	s_waitcnt lgkmcnt(0)
	s_and_saveexec_b64 s[0:1], vcc
	s_cbranch_execz .LBB90_35
; %bb.34:
	ds_read2_b64 v[5:8], v14 offset1:27
	s_waitcnt lgkmcnt(0)
	v_add_f64 v[5:6], v[5:6], v[7:8]
.LBB90_35:
	s_or_b64 exec, exec, s[0:1]
	v_mov_b32_e32 v8, v6
	v_mov_b32_e32 v7, v5
.LBB90_36:
	v_cmp_gt_u32_e32 vcc, 27, v0
	s_and_b64 exec, exec, vcc
	s_cbranch_execz .LBB90_41
; %bb.37:
	v_cmp_eq_f64_e32 vcc, 0, v[1:2]
	v_mul_f64 v[3:4], v[3:4], v[7:8]
	s_and_saveexec_b64 s[0:1], vcc
	s_xor_b64 s[0:1], exec, s[0:1]
	s_cbranch_execz .LBB90_39
; %bb.38:
	v_mad_u64_u32 v[0:1], s[2:3], s6, 27, v[0:1]
	v_mov_b32_e32 v1, 0
	v_mov_b32_e32 v2, s13
	v_lshlrev_b64 v[0:1], 3, v[0:1]
	v_add_co_u32_e32 v0, vcc, s12, v0
	v_addc_co_u32_e32 v1, vcc, v2, v1, vcc
	global_store_dwordx2 v[0:1], v[3:4], off
                                        ; implicit-def: $vgpr0
                                        ; implicit-def: $vgpr1_vgpr2
                                        ; implicit-def: $vgpr3_vgpr4
.LBB90_39:
	s_andn2_saveexec_b64 s[0:1], s[0:1]
	s_cbranch_execz .LBB90_41
; %bb.40:
	v_mad_u64_u32 v[5:6], s[0:1], s6, 27, v[0:1]
	v_mov_b32_e32 v6, 0
	v_mov_b32_e32 v0, s13
	v_lshlrev_b64 v[5:6], 3, v[5:6]
	v_add_co_u32_e32 v5, vcc, s12, v5
	v_addc_co_u32_e32 v6, vcc, v0, v6, vcc
	global_load_dwordx2 v[7:8], v[5:6], off
	s_waitcnt vmcnt(0)
	v_fma_f64 v[0:1], v[1:2], v[7:8], v[3:4]
	global_store_dwordx2 v[5:6], v[0:1], off
.LBB90_41:
	s_endpgm
	.section	.rodata,"a",@progbits
	.p2align	6, 0x0
	.amdhsa_kernel _ZN9rocsparseL20bsrxmvn_17_32_kernelILj27EdlidddEEvT2_20rocsparse_direction_NS_24const_host_device_scalarIT0_EES1_PKS1_PKT1_SA_S7_PKT3_PKT4_S5_PT5_21rocsparse_index_base_b
		.amdhsa_group_segment_fixed_size 5832
		.amdhsa_private_segment_fixed_size 0
		.amdhsa_kernarg_size 96
		.amdhsa_user_sgpr_count 6
		.amdhsa_user_sgpr_private_segment_buffer 1
		.amdhsa_user_sgpr_dispatch_ptr 0
		.amdhsa_user_sgpr_queue_ptr 0
		.amdhsa_user_sgpr_kernarg_segment_ptr 1
		.amdhsa_user_sgpr_dispatch_id 0
		.amdhsa_user_sgpr_flat_scratch_init 0
		.amdhsa_user_sgpr_private_segment_size 0
		.amdhsa_uses_dynamic_stack 0
		.amdhsa_system_sgpr_private_segment_wavefront_offset 0
		.amdhsa_system_sgpr_workgroup_id_x 1
		.amdhsa_system_sgpr_workgroup_id_y 0
		.amdhsa_system_sgpr_workgroup_id_z 0
		.amdhsa_system_sgpr_workgroup_info 0
		.amdhsa_system_vgpr_workitem_id 0
		.amdhsa_next_free_vgpr 25
		.amdhsa_next_free_sgpr 61
		.amdhsa_reserve_vcc 1
		.amdhsa_reserve_flat_scratch 0
		.amdhsa_float_round_mode_32 0
		.amdhsa_float_round_mode_16_64 0
		.amdhsa_float_denorm_mode_32 3
		.amdhsa_float_denorm_mode_16_64 3
		.amdhsa_dx10_clamp 1
		.amdhsa_ieee_mode 1
		.amdhsa_fp16_overflow 0
		.amdhsa_exception_fp_ieee_invalid_op 0
		.amdhsa_exception_fp_denorm_src 0
		.amdhsa_exception_fp_ieee_div_zero 0
		.amdhsa_exception_fp_ieee_overflow 0
		.amdhsa_exception_fp_ieee_underflow 0
		.amdhsa_exception_fp_ieee_inexact 0
		.amdhsa_exception_int_div_zero 0
	.end_amdhsa_kernel
	.section	.text._ZN9rocsparseL20bsrxmvn_17_32_kernelILj27EdlidddEEvT2_20rocsparse_direction_NS_24const_host_device_scalarIT0_EES1_PKS1_PKT1_SA_S7_PKT3_PKT4_S5_PT5_21rocsparse_index_base_b,"axG",@progbits,_ZN9rocsparseL20bsrxmvn_17_32_kernelILj27EdlidddEEvT2_20rocsparse_direction_NS_24const_host_device_scalarIT0_EES1_PKS1_PKT1_SA_S7_PKT3_PKT4_S5_PT5_21rocsparse_index_base_b,comdat
.Lfunc_end90:
	.size	_ZN9rocsparseL20bsrxmvn_17_32_kernelILj27EdlidddEEvT2_20rocsparse_direction_NS_24const_host_device_scalarIT0_EES1_PKS1_PKT1_SA_S7_PKT3_PKT4_S5_PT5_21rocsparse_index_base_b, .Lfunc_end90-_ZN9rocsparseL20bsrxmvn_17_32_kernelILj27EdlidddEEvT2_20rocsparse_direction_NS_24const_host_device_scalarIT0_EES1_PKS1_PKT1_SA_S7_PKT3_PKT4_S5_PT5_21rocsparse_index_base_b
                                        ; -- End function
	.set _ZN9rocsparseL20bsrxmvn_17_32_kernelILj27EdlidddEEvT2_20rocsparse_direction_NS_24const_host_device_scalarIT0_EES1_PKS1_PKT1_SA_S7_PKT3_PKT4_S5_PT5_21rocsparse_index_base_b.num_vgpr, 22
	.set _ZN9rocsparseL20bsrxmvn_17_32_kernelILj27EdlidddEEvT2_20rocsparse_direction_NS_24const_host_device_scalarIT0_EES1_PKS1_PKT1_SA_S7_PKT3_PKT4_S5_PT5_21rocsparse_index_base_b.num_agpr, 0
	.set _ZN9rocsparseL20bsrxmvn_17_32_kernelILj27EdlidddEEvT2_20rocsparse_direction_NS_24const_host_device_scalarIT0_EES1_PKS1_PKT1_SA_S7_PKT3_PKT4_S5_PT5_21rocsparse_index_base_b.numbered_sgpr, 22
	.set _ZN9rocsparseL20bsrxmvn_17_32_kernelILj27EdlidddEEvT2_20rocsparse_direction_NS_24const_host_device_scalarIT0_EES1_PKS1_PKT1_SA_S7_PKT3_PKT4_S5_PT5_21rocsparse_index_base_b.num_named_barrier, 0
	.set _ZN9rocsparseL20bsrxmvn_17_32_kernelILj27EdlidddEEvT2_20rocsparse_direction_NS_24const_host_device_scalarIT0_EES1_PKS1_PKT1_SA_S7_PKT3_PKT4_S5_PT5_21rocsparse_index_base_b.private_seg_size, 0
	.set _ZN9rocsparseL20bsrxmvn_17_32_kernelILj27EdlidddEEvT2_20rocsparse_direction_NS_24const_host_device_scalarIT0_EES1_PKS1_PKT1_SA_S7_PKT3_PKT4_S5_PT5_21rocsparse_index_base_b.uses_vcc, 1
	.set _ZN9rocsparseL20bsrxmvn_17_32_kernelILj27EdlidddEEvT2_20rocsparse_direction_NS_24const_host_device_scalarIT0_EES1_PKS1_PKT1_SA_S7_PKT3_PKT4_S5_PT5_21rocsparse_index_base_b.uses_flat_scratch, 0
	.set _ZN9rocsparseL20bsrxmvn_17_32_kernelILj27EdlidddEEvT2_20rocsparse_direction_NS_24const_host_device_scalarIT0_EES1_PKS1_PKT1_SA_S7_PKT3_PKT4_S5_PT5_21rocsparse_index_base_b.has_dyn_sized_stack, 0
	.set _ZN9rocsparseL20bsrxmvn_17_32_kernelILj27EdlidddEEvT2_20rocsparse_direction_NS_24const_host_device_scalarIT0_EES1_PKS1_PKT1_SA_S7_PKT3_PKT4_S5_PT5_21rocsparse_index_base_b.has_recursion, 0
	.set _ZN9rocsparseL20bsrxmvn_17_32_kernelILj27EdlidddEEvT2_20rocsparse_direction_NS_24const_host_device_scalarIT0_EES1_PKS1_PKT1_SA_S7_PKT3_PKT4_S5_PT5_21rocsparse_index_base_b.has_indirect_call, 0
	.section	.AMDGPU.csdata,"",@progbits
; Kernel info:
; codeLenInByte = 1408
; TotalNumSgprs: 26
; NumVgprs: 22
; ScratchSize: 0
; MemoryBound: 0
; FloatMode: 240
; IeeeMode: 1
; LDSByteSize: 5832 bytes/workgroup (compile time only)
; SGPRBlocks: 8
; VGPRBlocks: 6
; NumSGPRsForWavesPerEU: 65
; NumVGPRsForWavesPerEU: 25
; Occupancy: 9
; WaveLimiterHint : 1
; COMPUTE_PGM_RSRC2:SCRATCH_EN: 0
; COMPUTE_PGM_RSRC2:USER_SGPR: 6
; COMPUTE_PGM_RSRC2:TRAP_HANDLER: 0
; COMPUTE_PGM_RSRC2:TGID_X_EN: 1
; COMPUTE_PGM_RSRC2:TGID_Y_EN: 0
; COMPUTE_PGM_RSRC2:TGID_Z_EN: 0
; COMPUTE_PGM_RSRC2:TIDIG_COMP_CNT: 0
	.section	.text._ZN9rocsparseL20bsrxmvn_17_32_kernelILj28EdlidddEEvT2_20rocsparse_direction_NS_24const_host_device_scalarIT0_EES1_PKS1_PKT1_SA_S7_PKT3_PKT4_S5_PT5_21rocsparse_index_base_b,"axG",@progbits,_ZN9rocsparseL20bsrxmvn_17_32_kernelILj28EdlidddEEvT2_20rocsparse_direction_NS_24const_host_device_scalarIT0_EES1_PKS1_PKT1_SA_S7_PKT3_PKT4_S5_PT5_21rocsparse_index_base_b,comdat
	.globl	_ZN9rocsparseL20bsrxmvn_17_32_kernelILj28EdlidddEEvT2_20rocsparse_direction_NS_24const_host_device_scalarIT0_EES1_PKS1_PKT1_SA_S7_PKT3_PKT4_S5_PT5_21rocsparse_index_base_b ; -- Begin function _ZN9rocsparseL20bsrxmvn_17_32_kernelILj28EdlidddEEvT2_20rocsparse_direction_NS_24const_host_device_scalarIT0_EES1_PKS1_PKT1_SA_S7_PKT3_PKT4_S5_PT5_21rocsparse_index_base_b
	.p2align	8
	.type	_ZN9rocsparseL20bsrxmvn_17_32_kernelILj28EdlidddEEvT2_20rocsparse_direction_NS_24const_host_device_scalarIT0_EES1_PKS1_PKT1_SA_S7_PKT3_PKT4_S5_PT5_21rocsparse_index_base_b,@function
_ZN9rocsparseL20bsrxmvn_17_32_kernelILj28EdlidddEEvT2_20rocsparse_direction_NS_24const_host_device_scalarIT0_EES1_PKS1_PKT1_SA_S7_PKT3_PKT4_S5_PT5_21rocsparse_index_base_b: ; @_ZN9rocsparseL20bsrxmvn_17_32_kernelILj28EdlidddEEvT2_20rocsparse_direction_NS_24const_host_device_scalarIT0_EES1_PKS1_PKT1_SA_S7_PKT3_PKT4_S5_PT5_21rocsparse_index_base_b
; %bb.0:
	s_load_dwordx2 s[14:15], s[4:5], 0x58
	s_load_dwordx2 s[8:9], s[4:5], 0x8
	;; [unrolled: 1-line block ×3, first 2 shown]
	s_waitcnt lgkmcnt(0)
	s_bitcmp1_b32 s15, 0
	s_cselect_b64 s[10:11], -1, 0
	v_mov_b32_e32 v3, s8
	s_xor_b64 s[2:3], s[10:11], -1
	s_and_b64 vcc, exec, s[10:11]
	v_mov_b32_e32 v4, s9
	s_cbranch_vccnz .LBB91_2
; %bb.1:
	v_mov_b32_e32 v1, s8
	v_mov_b32_e32 v2, s9
	flat_load_dwordx2 v[3:4], v[1:2]
.LBB91_2:
	v_mov_b32_e32 v2, s1
	s_andn2_b64 vcc, exec, s[2:3]
	v_mov_b32_e32 v1, s0
	s_cbranch_vccnz .LBB91_4
; %bb.3:
	v_mov_b32_e32 v2, s1
	v_mov_b32_e32 v1, s0
	flat_load_dwordx2 v[1:2], v[1:2]
.LBB91_4:
	s_waitcnt vmcnt(0) lgkmcnt(0)
	v_cmp_neq_f64_e32 vcc, 0, v[3:4]
	v_cmp_neq_f64_e64 s[0:1], 1.0, v[1:2]
	s_or_b64 s[0:1], vcc, s[0:1]
	s_and_saveexec_b64 s[2:3], s[0:1]
	s_cbranch_execz .LBB91_41
; %bb.5:
	s_load_dwordx4 s[0:3], s[4:5], 0x18
	s_load_dwordx2 s[8:9], s[4:5], 0x28
	s_waitcnt lgkmcnt(0)
	s_cmp_eq_u64 s[0:1], 0
	s_cbranch_scc1 .LBB91_7
; %bb.6:
	s_ashr_i32 s7, s6, 31
	s_lshl_b64 s[6:7], s[6:7], 2
	s_add_u32 s0, s0, s6
	s_addc_u32 s1, s1, s7
	s_load_dword s0, s[0:1], 0x0
	s_waitcnt lgkmcnt(0)
	s_sub_i32 s6, s0, s14
.LBB91_7:
	s_load_dword s7, s[4:5], 0x4
	s_load_dwordx2 s[12:13], s[4:5], 0x50
	v_mul_u32_u24_e32 v7, 0x925, v0
	v_mov_b32_e32 v5, 28
	v_mul_lo_u16_sdwa v5, v7, v5 dst_sel:DWORD dst_unused:UNUSED_PAD src0_sel:WORD_1 src1_sel:DWORD
	s_waitcnt lgkmcnt(0)
	s_cmp_eq_u32 s7, 1
	s_cselect_b64 s[0:1], -1, 0
	s_cmp_lg_u32 s7, 1
	s_cselect_b64 s[16:17], -1, 0
	s_ashr_i32 s7, s6, 31
	s_lshl_b64 s[10:11], s[6:7], 3
	s_add_u32 s2, s2, s10
	s_addc_u32 s3, s3, s11
	s_add_u32 s7, s2, 8
	s_addc_u32 s15, s3, 0
	;; [unrolled: 2-line block ×3, first 2 shown]
	s_cmp_eq_u64 s[8:9], 0
	s_cselect_b32 s9, s15, s11
	s_cselect_b32 s8, s7, s10
	s_load_dwordx2 s[18:19], s[8:9], 0x0
	s_load_dwordx2 s[20:21], s[2:3], 0x0
	v_sub_u16_e32 v15, v0, v5
	v_lshlrev_b32_e32 v14, 3, v0
	s_waitcnt lgkmcnt(0)
	v_mov_b32_e32 v5, s18
	v_mov_b32_e32 v6, s19
	v_cmp_ge_i64_e32 vcc, s[20:21], v[5:6]
	v_mov_b32_e32 v5, 0
	v_mov_b32_e32 v6, 0
	s_cbranch_vccnz .LBB91_12
; %bb.8:
	s_load_dwordx4 s[8:11], s[4:5], 0x30
	s_load_dwordx2 s[2:3], s[4:5], 0x40
	s_sub_u32 s4, s18, s14
	s_mov_b32 s7, 0xffff
	s_subb_u32 s5, s19, 0
	s_movk_i32 s15, 0x310
	v_and_b32_sdwa v5, s7, v7 dst_sel:DWORD dst_unused:UNUSED_PAD src0_sel:DWORD src1_sel:WORD_1
	v_subrev_u32_e32 v6, 28, v5
	v_cmp_gt_u32_e32 vcc, s15, v0
	s_sub_u32 s18, s20, s14
	v_cndmask_b32_e32 v5, v6, v5, vcc
	s_subb_u32 s19, s21, 0
	v_cndmask_b32_e64 v7, v15, v5, s[0:1]
	s_mul_i32 s0, s19, 0x1880
	s_mul_hi_u32 s1, s18, 0x1880
	s_add_i32 s1, s1, s0
	s_mul_i32 s0, s18, 0x1880
	s_waitcnt lgkmcnt(0)
	s_add_u32 s0, s10, s0
	s_addc_u32 s1, s11, s1
	v_mov_b32_e32 v5, s1
	v_add_co_u32_e32 v8, vcc, s0, v14
	v_addc_co_u32_e32 v9, vcc, 0, v5, vcc
	s_movk_i32 s0, 0x30f
	v_cmp_lt_u32_e32 vcc, s0, v0
	v_cndmask_b32_e64 v16, 0, 1, vcc
	v_mov_b32_e32 v5, s21
	v_add_co_u32_e32 v6, vcc, s20, v16
	v_addc_co_u32_e32 v10, vcc, 0, v5, vcc
	v_subrev_co_u32_e32 v5, vcc, s14, v6
	v_subbrev_co_u32_e32 v6, vcc, 0, v10, vcc
	v_lshlrev_b64 v[5:6], 2, v[5:6]
	v_mov_b32_e32 v11, s9
	v_add_co_u32_e32 v10, vcc, s8, v5
	v_addc_co_u32_e32 v11, vcc, v11, v6, vcc
	v_mov_b32_e32 v5, 0
	v_mov_b32_e32 v13, s5
	;; [unrolled: 1-line block ×4, first 2 shown]
	s_branch .LBB91_10
.LBB91_9:                               ;   in Loop: Header=BB91_10 Depth=1
	s_or_b64 exec, exec, s[0:1]
	s_add_u32 s18, s18, 1
	s_addc_u32 s19, s19, 0
	v_cmp_lt_i64_e32 vcc, s[18:19], v[12:13]
	v_add_co_u32_e64 v10, s[0:1], 4, v10
	v_addc_co_u32_e64 v11, s[0:1], 0, v11, s[0:1]
	s_cbranch_vccz .LBB91_12
.LBB91_10:                              ; =>This Inner Loop Header: Depth=1
	v_mov_b32_e32 v18, s19
	v_add_co_u32_e32 v17, vcc, s18, v16
	v_addc_co_u32_e32 v18, vcc, 0, v18, vcc
	v_cmp_gt_i64_e32 vcc, s[4:5], v[17:18]
	s_and_saveexec_b64 s[0:1], vcc
	s_cbranch_execz .LBB91_9
; %bb.11:                               ;   in Loop: Header=BB91_10 Depth=1
	global_load_dword v17, v[10:11], off
	v_mov_b32_e32 v21, s3
	global_load_dwordx2 v[19:20], v[8:9], off
	s_waitcnt vmcnt(1)
	v_subrev_u32_e32 v17, s14, v17
	v_mad_u64_u32 v[17:18], s[8:9], v17, 28, v[7:8]
	v_ashrrev_i32_e32 v18, 31, v17
	v_lshlrev_b64 v[17:18], 3, v[17:18]
	v_add_co_u32_e32 v17, vcc, s2, v17
	v_addc_co_u32_e32 v18, vcc, v21, v18, vcc
	global_load_dwordx2 v[17:18], v[17:18], off
	v_add_co_u32_e32 v8, vcc, 0x1880, v8
	v_addc_co_u32_e32 v9, vcc, 0, v9, vcc
	s_waitcnt vmcnt(0)
	v_fma_f64 v[5:6], v[19:20], v[17:18], v[5:6]
	s_branch .LBB91_9
.LBB91_12:
	s_and_b64 vcc, exec, s[16:17]
	ds_write_b64 v14, v[5:6]
	s_waitcnt lgkmcnt(0)
	s_barrier
	s_cbranch_vccz .LBB91_24
; %bb.13:
	v_cmp_gt_u16_e32 vcc, 12, v15
	s_and_saveexec_b64 s[0:1], vcc
	s_cbranch_execz .LBB91_15
; %bb.14:
	ds_read2_b64 v[7:10], v14 offset1:16
	s_waitcnt lgkmcnt(0)
	v_add_f64 v[7:8], v[9:10], v[7:8]
	ds_write_b64 v14, v[7:8]
.LBB91_15:
	s_or_b64 exec, exec, s[0:1]
	v_cmp_gt_u16_e32 vcc, 8, v15
	s_waitcnt lgkmcnt(0)
	s_barrier
	s_and_saveexec_b64 s[0:1], vcc
	s_cbranch_execz .LBB91_17
; %bb.16:
	ds_read2_b64 v[7:10], v14 offset1:8
	s_waitcnt lgkmcnt(0)
	v_add_f64 v[7:8], v[9:10], v[7:8]
	ds_write_b64 v14, v[7:8]
.LBB91_17:
	s_or_b64 exec, exec, s[0:1]
	v_cmp_gt_u16_e32 vcc, 4, v15
	s_waitcnt lgkmcnt(0)
	s_barrier
	;; [unrolled: 12-line block ×3, first 2 shown]
	s_and_saveexec_b64 s[0:1], vcc
	s_cbranch_execz .LBB91_21
; %bb.20:
	ds_read2_b64 v[7:10], v14 offset1:2
	s_waitcnt lgkmcnt(0)
	v_add_f64 v[7:8], v[9:10], v[7:8]
	ds_write_b64 v14, v[7:8]
.LBB91_21:
	s_or_b64 exec, exec, s[0:1]
	v_mov_b32_e32 v8, v6
	v_cmp_gt_u32_e32 vcc, 28, v0
	v_mov_b32_e32 v7, v5
	s_waitcnt lgkmcnt(0)
	s_barrier
	s_and_saveexec_b64 s[0:1], vcc
	s_cbranch_execz .LBB91_23
; %bb.22:
	s_movk_i32 s2, 0xd8
	v_mad_u32_u24 v7, v0, s2, v14
	ds_read_b128 v[7:10], v7
	s_waitcnt lgkmcnt(0)
	v_add_f64 v[7:8], v[7:8], v[9:10]
.LBB91_23:
	s_or_b64 exec, exec, s[0:1]
	s_branch .LBB91_36
.LBB91_24:
                                        ; implicit-def: $vgpr7_vgpr8
	s_cbranch_execz .LBB91_36
; %bb.25:
	s_movk_i32 s0, 0x150
	v_cmp_gt_u32_e32 vcc, s0, v0
	s_and_saveexec_b64 s[0:1], vcc
	s_cbranch_execz .LBB91_27
; %bb.26:
	ds_read2st64_b64 v[7:10], v14 offset1:7
	s_waitcnt lgkmcnt(0)
	v_add_f64 v[7:8], v[9:10], v[7:8]
	ds_write_b64 v14, v[7:8]
.LBB91_27:
	s_or_b64 exec, exec, s[0:1]
	s_movk_i32 s0, 0xe0
	v_cmp_gt_u32_e32 vcc, s0, v0
	s_waitcnt lgkmcnt(0)
	s_barrier
	s_and_saveexec_b64 s[0:1], vcc
	s_cbranch_execz .LBB91_29
; %bb.28:
	ds_read2_b64 v[7:10], v14 offset1:224
	s_waitcnt lgkmcnt(0)
	v_add_f64 v[7:8], v[9:10], v[7:8]
	ds_write_b64 v14, v[7:8]
.LBB91_29:
	s_or_b64 exec, exec, s[0:1]
	s_movk_i32 s0, 0x70
	v_cmp_gt_u32_e32 vcc, s0, v0
	s_waitcnt lgkmcnt(0)
	s_barrier
	s_and_saveexec_b64 s[0:1], vcc
	s_cbranch_execz .LBB91_31
; %bb.30:
	ds_read2_b64 v[7:10], v14 offset1:112
	s_waitcnt lgkmcnt(0)
	v_add_f64 v[7:8], v[9:10], v[7:8]
	ds_write_b64 v14, v[7:8]
.LBB91_31:
	s_or_b64 exec, exec, s[0:1]
	v_cmp_gt_u32_e32 vcc, 56, v0
	s_waitcnt lgkmcnt(0)
	s_barrier
	s_and_saveexec_b64 s[0:1], vcc
	s_cbranch_execz .LBB91_33
; %bb.32:
	ds_read2_b64 v[7:10], v14 offset1:56
	s_waitcnt lgkmcnt(0)
	v_add_f64 v[7:8], v[9:10], v[7:8]
	ds_write_b64 v14, v[7:8]
.LBB91_33:
	s_or_b64 exec, exec, s[0:1]
	v_cmp_gt_u32_e32 vcc, 28, v0
	s_waitcnt lgkmcnt(0)
	s_and_saveexec_b64 s[0:1], vcc
	s_cbranch_execz .LBB91_35
; %bb.34:
	ds_read2_b64 v[5:8], v14 offset1:28
	s_waitcnt lgkmcnt(0)
	v_add_f64 v[5:6], v[5:6], v[7:8]
.LBB91_35:
	s_or_b64 exec, exec, s[0:1]
	v_mov_b32_e32 v8, v6
	v_mov_b32_e32 v7, v5
.LBB91_36:
	v_cmp_gt_u32_e32 vcc, 28, v0
	s_and_b64 exec, exec, vcc
	s_cbranch_execz .LBB91_41
; %bb.37:
	v_cmp_eq_f64_e32 vcc, 0, v[1:2]
	v_mul_f64 v[3:4], v[3:4], v[7:8]
	s_and_saveexec_b64 s[0:1], vcc
	s_xor_b64 s[0:1], exec, s[0:1]
	s_cbranch_execz .LBB91_39
; %bb.38:
	v_mad_u64_u32 v[0:1], s[2:3], s6, 28, v[0:1]
	v_mov_b32_e32 v1, 0
	v_mov_b32_e32 v2, s13
	v_lshlrev_b64 v[0:1], 3, v[0:1]
	v_add_co_u32_e32 v0, vcc, s12, v0
	v_addc_co_u32_e32 v1, vcc, v2, v1, vcc
	global_store_dwordx2 v[0:1], v[3:4], off
                                        ; implicit-def: $vgpr0
                                        ; implicit-def: $vgpr1_vgpr2
                                        ; implicit-def: $vgpr3_vgpr4
.LBB91_39:
	s_andn2_saveexec_b64 s[0:1], s[0:1]
	s_cbranch_execz .LBB91_41
; %bb.40:
	v_mad_u64_u32 v[5:6], s[0:1], s6, 28, v[0:1]
	v_mov_b32_e32 v6, 0
	v_mov_b32_e32 v0, s13
	v_lshlrev_b64 v[5:6], 3, v[5:6]
	v_add_co_u32_e32 v5, vcc, s12, v5
	v_addc_co_u32_e32 v6, vcc, v0, v6, vcc
	global_load_dwordx2 v[7:8], v[5:6], off
	s_waitcnt vmcnt(0)
	v_fma_f64 v[0:1], v[1:2], v[7:8], v[3:4]
	global_store_dwordx2 v[5:6], v[0:1], off
.LBB91_41:
	s_endpgm
	.section	.rodata,"a",@progbits
	.p2align	6, 0x0
	.amdhsa_kernel _ZN9rocsparseL20bsrxmvn_17_32_kernelILj28EdlidddEEvT2_20rocsparse_direction_NS_24const_host_device_scalarIT0_EES1_PKS1_PKT1_SA_S7_PKT3_PKT4_S5_PT5_21rocsparse_index_base_b
		.amdhsa_group_segment_fixed_size 6272
		.amdhsa_private_segment_fixed_size 0
		.amdhsa_kernarg_size 96
		.amdhsa_user_sgpr_count 6
		.amdhsa_user_sgpr_private_segment_buffer 1
		.amdhsa_user_sgpr_dispatch_ptr 0
		.amdhsa_user_sgpr_queue_ptr 0
		.amdhsa_user_sgpr_kernarg_segment_ptr 1
		.amdhsa_user_sgpr_dispatch_id 0
		.amdhsa_user_sgpr_flat_scratch_init 0
		.amdhsa_user_sgpr_private_segment_size 0
		.amdhsa_uses_dynamic_stack 0
		.amdhsa_system_sgpr_private_segment_wavefront_offset 0
		.amdhsa_system_sgpr_workgroup_id_x 1
		.amdhsa_system_sgpr_workgroup_id_y 0
		.amdhsa_system_sgpr_workgroup_id_z 0
		.amdhsa_system_sgpr_workgroup_info 0
		.amdhsa_system_vgpr_workitem_id 0
		.amdhsa_next_free_vgpr 22
		.amdhsa_next_free_sgpr 22
		.amdhsa_reserve_vcc 1
		.amdhsa_reserve_flat_scratch 0
		.amdhsa_float_round_mode_32 0
		.amdhsa_float_round_mode_16_64 0
		.amdhsa_float_denorm_mode_32 3
		.amdhsa_float_denorm_mode_16_64 3
		.amdhsa_dx10_clamp 1
		.amdhsa_ieee_mode 1
		.amdhsa_fp16_overflow 0
		.amdhsa_exception_fp_ieee_invalid_op 0
		.amdhsa_exception_fp_denorm_src 0
		.amdhsa_exception_fp_ieee_div_zero 0
		.amdhsa_exception_fp_ieee_overflow 0
		.amdhsa_exception_fp_ieee_underflow 0
		.amdhsa_exception_fp_ieee_inexact 0
		.amdhsa_exception_int_div_zero 0
	.end_amdhsa_kernel
	.section	.text._ZN9rocsparseL20bsrxmvn_17_32_kernelILj28EdlidddEEvT2_20rocsparse_direction_NS_24const_host_device_scalarIT0_EES1_PKS1_PKT1_SA_S7_PKT3_PKT4_S5_PT5_21rocsparse_index_base_b,"axG",@progbits,_ZN9rocsparseL20bsrxmvn_17_32_kernelILj28EdlidddEEvT2_20rocsparse_direction_NS_24const_host_device_scalarIT0_EES1_PKS1_PKT1_SA_S7_PKT3_PKT4_S5_PT5_21rocsparse_index_base_b,comdat
.Lfunc_end91:
	.size	_ZN9rocsparseL20bsrxmvn_17_32_kernelILj28EdlidddEEvT2_20rocsparse_direction_NS_24const_host_device_scalarIT0_EES1_PKS1_PKT1_SA_S7_PKT3_PKT4_S5_PT5_21rocsparse_index_base_b, .Lfunc_end91-_ZN9rocsparseL20bsrxmvn_17_32_kernelILj28EdlidddEEvT2_20rocsparse_direction_NS_24const_host_device_scalarIT0_EES1_PKS1_PKT1_SA_S7_PKT3_PKT4_S5_PT5_21rocsparse_index_base_b
                                        ; -- End function
	.set _ZN9rocsparseL20bsrxmvn_17_32_kernelILj28EdlidddEEvT2_20rocsparse_direction_NS_24const_host_device_scalarIT0_EES1_PKS1_PKT1_SA_S7_PKT3_PKT4_S5_PT5_21rocsparse_index_base_b.num_vgpr, 22
	.set _ZN9rocsparseL20bsrxmvn_17_32_kernelILj28EdlidddEEvT2_20rocsparse_direction_NS_24const_host_device_scalarIT0_EES1_PKS1_PKT1_SA_S7_PKT3_PKT4_S5_PT5_21rocsparse_index_base_b.num_agpr, 0
	.set _ZN9rocsparseL20bsrxmvn_17_32_kernelILj28EdlidddEEvT2_20rocsparse_direction_NS_24const_host_device_scalarIT0_EES1_PKS1_PKT1_SA_S7_PKT3_PKT4_S5_PT5_21rocsparse_index_base_b.numbered_sgpr, 22
	.set _ZN9rocsparseL20bsrxmvn_17_32_kernelILj28EdlidddEEvT2_20rocsparse_direction_NS_24const_host_device_scalarIT0_EES1_PKS1_PKT1_SA_S7_PKT3_PKT4_S5_PT5_21rocsparse_index_base_b.num_named_barrier, 0
	.set _ZN9rocsparseL20bsrxmvn_17_32_kernelILj28EdlidddEEvT2_20rocsparse_direction_NS_24const_host_device_scalarIT0_EES1_PKS1_PKT1_SA_S7_PKT3_PKT4_S5_PT5_21rocsparse_index_base_b.private_seg_size, 0
	.set _ZN9rocsparseL20bsrxmvn_17_32_kernelILj28EdlidddEEvT2_20rocsparse_direction_NS_24const_host_device_scalarIT0_EES1_PKS1_PKT1_SA_S7_PKT3_PKT4_S5_PT5_21rocsparse_index_base_b.uses_vcc, 1
	.set _ZN9rocsparseL20bsrxmvn_17_32_kernelILj28EdlidddEEvT2_20rocsparse_direction_NS_24const_host_device_scalarIT0_EES1_PKS1_PKT1_SA_S7_PKT3_PKT4_S5_PT5_21rocsparse_index_base_b.uses_flat_scratch, 0
	.set _ZN9rocsparseL20bsrxmvn_17_32_kernelILj28EdlidddEEvT2_20rocsparse_direction_NS_24const_host_device_scalarIT0_EES1_PKS1_PKT1_SA_S7_PKT3_PKT4_S5_PT5_21rocsparse_index_base_b.has_dyn_sized_stack, 0
	.set _ZN9rocsparseL20bsrxmvn_17_32_kernelILj28EdlidddEEvT2_20rocsparse_direction_NS_24const_host_device_scalarIT0_EES1_PKS1_PKT1_SA_S7_PKT3_PKT4_S5_PT5_21rocsparse_index_base_b.has_recursion, 0
	.set _ZN9rocsparseL20bsrxmvn_17_32_kernelILj28EdlidddEEvT2_20rocsparse_direction_NS_24const_host_device_scalarIT0_EES1_PKS1_PKT1_SA_S7_PKT3_PKT4_S5_PT5_21rocsparse_index_base_b.has_indirect_call, 0
	.section	.AMDGPU.csdata,"",@progbits
; Kernel info:
; codeLenInByte = 1400
; TotalNumSgprs: 26
; NumVgprs: 22
; ScratchSize: 0
; MemoryBound: 0
; FloatMode: 240
; IeeeMode: 1
; LDSByteSize: 6272 bytes/workgroup (compile time only)
; SGPRBlocks: 3
; VGPRBlocks: 5
; NumSGPRsForWavesPerEU: 26
; NumVGPRsForWavesPerEU: 22
; Occupancy: 10
; WaveLimiterHint : 1
; COMPUTE_PGM_RSRC2:SCRATCH_EN: 0
; COMPUTE_PGM_RSRC2:USER_SGPR: 6
; COMPUTE_PGM_RSRC2:TRAP_HANDLER: 0
; COMPUTE_PGM_RSRC2:TGID_X_EN: 1
; COMPUTE_PGM_RSRC2:TGID_Y_EN: 0
; COMPUTE_PGM_RSRC2:TGID_Z_EN: 0
; COMPUTE_PGM_RSRC2:TIDIG_COMP_CNT: 0
	.section	.text._ZN9rocsparseL20bsrxmvn_17_32_kernelILj29EdlidddEEvT2_20rocsparse_direction_NS_24const_host_device_scalarIT0_EES1_PKS1_PKT1_SA_S7_PKT3_PKT4_S5_PT5_21rocsparse_index_base_b,"axG",@progbits,_ZN9rocsparseL20bsrxmvn_17_32_kernelILj29EdlidddEEvT2_20rocsparse_direction_NS_24const_host_device_scalarIT0_EES1_PKS1_PKT1_SA_S7_PKT3_PKT4_S5_PT5_21rocsparse_index_base_b,comdat
	.globl	_ZN9rocsparseL20bsrxmvn_17_32_kernelILj29EdlidddEEvT2_20rocsparse_direction_NS_24const_host_device_scalarIT0_EES1_PKS1_PKT1_SA_S7_PKT3_PKT4_S5_PT5_21rocsparse_index_base_b ; -- Begin function _ZN9rocsparseL20bsrxmvn_17_32_kernelILj29EdlidddEEvT2_20rocsparse_direction_NS_24const_host_device_scalarIT0_EES1_PKS1_PKT1_SA_S7_PKT3_PKT4_S5_PT5_21rocsparse_index_base_b
	.p2align	8
	.type	_ZN9rocsparseL20bsrxmvn_17_32_kernelILj29EdlidddEEvT2_20rocsparse_direction_NS_24const_host_device_scalarIT0_EES1_PKS1_PKT1_SA_S7_PKT3_PKT4_S5_PT5_21rocsparse_index_base_b,@function
_ZN9rocsparseL20bsrxmvn_17_32_kernelILj29EdlidddEEvT2_20rocsparse_direction_NS_24const_host_device_scalarIT0_EES1_PKS1_PKT1_SA_S7_PKT3_PKT4_S5_PT5_21rocsparse_index_base_b: ; @_ZN9rocsparseL20bsrxmvn_17_32_kernelILj29EdlidddEEvT2_20rocsparse_direction_NS_24const_host_device_scalarIT0_EES1_PKS1_PKT1_SA_S7_PKT3_PKT4_S5_PT5_21rocsparse_index_base_b
; %bb.0:
	s_load_dwordx2 s[14:15], s[4:5], 0x58
	s_load_dwordx2 s[8:9], s[4:5], 0x8
	;; [unrolled: 1-line block ×3, first 2 shown]
	s_waitcnt lgkmcnt(0)
	s_bitcmp1_b32 s15, 0
	s_cselect_b64 s[10:11], -1, 0
	v_mov_b32_e32 v3, s8
	s_xor_b64 s[2:3], s[10:11], -1
	s_and_b64 vcc, exec, s[10:11]
	v_mov_b32_e32 v4, s9
	s_cbranch_vccnz .LBB92_2
; %bb.1:
	v_mov_b32_e32 v1, s8
	v_mov_b32_e32 v2, s9
	flat_load_dwordx2 v[3:4], v[1:2]
.LBB92_2:
	v_mov_b32_e32 v2, s1
	s_andn2_b64 vcc, exec, s[2:3]
	v_mov_b32_e32 v1, s0
	s_cbranch_vccnz .LBB92_4
; %bb.3:
	v_mov_b32_e32 v2, s1
	v_mov_b32_e32 v1, s0
	flat_load_dwordx2 v[1:2], v[1:2]
.LBB92_4:
	s_waitcnt vmcnt(0) lgkmcnt(0)
	v_cmp_neq_f64_e32 vcc, 0, v[3:4]
	v_cmp_neq_f64_e64 s[0:1], 1.0, v[1:2]
	s_or_b64 s[0:1], vcc, s[0:1]
	s_and_saveexec_b64 s[2:3], s[0:1]
	s_cbranch_execz .LBB92_41
; %bb.5:
	s_load_dwordx4 s[0:3], s[4:5], 0x18
	s_load_dwordx2 s[8:9], s[4:5], 0x28
	s_waitcnt lgkmcnt(0)
	s_cmp_eq_u64 s[0:1], 0
	s_cbranch_scc1 .LBB92_7
; %bb.6:
	s_ashr_i32 s7, s6, 31
	s_lshl_b64 s[6:7], s[6:7], 2
	s_add_u32 s0, s0, s6
	s_addc_u32 s1, s1, s7
	s_load_dword s0, s[0:1], 0x0
	s_waitcnt lgkmcnt(0)
	s_sub_i32 s6, s0, s14
.LBB92_7:
	s_load_dword s7, s[4:5], 0x4
	s_load_dwordx2 s[12:13], s[4:5], 0x50
	v_mul_u32_u24_e32 v7, 0x8d4, v0
	v_mov_b32_e32 v5, 29
	v_mul_lo_u16_sdwa v5, v7, v5 dst_sel:DWORD dst_unused:UNUSED_PAD src0_sel:WORD_1 src1_sel:DWORD
	s_waitcnt lgkmcnt(0)
	s_cmp_eq_u32 s7, 1
	s_cselect_b64 s[0:1], -1, 0
	s_cmp_lg_u32 s7, 1
	s_cselect_b64 s[16:17], -1, 0
	s_ashr_i32 s7, s6, 31
	s_lshl_b64 s[10:11], s[6:7], 3
	s_add_u32 s2, s2, s10
	s_addc_u32 s3, s3, s11
	s_add_u32 s7, s2, 8
	s_addc_u32 s15, s3, 0
	;; [unrolled: 2-line block ×3, first 2 shown]
	s_cmp_eq_u64 s[8:9], 0
	s_cselect_b32 s9, s15, s11
	s_cselect_b32 s8, s7, s10
	s_load_dwordx2 s[18:19], s[8:9], 0x0
	s_load_dwordx2 s[20:21], s[2:3], 0x0
	v_sub_u16_e32 v15, v0, v5
	v_lshlrev_b32_e32 v14, 3, v0
	s_waitcnt lgkmcnt(0)
	v_mov_b32_e32 v5, s18
	v_mov_b32_e32 v6, s19
	v_cmp_ge_i64_e32 vcc, s[20:21], v[5:6]
	v_mov_b32_e32 v5, 0
	v_mov_b32_e32 v6, 0
	s_cbranch_vccnz .LBB92_12
; %bb.8:
	s_load_dwordx4 s[8:11], s[4:5], 0x30
	s_load_dwordx2 s[2:3], s[4:5], 0x40
	s_sub_u32 s4, s18, s14
	s_mov_b32 s7, 0xffff
	s_subb_u32 s5, s19, 0
	s_movk_i32 s15, 0x349
	v_and_b32_sdwa v5, s7, v7 dst_sel:DWORD dst_unused:UNUSED_PAD src0_sel:DWORD src1_sel:WORD_1
	v_subrev_u32_e32 v6, 29, v5
	v_cmp_gt_u32_e32 vcc, s15, v0
	s_sub_u32 s18, s20, s14
	v_cndmask_b32_e32 v5, v6, v5, vcc
	s_subb_u32 s19, s21, 0
	v_cndmask_b32_e64 v7, v15, v5, s[0:1]
	s_mul_i32 s0, s19, 0x1a48
	s_mul_hi_u32 s1, s18, 0x1a48
	s_add_i32 s1, s1, s0
	s_mul_i32 s0, s18, 0x1a48
	s_waitcnt lgkmcnt(0)
	s_add_u32 s0, s10, s0
	s_addc_u32 s1, s11, s1
	v_mov_b32_e32 v5, s1
	v_add_co_u32_e32 v8, vcc, s0, v14
	v_addc_co_u32_e32 v9, vcc, 0, v5, vcc
	s_movk_i32 s0, 0x348
	v_cmp_lt_u32_e32 vcc, s0, v0
	v_cndmask_b32_e64 v16, 0, 1, vcc
	v_mov_b32_e32 v5, s21
	v_add_co_u32_e32 v6, vcc, s20, v16
	v_addc_co_u32_e32 v10, vcc, 0, v5, vcc
	v_subrev_co_u32_e32 v5, vcc, s14, v6
	v_subbrev_co_u32_e32 v6, vcc, 0, v10, vcc
	v_lshlrev_b64 v[5:6], 2, v[5:6]
	v_mov_b32_e32 v11, s9
	v_add_co_u32_e32 v10, vcc, s8, v5
	v_addc_co_u32_e32 v11, vcc, v11, v6, vcc
	v_mov_b32_e32 v5, 0
	v_mov_b32_e32 v13, s5
	;; [unrolled: 1-line block ×4, first 2 shown]
	s_branch .LBB92_10
.LBB92_9:                               ;   in Loop: Header=BB92_10 Depth=1
	s_or_b64 exec, exec, s[0:1]
	s_add_u32 s18, s18, 1
	s_addc_u32 s19, s19, 0
	v_cmp_lt_i64_e32 vcc, s[18:19], v[12:13]
	v_add_co_u32_e64 v10, s[0:1], 4, v10
	v_addc_co_u32_e64 v11, s[0:1], 0, v11, s[0:1]
	s_cbranch_vccz .LBB92_12
.LBB92_10:                              ; =>This Inner Loop Header: Depth=1
	v_mov_b32_e32 v18, s19
	v_add_co_u32_e32 v17, vcc, s18, v16
	v_addc_co_u32_e32 v18, vcc, 0, v18, vcc
	v_cmp_gt_i64_e32 vcc, s[4:5], v[17:18]
	s_and_saveexec_b64 s[0:1], vcc
	s_cbranch_execz .LBB92_9
; %bb.11:                               ;   in Loop: Header=BB92_10 Depth=1
	global_load_dword v17, v[10:11], off
	v_mov_b32_e32 v21, s3
	global_load_dwordx2 v[19:20], v[8:9], off
	s_waitcnt vmcnt(1)
	v_subrev_u32_e32 v17, s14, v17
	v_mad_u64_u32 v[17:18], s[8:9], v17, 29, v[7:8]
	v_ashrrev_i32_e32 v18, 31, v17
	v_lshlrev_b64 v[17:18], 3, v[17:18]
	v_add_co_u32_e32 v17, vcc, s2, v17
	v_addc_co_u32_e32 v18, vcc, v21, v18, vcc
	global_load_dwordx2 v[17:18], v[17:18], off
	v_add_co_u32_e32 v8, vcc, 0x1a48, v8
	v_addc_co_u32_e32 v9, vcc, 0, v9, vcc
	s_waitcnt vmcnt(0)
	v_fma_f64 v[5:6], v[19:20], v[17:18], v[5:6]
	s_branch .LBB92_9
.LBB92_12:
	s_and_b64 vcc, exec, s[16:17]
	ds_write_b64 v14, v[5:6]
	s_waitcnt lgkmcnt(0)
	s_barrier
	s_cbranch_vccz .LBB92_24
; %bb.13:
	v_cmp_gt_u16_e32 vcc, 13, v15
	s_and_saveexec_b64 s[0:1], vcc
	s_cbranch_execz .LBB92_15
; %bb.14:
	ds_read2_b64 v[7:10], v14 offset1:16
	s_waitcnt lgkmcnt(0)
	v_add_f64 v[7:8], v[9:10], v[7:8]
	ds_write_b64 v14, v[7:8]
.LBB92_15:
	s_or_b64 exec, exec, s[0:1]
	v_cmp_gt_u16_e32 vcc, 8, v15
	s_waitcnt lgkmcnt(0)
	s_barrier
	s_and_saveexec_b64 s[0:1], vcc
	s_cbranch_execz .LBB92_17
; %bb.16:
	ds_read2_b64 v[7:10], v14 offset1:8
	s_waitcnt lgkmcnt(0)
	v_add_f64 v[7:8], v[9:10], v[7:8]
	ds_write_b64 v14, v[7:8]
.LBB92_17:
	s_or_b64 exec, exec, s[0:1]
	v_cmp_gt_u16_e32 vcc, 4, v15
	s_waitcnt lgkmcnt(0)
	s_barrier
	;; [unrolled: 12-line block ×3, first 2 shown]
	s_and_saveexec_b64 s[0:1], vcc
	s_cbranch_execz .LBB92_21
; %bb.20:
	ds_read2_b64 v[7:10], v14 offset1:2
	s_waitcnt lgkmcnt(0)
	v_add_f64 v[7:8], v[9:10], v[7:8]
	ds_write_b64 v14, v[7:8]
.LBB92_21:
	s_or_b64 exec, exec, s[0:1]
	v_mov_b32_e32 v8, v6
	v_cmp_gt_u32_e32 vcc, 29, v0
	v_mov_b32_e32 v7, v5
	s_waitcnt lgkmcnt(0)
	s_barrier
	s_and_saveexec_b64 s[0:1], vcc
	s_cbranch_execz .LBB92_23
; %bb.22:
	s_movk_i32 s2, 0xe0
	v_mad_u32_u24 v7, v0, s2, v14
	ds_read2_b64 v[7:10], v7 offset1:1
	s_waitcnt lgkmcnt(0)
	v_add_f64 v[7:8], v[7:8], v[9:10]
.LBB92_23:
	s_or_b64 exec, exec, s[0:1]
	s_branch .LBB92_36
.LBB92_24:
                                        ; implicit-def: $vgpr7_vgpr8
	s_cbranch_execz .LBB92_36
; %bb.25:
	s_movk_i32 s0, 0x179
	v_cmp_gt_u32_e32 vcc, s0, v0
	s_and_saveexec_b64 s[0:1], vcc
	s_cbranch_execz .LBB92_27
; %bb.26:
	ds_read_b64 v[7:8], v14 offset:3712
	ds_read_b64 v[9:10], v14
	s_waitcnt lgkmcnt(0)
	v_add_f64 v[7:8], v[7:8], v[9:10]
	ds_write_b64 v14, v[7:8]
.LBB92_27:
	s_or_b64 exec, exec, s[0:1]
	s_movk_i32 s0, 0xe8
	v_cmp_gt_u32_e32 vcc, s0, v0
	s_waitcnt lgkmcnt(0)
	s_barrier
	s_and_saveexec_b64 s[0:1], vcc
	s_cbranch_execz .LBB92_29
; %bb.28:
	ds_read2_b64 v[7:10], v14 offset1:232
	s_waitcnt lgkmcnt(0)
	v_add_f64 v[7:8], v[9:10], v[7:8]
	ds_write_b64 v14, v[7:8]
.LBB92_29:
	s_or_b64 exec, exec, s[0:1]
	s_movk_i32 s0, 0x74
	v_cmp_gt_u32_e32 vcc, s0, v0
	s_waitcnt lgkmcnt(0)
	s_barrier
	s_and_saveexec_b64 s[0:1], vcc
	s_cbranch_execz .LBB92_31
; %bb.30:
	ds_read2_b64 v[7:10], v14 offset1:116
	s_waitcnt lgkmcnt(0)
	v_add_f64 v[7:8], v[9:10], v[7:8]
	ds_write_b64 v14, v[7:8]
.LBB92_31:
	s_or_b64 exec, exec, s[0:1]
	v_cmp_gt_u32_e32 vcc, 58, v0
	s_waitcnt lgkmcnt(0)
	s_barrier
	s_and_saveexec_b64 s[0:1], vcc
	s_cbranch_execz .LBB92_33
; %bb.32:
	ds_read2_b64 v[7:10], v14 offset1:58
	s_waitcnt lgkmcnt(0)
	v_add_f64 v[7:8], v[9:10], v[7:8]
	ds_write_b64 v14, v[7:8]
.LBB92_33:
	s_or_b64 exec, exec, s[0:1]
	v_cmp_gt_u32_e32 vcc, 29, v0
	s_waitcnt lgkmcnt(0)
	s_and_saveexec_b64 s[0:1], vcc
	s_cbranch_execz .LBB92_35
; %bb.34:
	ds_read2_b64 v[5:8], v14 offset1:29
	s_waitcnt lgkmcnt(0)
	v_add_f64 v[5:6], v[5:6], v[7:8]
.LBB92_35:
	s_or_b64 exec, exec, s[0:1]
	v_mov_b32_e32 v8, v6
	v_mov_b32_e32 v7, v5
.LBB92_36:
	v_cmp_gt_u32_e32 vcc, 29, v0
	s_and_b64 exec, exec, vcc
	s_cbranch_execz .LBB92_41
; %bb.37:
	v_cmp_eq_f64_e32 vcc, 0, v[1:2]
	v_mul_f64 v[3:4], v[3:4], v[7:8]
	s_and_saveexec_b64 s[0:1], vcc
	s_xor_b64 s[0:1], exec, s[0:1]
	s_cbranch_execz .LBB92_39
; %bb.38:
	v_mad_u64_u32 v[0:1], s[2:3], s6, 29, v[0:1]
	v_mov_b32_e32 v1, 0
	v_mov_b32_e32 v2, s13
	v_lshlrev_b64 v[0:1], 3, v[0:1]
	v_add_co_u32_e32 v0, vcc, s12, v0
	v_addc_co_u32_e32 v1, vcc, v2, v1, vcc
	global_store_dwordx2 v[0:1], v[3:4], off
                                        ; implicit-def: $vgpr0
                                        ; implicit-def: $vgpr1_vgpr2
                                        ; implicit-def: $vgpr3_vgpr4
.LBB92_39:
	s_andn2_saveexec_b64 s[0:1], s[0:1]
	s_cbranch_execz .LBB92_41
; %bb.40:
	v_mad_u64_u32 v[5:6], s[0:1], s6, 29, v[0:1]
	v_mov_b32_e32 v6, 0
	v_mov_b32_e32 v0, s13
	v_lshlrev_b64 v[5:6], 3, v[5:6]
	v_add_co_u32_e32 v5, vcc, s12, v5
	v_addc_co_u32_e32 v6, vcc, v0, v6, vcc
	global_load_dwordx2 v[7:8], v[5:6], off
	s_waitcnt vmcnt(0)
	v_fma_f64 v[0:1], v[1:2], v[7:8], v[3:4]
	global_store_dwordx2 v[5:6], v[0:1], off
.LBB92_41:
	s_endpgm
	.section	.rodata,"a",@progbits
	.p2align	6, 0x0
	.amdhsa_kernel _ZN9rocsparseL20bsrxmvn_17_32_kernelILj29EdlidddEEvT2_20rocsparse_direction_NS_24const_host_device_scalarIT0_EES1_PKS1_PKT1_SA_S7_PKT3_PKT4_S5_PT5_21rocsparse_index_base_b
		.amdhsa_group_segment_fixed_size 6728
		.amdhsa_private_segment_fixed_size 0
		.amdhsa_kernarg_size 96
		.amdhsa_user_sgpr_count 6
		.amdhsa_user_sgpr_private_segment_buffer 1
		.amdhsa_user_sgpr_dispatch_ptr 0
		.amdhsa_user_sgpr_queue_ptr 0
		.amdhsa_user_sgpr_kernarg_segment_ptr 1
		.amdhsa_user_sgpr_dispatch_id 0
		.amdhsa_user_sgpr_flat_scratch_init 0
		.amdhsa_user_sgpr_private_segment_size 0
		.amdhsa_uses_dynamic_stack 0
		.amdhsa_system_sgpr_private_segment_wavefront_offset 0
		.amdhsa_system_sgpr_workgroup_id_x 1
		.amdhsa_system_sgpr_workgroup_id_y 0
		.amdhsa_system_sgpr_workgroup_id_z 0
		.amdhsa_system_sgpr_workgroup_info 0
		.amdhsa_system_vgpr_workitem_id 0
		.amdhsa_next_free_vgpr 33
		.amdhsa_next_free_sgpr 77
		.amdhsa_reserve_vcc 1
		.amdhsa_reserve_flat_scratch 0
		.amdhsa_float_round_mode_32 0
		.amdhsa_float_round_mode_16_64 0
		.amdhsa_float_denorm_mode_32 3
		.amdhsa_float_denorm_mode_16_64 3
		.amdhsa_dx10_clamp 1
		.amdhsa_ieee_mode 1
		.amdhsa_fp16_overflow 0
		.amdhsa_exception_fp_ieee_invalid_op 0
		.amdhsa_exception_fp_denorm_src 0
		.amdhsa_exception_fp_ieee_div_zero 0
		.amdhsa_exception_fp_ieee_overflow 0
		.amdhsa_exception_fp_ieee_underflow 0
		.amdhsa_exception_fp_ieee_inexact 0
		.amdhsa_exception_int_div_zero 0
	.end_amdhsa_kernel
	.section	.text._ZN9rocsparseL20bsrxmvn_17_32_kernelILj29EdlidddEEvT2_20rocsparse_direction_NS_24const_host_device_scalarIT0_EES1_PKS1_PKT1_SA_S7_PKT3_PKT4_S5_PT5_21rocsparse_index_base_b,"axG",@progbits,_ZN9rocsparseL20bsrxmvn_17_32_kernelILj29EdlidddEEvT2_20rocsparse_direction_NS_24const_host_device_scalarIT0_EES1_PKS1_PKT1_SA_S7_PKT3_PKT4_S5_PT5_21rocsparse_index_base_b,comdat
.Lfunc_end92:
	.size	_ZN9rocsparseL20bsrxmvn_17_32_kernelILj29EdlidddEEvT2_20rocsparse_direction_NS_24const_host_device_scalarIT0_EES1_PKS1_PKT1_SA_S7_PKT3_PKT4_S5_PT5_21rocsparse_index_base_b, .Lfunc_end92-_ZN9rocsparseL20bsrxmvn_17_32_kernelILj29EdlidddEEvT2_20rocsparse_direction_NS_24const_host_device_scalarIT0_EES1_PKS1_PKT1_SA_S7_PKT3_PKT4_S5_PT5_21rocsparse_index_base_b
                                        ; -- End function
	.set _ZN9rocsparseL20bsrxmvn_17_32_kernelILj29EdlidddEEvT2_20rocsparse_direction_NS_24const_host_device_scalarIT0_EES1_PKS1_PKT1_SA_S7_PKT3_PKT4_S5_PT5_21rocsparse_index_base_b.num_vgpr, 22
	.set _ZN9rocsparseL20bsrxmvn_17_32_kernelILj29EdlidddEEvT2_20rocsparse_direction_NS_24const_host_device_scalarIT0_EES1_PKS1_PKT1_SA_S7_PKT3_PKT4_S5_PT5_21rocsparse_index_base_b.num_agpr, 0
	.set _ZN9rocsparseL20bsrxmvn_17_32_kernelILj29EdlidddEEvT2_20rocsparse_direction_NS_24const_host_device_scalarIT0_EES1_PKS1_PKT1_SA_S7_PKT3_PKT4_S5_PT5_21rocsparse_index_base_b.numbered_sgpr, 22
	.set _ZN9rocsparseL20bsrxmvn_17_32_kernelILj29EdlidddEEvT2_20rocsparse_direction_NS_24const_host_device_scalarIT0_EES1_PKS1_PKT1_SA_S7_PKT3_PKT4_S5_PT5_21rocsparse_index_base_b.num_named_barrier, 0
	.set _ZN9rocsparseL20bsrxmvn_17_32_kernelILj29EdlidddEEvT2_20rocsparse_direction_NS_24const_host_device_scalarIT0_EES1_PKS1_PKT1_SA_S7_PKT3_PKT4_S5_PT5_21rocsparse_index_base_b.private_seg_size, 0
	.set _ZN9rocsparseL20bsrxmvn_17_32_kernelILj29EdlidddEEvT2_20rocsparse_direction_NS_24const_host_device_scalarIT0_EES1_PKS1_PKT1_SA_S7_PKT3_PKT4_S5_PT5_21rocsparse_index_base_b.uses_vcc, 1
	.set _ZN9rocsparseL20bsrxmvn_17_32_kernelILj29EdlidddEEvT2_20rocsparse_direction_NS_24const_host_device_scalarIT0_EES1_PKS1_PKT1_SA_S7_PKT3_PKT4_S5_PT5_21rocsparse_index_base_b.uses_flat_scratch, 0
	.set _ZN9rocsparseL20bsrxmvn_17_32_kernelILj29EdlidddEEvT2_20rocsparse_direction_NS_24const_host_device_scalarIT0_EES1_PKS1_PKT1_SA_S7_PKT3_PKT4_S5_PT5_21rocsparse_index_base_b.has_dyn_sized_stack, 0
	.set _ZN9rocsparseL20bsrxmvn_17_32_kernelILj29EdlidddEEvT2_20rocsparse_direction_NS_24const_host_device_scalarIT0_EES1_PKS1_PKT1_SA_S7_PKT3_PKT4_S5_PT5_21rocsparse_index_base_b.has_recursion, 0
	.set _ZN9rocsparseL20bsrxmvn_17_32_kernelILj29EdlidddEEvT2_20rocsparse_direction_NS_24const_host_device_scalarIT0_EES1_PKS1_PKT1_SA_S7_PKT3_PKT4_S5_PT5_21rocsparse_index_base_b.has_indirect_call, 0
	.section	.AMDGPU.csdata,"",@progbits
; Kernel info:
; codeLenInByte = 1408
; TotalNumSgprs: 26
; NumVgprs: 22
; ScratchSize: 0
; MemoryBound: 0
; FloatMode: 240
; IeeeMode: 1
; LDSByteSize: 6728 bytes/workgroup (compile time only)
; SGPRBlocks: 10
; VGPRBlocks: 8
; NumSGPRsForWavesPerEU: 81
; NumVGPRsForWavesPerEU: 33
; Occupancy: 7
; WaveLimiterHint : 1
; COMPUTE_PGM_RSRC2:SCRATCH_EN: 0
; COMPUTE_PGM_RSRC2:USER_SGPR: 6
; COMPUTE_PGM_RSRC2:TRAP_HANDLER: 0
; COMPUTE_PGM_RSRC2:TGID_X_EN: 1
; COMPUTE_PGM_RSRC2:TGID_Y_EN: 0
; COMPUTE_PGM_RSRC2:TGID_Z_EN: 0
; COMPUTE_PGM_RSRC2:TIDIG_COMP_CNT: 0
	.section	.text._ZN9rocsparseL20bsrxmvn_17_32_kernelILj30EdlidddEEvT2_20rocsparse_direction_NS_24const_host_device_scalarIT0_EES1_PKS1_PKT1_SA_S7_PKT3_PKT4_S5_PT5_21rocsparse_index_base_b,"axG",@progbits,_ZN9rocsparseL20bsrxmvn_17_32_kernelILj30EdlidddEEvT2_20rocsparse_direction_NS_24const_host_device_scalarIT0_EES1_PKS1_PKT1_SA_S7_PKT3_PKT4_S5_PT5_21rocsparse_index_base_b,comdat
	.globl	_ZN9rocsparseL20bsrxmvn_17_32_kernelILj30EdlidddEEvT2_20rocsparse_direction_NS_24const_host_device_scalarIT0_EES1_PKS1_PKT1_SA_S7_PKT3_PKT4_S5_PT5_21rocsparse_index_base_b ; -- Begin function _ZN9rocsparseL20bsrxmvn_17_32_kernelILj30EdlidddEEvT2_20rocsparse_direction_NS_24const_host_device_scalarIT0_EES1_PKS1_PKT1_SA_S7_PKT3_PKT4_S5_PT5_21rocsparse_index_base_b
	.p2align	8
	.type	_ZN9rocsparseL20bsrxmvn_17_32_kernelILj30EdlidddEEvT2_20rocsparse_direction_NS_24const_host_device_scalarIT0_EES1_PKS1_PKT1_SA_S7_PKT3_PKT4_S5_PT5_21rocsparse_index_base_b,@function
_ZN9rocsparseL20bsrxmvn_17_32_kernelILj30EdlidddEEvT2_20rocsparse_direction_NS_24const_host_device_scalarIT0_EES1_PKS1_PKT1_SA_S7_PKT3_PKT4_S5_PT5_21rocsparse_index_base_b: ; @_ZN9rocsparseL20bsrxmvn_17_32_kernelILj30EdlidddEEvT2_20rocsparse_direction_NS_24const_host_device_scalarIT0_EES1_PKS1_PKT1_SA_S7_PKT3_PKT4_S5_PT5_21rocsparse_index_base_b
; %bb.0:
	s_load_dwordx2 s[14:15], s[4:5], 0x58
	s_load_dwordx2 s[8:9], s[4:5], 0x8
	;; [unrolled: 1-line block ×3, first 2 shown]
	s_waitcnt lgkmcnt(0)
	s_bitcmp1_b32 s15, 0
	s_cselect_b64 s[10:11], -1, 0
	v_mov_b32_e32 v3, s8
	s_xor_b64 s[2:3], s[10:11], -1
	s_and_b64 vcc, exec, s[10:11]
	v_mov_b32_e32 v4, s9
	s_cbranch_vccnz .LBB93_2
; %bb.1:
	v_mov_b32_e32 v1, s8
	v_mov_b32_e32 v2, s9
	flat_load_dwordx2 v[3:4], v[1:2]
.LBB93_2:
	v_mov_b32_e32 v2, s1
	s_andn2_b64 vcc, exec, s[2:3]
	v_mov_b32_e32 v1, s0
	s_cbranch_vccnz .LBB93_4
; %bb.3:
	v_mov_b32_e32 v2, s1
	v_mov_b32_e32 v1, s0
	flat_load_dwordx2 v[1:2], v[1:2]
.LBB93_4:
	s_waitcnt vmcnt(0) lgkmcnt(0)
	v_cmp_neq_f64_e32 vcc, 0, v[3:4]
	v_cmp_neq_f64_e64 s[0:1], 1.0, v[1:2]
	s_or_b64 s[0:1], vcc, s[0:1]
	s_and_saveexec_b64 s[2:3], s[0:1]
	s_cbranch_execz .LBB93_41
; %bb.5:
	s_load_dwordx4 s[0:3], s[4:5], 0x18
	s_load_dwordx2 s[8:9], s[4:5], 0x28
	s_waitcnt lgkmcnt(0)
	s_cmp_eq_u64 s[0:1], 0
	s_cbranch_scc1 .LBB93_7
; %bb.6:
	s_ashr_i32 s7, s6, 31
	s_lshl_b64 s[6:7], s[6:7], 2
	s_add_u32 s0, s0, s6
	s_addc_u32 s1, s1, s7
	s_load_dword s0, s[0:1], 0x0
	s_waitcnt lgkmcnt(0)
	s_sub_i32 s6, s0, s14
.LBB93_7:
	s_load_dword s7, s[4:5], 0x4
	s_load_dwordx2 s[12:13], s[4:5], 0x50
	v_mul_u32_u24_e32 v7, 0x889, v0
	v_mov_b32_e32 v5, 30
	v_mul_lo_u16_sdwa v5, v7, v5 dst_sel:DWORD dst_unused:UNUSED_PAD src0_sel:WORD_1 src1_sel:DWORD
	s_waitcnt lgkmcnt(0)
	s_cmp_eq_u32 s7, 1
	s_cselect_b64 s[0:1], -1, 0
	s_cmp_lg_u32 s7, 1
	s_cselect_b64 s[16:17], -1, 0
	s_ashr_i32 s7, s6, 31
	s_lshl_b64 s[10:11], s[6:7], 3
	s_add_u32 s2, s2, s10
	s_addc_u32 s3, s3, s11
	s_add_u32 s7, s2, 8
	s_addc_u32 s15, s3, 0
	;; [unrolled: 2-line block ×3, first 2 shown]
	s_cmp_eq_u64 s[8:9], 0
	s_cselect_b32 s9, s15, s11
	s_cselect_b32 s8, s7, s10
	s_load_dwordx2 s[18:19], s[8:9], 0x0
	s_load_dwordx2 s[20:21], s[2:3], 0x0
	v_sub_u16_e32 v15, v0, v5
	v_lshlrev_b32_e32 v14, 3, v0
	s_waitcnt lgkmcnt(0)
	v_mov_b32_e32 v5, s18
	v_mov_b32_e32 v6, s19
	v_cmp_ge_i64_e32 vcc, s[20:21], v[5:6]
	v_mov_b32_e32 v5, 0
	v_mov_b32_e32 v6, 0
	s_cbranch_vccnz .LBB93_12
; %bb.8:
	s_load_dwordx4 s[8:11], s[4:5], 0x30
	s_load_dwordx2 s[2:3], s[4:5], 0x40
	s_sub_u32 s4, s18, s14
	s_mov_b32 s7, 0xffff
	s_subb_u32 s5, s19, 0
	s_movk_i32 s15, 0x384
	v_and_b32_sdwa v5, s7, v7 dst_sel:DWORD dst_unused:UNUSED_PAD src0_sel:DWORD src1_sel:WORD_1
	v_subrev_u32_e32 v6, 30, v5
	v_cmp_gt_u32_e32 vcc, s15, v0
	s_sub_u32 s18, s20, s14
	v_cndmask_b32_e32 v5, v6, v5, vcc
	s_subb_u32 s19, s21, 0
	v_cndmask_b32_e64 v7, v15, v5, s[0:1]
	s_mul_i32 s0, s19, 0x1c20
	s_mul_hi_u32 s1, s18, 0x1c20
	s_add_i32 s1, s1, s0
	s_mul_i32 s0, s18, 0x1c20
	s_waitcnt lgkmcnt(0)
	s_add_u32 s0, s10, s0
	s_addc_u32 s1, s11, s1
	v_mov_b32_e32 v5, s1
	v_add_co_u32_e32 v8, vcc, s0, v14
	v_addc_co_u32_e32 v9, vcc, 0, v5, vcc
	s_movk_i32 s0, 0x383
	v_cmp_lt_u32_e32 vcc, s0, v0
	v_cndmask_b32_e64 v16, 0, 1, vcc
	v_mov_b32_e32 v5, s21
	v_add_co_u32_e32 v6, vcc, s20, v16
	v_addc_co_u32_e32 v10, vcc, 0, v5, vcc
	v_subrev_co_u32_e32 v5, vcc, s14, v6
	v_subbrev_co_u32_e32 v6, vcc, 0, v10, vcc
	v_lshlrev_b64 v[5:6], 2, v[5:6]
	v_mov_b32_e32 v11, s9
	v_add_co_u32_e32 v10, vcc, s8, v5
	v_addc_co_u32_e32 v11, vcc, v11, v6, vcc
	v_mov_b32_e32 v5, 0
	v_mov_b32_e32 v13, s5
	;; [unrolled: 1-line block ×4, first 2 shown]
	s_branch .LBB93_10
.LBB93_9:                               ;   in Loop: Header=BB93_10 Depth=1
	s_or_b64 exec, exec, s[0:1]
	s_add_u32 s18, s18, 1
	s_addc_u32 s19, s19, 0
	v_cmp_lt_i64_e32 vcc, s[18:19], v[12:13]
	v_add_co_u32_e64 v10, s[0:1], 4, v10
	v_addc_co_u32_e64 v11, s[0:1], 0, v11, s[0:1]
	s_cbranch_vccz .LBB93_12
.LBB93_10:                              ; =>This Inner Loop Header: Depth=1
	v_mov_b32_e32 v18, s19
	v_add_co_u32_e32 v17, vcc, s18, v16
	v_addc_co_u32_e32 v18, vcc, 0, v18, vcc
	v_cmp_gt_i64_e32 vcc, s[4:5], v[17:18]
	s_and_saveexec_b64 s[0:1], vcc
	s_cbranch_execz .LBB93_9
; %bb.11:                               ;   in Loop: Header=BB93_10 Depth=1
	global_load_dword v17, v[10:11], off
	v_mov_b32_e32 v21, s3
	global_load_dwordx2 v[19:20], v[8:9], off
	s_waitcnt vmcnt(1)
	v_subrev_u32_e32 v17, s14, v17
	v_mad_u64_u32 v[17:18], s[8:9], v17, 30, v[7:8]
	v_ashrrev_i32_e32 v18, 31, v17
	v_lshlrev_b64 v[17:18], 3, v[17:18]
	v_add_co_u32_e32 v17, vcc, s2, v17
	v_addc_co_u32_e32 v18, vcc, v21, v18, vcc
	global_load_dwordx2 v[17:18], v[17:18], off
	v_add_co_u32_e32 v8, vcc, 0x1c20, v8
	v_addc_co_u32_e32 v9, vcc, 0, v9, vcc
	s_waitcnt vmcnt(0)
	v_fma_f64 v[5:6], v[19:20], v[17:18], v[5:6]
	s_branch .LBB93_9
.LBB93_12:
	s_and_b64 vcc, exec, s[16:17]
	ds_write_b64 v14, v[5:6]
	s_waitcnt lgkmcnt(0)
	s_barrier
	s_cbranch_vccz .LBB93_24
; %bb.13:
	v_cmp_gt_u16_e32 vcc, 14, v15
	s_and_saveexec_b64 s[0:1], vcc
	s_cbranch_execz .LBB93_15
; %bb.14:
	ds_read2_b64 v[7:10], v14 offset1:16
	s_waitcnt lgkmcnt(0)
	v_add_f64 v[7:8], v[9:10], v[7:8]
	ds_write_b64 v14, v[7:8]
.LBB93_15:
	s_or_b64 exec, exec, s[0:1]
	v_cmp_gt_u16_e32 vcc, 8, v15
	s_waitcnt lgkmcnt(0)
	s_barrier
	s_and_saveexec_b64 s[0:1], vcc
	s_cbranch_execz .LBB93_17
; %bb.16:
	ds_read2_b64 v[7:10], v14 offset1:8
	s_waitcnt lgkmcnt(0)
	v_add_f64 v[7:8], v[9:10], v[7:8]
	ds_write_b64 v14, v[7:8]
.LBB93_17:
	s_or_b64 exec, exec, s[0:1]
	v_cmp_gt_u16_e32 vcc, 4, v15
	s_waitcnt lgkmcnt(0)
	s_barrier
	;; [unrolled: 12-line block ×3, first 2 shown]
	s_and_saveexec_b64 s[0:1], vcc
	s_cbranch_execz .LBB93_21
; %bb.20:
	ds_read2_b64 v[7:10], v14 offset1:2
	s_waitcnt lgkmcnt(0)
	v_add_f64 v[7:8], v[9:10], v[7:8]
	ds_write_b64 v14, v[7:8]
.LBB93_21:
	s_or_b64 exec, exec, s[0:1]
	v_mov_b32_e32 v8, v6
	v_cmp_gt_u32_e32 vcc, 30, v0
	v_mov_b32_e32 v7, v5
	s_waitcnt lgkmcnt(0)
	s_barrier
	s_and_saveexec_b64 s[0:1], vcc
	s_cbranch_execz .LBB93_23
; %bb.22:
	s_movk_i32 s2, 0xe8
	v_mad_u32_u24 v7, v0, s2, v14
	ds_read_b128 v[7:10], v7
	s_waitcnt lgkmcnt(0)
	v_add_f64 v[7:8], v[7:8], v[9:10]
.LBB93_23:
	s_or_b64 exec, exec, s[0:1]
	s_branch .LBB93_36
.LBB93_24:
                                        ; implicit-def: $vgpr7_vgpr8
	s_cbranch_execz .LBB93_36
; %bb.25:
	s_movk_i32 s0, 0x1a4
	v_cmp_gt_u32_e32 vcc, s0, v0
	s_and_saveexec_b64 s[0:1], vcc
	s_cbranch_execz .LBB93_27
; %bb.26:
	ds_read_b64 v[7:8], v14 offset:3840
	ds_read_b64 v[9:10], v14
	s_waitcnt lgkmcnt(0)
	v_add_f64 v[7:8], v[7:8], v[9:10]
	ds_write_b64 v14, v[7:8]
.LBB93_27:
	s_or_b64 exec, exec, s[0:1]
	s_movk_i32 s0, 0xf0
	v_cmp_gt_u32_e32 vcc, s0, v0
	s_waitcnt lgkmcnt(0)
	s_barrier
	s_and_saveexec_b64 s[0:1], vcc
	s_cbranch_execz .LBB93_29
; %bb.28:
	ds_read2_b64 v[7:10], v14 offset1:240
	s_waitcnt lgkmcnt(0)
	v_add_f64 v[7:8], v[9:10], v[7:8]
	ds_write_b64 v14, v[7:8]
.LBB93_29:
	s_or_b64 exec, exec, s[0:1]
	s_movk_i32 s0, 0x78
	v_cmp_gt_u32_e32 vcc, s0, v0
	s_waitcnt lgkmcnt(0)
	s_barrier
	s_and_saveexec_b64 s[0:1], vcc
	s_cbranch_execz .LBB93_31
; %bb.30:
	ds_read2_b64 v[7:10], v14 offset1:120
	s_waitcnt lgkmcnt(0)
	v_add_f64 v[7:8], v[9:10], v[7:8]
	ds_write_b64 v14, v[7:8]
.LBB93_31:
	s_or_b64 exec, exec, s[0:1]
	v_cmp_gt_u32_e32 vcc, 60, v0
	s_waitcnt lgkmcnt(0)
	s_barrier
	s_and_saveexec_b64 s[0:1], vcc
	s_cbranch_execz .LBB93_33
; %bb.32:
	ds_read2_b64 v[7:10], v14 offset1:60
	s_waitcnt lgkmcnt(0)
	v_add_f64 v[7:8], v[9:10], v[7:8]
	ds_write_b64 v14, v[7:8]
.LBB93_33:
	s_or_b64 exec, exec, s[0:1]
	v_cmp_gt_u32_e32 vcc, 30, v0
	s_waitcnt lgkmcnt(0)
	s_and_saveexec_b64 s[0:1], vcc
	s_cbranch_execz .LBB93_35
; %bb.34:
	ds_read2_b64 v[5:8], v14 offset1:30
	s_waitcnt lgkmcnt(0)
	v_add_f64 v[5:6], v[5:6], v[7:8]
.LBB93_35:
	s_or_b64 exec, exec, s[0:1]
	v_mov_b32_e32 v8, v6
	v_mov_b32_e32 v7, v5
.LBB93_36:
	v_cmp_gt_u32_e32 vcc, 30, v0
	s_and_b64 exec, exec, vcc
	s_cbranch_execz .LBB93_41
; %bb.37:
	v_cmp_eq_f64_e32 vcc, 0, v[1:2]
	v_mul_f64 v[3:4], v[3:4], v[7:8]
	s_and_saveexec_b64 s[0:1], vcc
	s_xor_b64 s[0:1], exec, s[0:1]
	s_cbranch_execz .LBB93_39
; %bb.38:
	v_mad_u64_u32 v[0:1], s[2:3], s6, 30, v[0:1]
	v_mov_b32_e32 v1, 0
	v_mov_b32_e32 v2, s13
	v_lshlrev_b64 v[0:1], 3, v[0:1]
	v_add_co_u32_e32 v0, vcc, s12, v0
	v_addc_co_u32_e32 v1, vcc, v2, v1, vcc
	global_store_dwordx2 v[0:1], v[3:4], off
                                        ; implicit-def: $vgpr0
                                        ; implicit-def: $vgpr1_vgpr2
                                        ; implicit-def: $vgpr3_vgpr4
.LBB93_39:
	s_andn2_saveexec_b64 s[0:1], s[0:1]
	s_cbranch_execz .LBB93_41
; %bb.40:
	v_mad_u64_u32 v[5:6], s[0:1], s6, 30, v[0:1]
	v_mov_b32_e32 v6, 0
	v_mov_b32_e32 v0, s13
	v_lshlrev_b64 v[5:6], 3, v[5:6]
	v_add_co_u32_e32 v5, vcc, s12, v5
	v_addc_co_u32_e32 v6, vcc, v0, v6, vcc
	global_load_dwordx2 v[7:8], v[5:6], off
	s_waitcnt vmcnt(0)
	v_fma_f64 v[0:1], v[1:2], v[7:8], v[3:4]
	global_store_dwordx2 v[5:6], v[0:1], off
.LBB93_41:
	s_endpgm
	.section	.rodata,"a",@progbits
	.p2align	6, 0x0
	.amdhsa_kernel _ZN9rocsparseL20bsrxmvn_17_32_kernelILj30EdlidddEEvT2_20rocsparse_direction_NS_24const_host_device_scalarIT0_EES1_PKS1_PKT1_SA_S7_PKT3_PKT4_S5_PT5_21rocsparse_index_base_b
		.amdhsa_group_segment_fixed_size 7200
		.amdhsa_private_segment_fixed_size 0
		.amdhsa_kernarg_size 96
		.amdhsa_user_sgpr_count 6
		.amdhsa_user_sgpr_private_segment_buffer 1
		.amdhsa_user_sgpr_dispatch_ptr 0
		.amdhsa_user_sgpr_queue_ptr 0
		.amdhsa_user_sgpr_kernarg_segment_ptr 1
		.amdhsa_user_sgpr_dispatch_id 0
		.amdhsa_user_sgpr_flat_scratch_init 0
		.amdhsa_user_sgpr_private_segment_size 0
		.amdhsa_uses_dynamic_stack 0
		.amdhsa_system_sgpr_private_segment_wavefront_offset 0
		.amdhsa_system_sgpr_workgroup_id_x 1
		.amdhsa_system_sgpr_workgroup_id_y 0
		.amdhsa_system_sgpr_workgroup_id_z 0
		.amdhsa_system_sgpr_workgroup_info 0
		.amdhsa_system_vgpr_workitem_id 0
		.amdhsa_next_free_vgpr 29
		.amdhsa_next_free_sgpr 61
		.amdhsa_reserve_vcc 1
		.amdhsa_reserve_flat_scratch 0
		.amdhsa_float_round_mode_32 0
		.amdhsa_float_round_mode_16_64 0
		.amdhsa_float_denorm_mode_32 3
		.amdhsa_float_denorm_mode_16_64 3
		.amdhsa_dx10_clamp 1
		.amdhsa_ieee_mode 1
		.amdhsa_fp16_overflow 0
		.amdhsa_exception_fp_ieee_invalid_op 0
		.amdhsa_exception_fp_denorm_src 0
		.amdhsa_exception_fp_ieee_div_zero 0
		.amdhsa_exception_fp_ieee_overflow 0
		.amdhsa_exception_fp_ieee_underflow 0
		.amdhsa_exception_fp_ieee_inexact 0
		.amdhsa_exception_int_div_zero 0
	.end_amdhsa_kernel
	.section	.text._ZN9rocsparseL20bsrxmvn_17_32_kernelILj30EdlidddEEvT2_20rocsparse_direction_NS_24const_host_device_scalarIT0_EES1_PKS1_PKT1_SA_S7_PKT3_PKT4_S5_PT5_21rocsparse_index_base_b,"axG",@progbits,_ZN9rocsparseL20bsrxmvn_17_32_kernelILj30EdlidddEEvT2_20rocsparse_direction_NS_24const_host_device_scalarIT0_EES1_PKS1_PKT1_SA_S7_PKT3_PKT4_S5_PT5_21rocsparse_index_base_b,comdat
.Lfunc_end93:
	.size	_ZN9rocsparseL20bsrxmvn_17_32_kernelILj30EdlidddEEvT2_20rocsparse_direction_NS_24const_host_device_scalarIT0_EES1_PKS1_PKT1_SA_S7_PKT3_PKT4_S5_PT5_21rocsparse_index_base_b, .Lfunc_end93-_ZN9rocsparseL20bsrxmvn_17_32_kernelILj30EdlidddEEvT2_20rocsparse_direction_NS_24const_host_device_scalarIT0_EES1_PKS1_PKT1_SA_S7_PKT3_PKT4_S5_PT5_21rocsparse_index_base_b
                                        ; -- End function
	.set _ZN9rocsparseL20bsrxmvn_17_32_kernelILj30EdlidddEEvT2_20rocsparse_direction_NS_24const_host_device_scalarIT0_EES1_PKS1_PKT1_SA_S7_PKT3_PKT4_S5_PT5_21rocsparse_index_base_b.num_vgpr, 22
	.set _ZN9rocsparseL20bsrxmvn_17_32_kernelILj30EdlidddEEvT2_20rocsparse_direction_NS_24const_host_device_scalarIT0_EES1_PKS1_PKT1_SA_S7_PKT3_PKT4_S5_PT5_21rocsparse_index_base_b.num_agpr, 0
	.set _ZN9rocsparseL20bsrxmvn_17_32_kernelILj30EdlidddEEvT2_20rocsparse_direction_NS_24const_host_device_scalarIT0_EES1_PKS1_PKT1_SA_S7_PKT3_PKT4_S5_PT5_21rocsparse_index_base_b.numbered_sgpr, 22
	.set _ZN9rocsparseL20bsrxmvn_17_32_kernelILj30EdlidddEEvT2_20rocsparse_direction_NS_24const_host_device_scalarIT0_EES1_PKS1_PKT1_SA_S7_PKT3_PKT4_S5_PT5_21rocsparse_index_base_b.num_named_barrier, 0
	.set _ZN9rocsparseL20bsrxmvn_17_32_kernelILj30EdlidddEEvT2_20rocsparse_direction_NS_24const_host_device_scalarIT0_EES1_PKS1_PKT1_SA_S7_PKT3_PKT4_S5_PT5_21rocsparse_index_base_b.private_seg_size, 0
	.set _ZN9rocsparseL20bsrxmvn_17_32_kernelILj30EdlidddEEvT2_20rocsparse_direction_NS_24const_host_device_scalarIT0_EES1_PKS1_PKT1_SA_S7_PKT3_PKT4_S5_PT5_21rocsparse_index_base_b.uses_vcc, 1
	.set _ZN9rocsparseL20bsrxmvn_17_32_kernelILj30EdlidddEEvT2_20rocsparse_direction_NS_24const_host_device_scalarIT0_EES1_PKS1_PKT1_SA_S7_PKT3_PKT4_S5_PT5_21rocsparse_index_base_b.uses_flat_scratch, 0
	.set _ZN9rocsparseL20bsrxmvn_17_32_kernelILj30EdlidddEEvT2_20rocsparse_direction_NS_24const_host_device_scalarIT0_EES1_PKS1_PKT1_SA_S7_PKT3_PKT4_S5_PT5_21rocsparse_index_base_b.has_dyn_sized_stack, 0
	.set _ZN9rocsparseL20bsrxmvn_17_32_kernelILj30EdlidddEEvT2_20rocsparse_direction_NS_24const_host_device_scalarIT0_EES1_PKS1_PKT1_SA_S7_PKT3_PKT4_S5_PT5_21rocsparse_index_base_b.has_recursion, 0
	.set _ZN9rocsparseL20bsrxmvn_17_32_kernelILj30EdlidddEEvT2_20rocsparse_direction_NS_24const_host_device_scalarIT0_EES1_PKS1_PKT1_SA_S7_PKT3_PKT4_S5_PT5_21rocsparse_index_base_b.has_indirect_call, 0
	.section	.AMDGPU.csdata,"",@progbits
; Kernel info:
; codeLenInByte = 1408
; TotalNumSgprs: 26
; NumVgprs: 22
; ScratchSize: 0
; MemoryBound: 0
; FloatMode: 240
; IeeeMode: 1
; LDSByteSize: 7200 bytes/workgroup (compile time only)
; SGPRBlocks: 8
; VGPRBlocks: 7
; NumSGPRsForWavesPerEU: 65
; NumVGPRsForWavesPerEU: 29
; Occupancy: 8
; WaveLimiterHint : 1
; COMPUTE_PGM_RSRC2:SCRATCH_EN: 0
; COMPUTE_PGM_RSRC2:USER_SGPR: 6
; COMPUTE_PGM_RSRC2:TRAP_HANDLER: 0
; COMPUTE_PGM_RSRC2:TGID_X_EN: 1
; COMPUTE_PGM_RSRC2:TGID_Y_EN: 0
; COMPUTE_PGM_RSRC2:TGID_Z_EN: 0
; COMPUTE_PGM_RSRC2:TIDIG_COMP_CNT: 0
	.section	.text._ZN9rocsparseL20bsrxmvn_17_32_kernelILj31EdlidddEEvT2_20rocsparse_direction_NS_24const_host_device_scalarIT0_EES1_PKS1_PKT1_SA_S7_PKT3_PKT4_S5_PT5_21rocsparse_index_base_b,"axG",@progbits,_ZN9rocsparseL20bsrxmvn_17_32_kernelILj31EdlidddEEvT2_20rocsparse_direction_NS_24const_host_device_scalarIT0_EES1_PKS1_PKT1_SA_S7_PKT3_PKT4_S5_PT5_21rocsparse_index_base_b,comdat
	.globl	_ZN9rocsparseL20bsrxmvn_17_32_kernelILj31EdlidddEEvT2_20rocsparse_direction_NS_24const_host_device_scalarIT0_EES1_PKS1_PKT1_SA_S7_PKT3_PKT4_S5_PT5_21rocsparse_index_base_b ; -- Begin function _ZN9rocsparseL20bsrxmvn_17_32_kernelILj31EdlidddEEvT2_20rocsparse_direction_NS_24const_host_device_scalarIT0_EES1_PKS1_PKT1_SA_S7_PKT3_PKT4_S5_PT5_21rocsparse_index_base_b
	.p2align	8
	.type	_ZN9rocsparseL20bsrxmvn_17_32_kernelILj31EdlidddEEvT2_20rocsparse_direction_NS_24const_host_device_scalarIT0_EES1_PKS1_PKT1_SA_S7_PKT3_PKT4_S5_PT5_21rocsparse_index_base_b,@function
_ZN9rocsparseL20bsrxmvn_17_32_kernelILj31EdlidddEEvT2_20rocsparse_direction_NS_24const_host_device_scalarIT0_EES1_PKS1_PKT1_SA_S7_PKT3_PKT4_S5_PT5_21rocsparse_index_base_b: ; @_ZN9rocsparseL20bsrxmvn_17_32_kernelILj31EdlidddEEvT2_20rocsparse_direction_NS_24const_host_device_scalarIT0_EES1_PKS1_PKT1_SA_S7_PKT3_PKT4_S5_PT5_21rocsparse_index_base_b
; %bb.0:
	s_load_dwordx2 s[14:15], s[4:5], 0x58
	s_load_dwordx2 s[8:9], s[4:5], 0x8
	;; [unrolled: 1-line block ×3, first 2 shown]
	s_waitcnt lgkmcnt(0)
	s_bitcmp1_b32 s15, 0
	s_cselect_b64 s[10:11], -1, 0
	v_mov_b32_e32 v3, s8
	s_xor_b64 s[2:3], s[10:11], -1
	s_and_b64 vcc, exec, s[10:11]
	v_mov_b32_e32 v4, s9
	s_cbranch_vccnz .LBB94_2
; %bb.1:
	v_mov_b32_e32 v1, s8
	v_mov_b32_e32 v2, s9
	flat_load_dwordx2 v[3:4], v[1:2]
.LBB94_2:
	v_mov_b32_e32 v2, s1
	s_andn2_b64 vcc, exec, s[2:3]
	v_mov_b32_e32 v1, s0
	s_cbranch_vccnz .LBB94_4
; %bb.3:
	v_mov_b32_e32 v2, s1
	v_mov_b32_e32 v1, s0
	flat_load_dwordx2 v[1:2], v[1:2]
.LBB94_4:
	s_waitcnt vmcnt(0) lgkmcnt(0)
	v_cmp_neq_f64_e32 vcc, 0, v[3:4]
	v_cmp_neq_f64_e64 s[0:1], 1.0, v[1:2]
	s_or_b64 s[0:1], vcc, s[0:1]
	s_and_saveexec_b64 s[2:3], s[0:1]
	s_cbranch_execz .LBB94_41
; %bb.5:
	s_load_dwordx4 s[0:3], s[4:5], 0x18
	s_load_dwordx2 s[8:9], s[4:5], 0x28
	s_waitcnt lgkmcnt(0)
	s_cmp_eq_u64 s[0:1], 0
	s_cbranch_scc1 .LBB94_7
; %bb.6:
	s_ashr_i32 s7, s6, 31
	s_lshl_b64 s[6:7], s[6:7], 2
	s_add_u32 s0, s0, s6
	s_addc_u32 s1, s1, s7
	s_load_dword s0, s[0:1], 0x0
	s_waitcnt lgkmcnt(0)
	s_sub_i32 s6, s0, s14
.LBB94_7:
	s_load_dword s7, s[4:5], 0x4
	s_load_dwordx2 s[12:13], s[4:5], 0x50
	v_mul_u32_u24_e32 v7, 0x843, v0
	v_mov_b32_e32 v5, 31
	v_mul_lo_u16_sdwa v5, v7, v5 dst_sel:DWORD dst_unused:UNUSED_PAD src0_sel:WORD_1 src1_sel:DWORD
	s_waitcnt lgkmcnt(0)
	s_cmp_eq_u32 s7, 1
	s_cselect_b64 s[0:1], -1, 0
	s_cmp_lg_u32 s7, 1
	s_cselect_b64 s[16:17], -1, 0
	s_ashr_i32 s7, s6, 31
	s_lshl_b64 s[10:11], s[6:7], 3
	s_add_u32 s2, s2, s10
	s_addc_u32 s3, s3, s11
	s_add_u32 s7, s2, 8
	s_addc_u32 s15, s3, 0
	;; [unrolled: 2-line block ×3, first 2 shown]
	s_cmp_eq_u64 s[8:9], 0
	s_cselect_b32 s9, s15, s11
	s_cselect_b32 s8, s7, s10
	s_load_dwordx2 s[18:19], s[8:9], 0x0
	s_load_dwordx2 s[20:21], s[2:3], 0x0
	v_sub_u16_e32 v15, v0, v5
	v_lshlrev_b32_e32 v14, 3, v0
	s_waitcnt lgkmcnt(0)
	v_mov_b32_e32 v5, s18
	v_mov_b32_e32 v6, s19
	v_cmp_ge_i64_e32 vcc, s[20:21], v[5:6]
	v_mov_b32_e32 v5, 0
	v_mov_b32_e32 v6, 0
	s_cbranch_vccnz .LBB94_12
; %bb.8:
	s_load_dwordx4 s[8:11], s[4:5], 0x30
	s_load_dwordx2 s[2:3], s[4:5], 0x40
	s_sub_u32 s4, s18, s14
	s_mov_b32 s7, 0xffff
	s_subb_u32 s5, s19, 0
	s_movk_i32 s15, 0x3c1
	v_and_b32_sdwa v5, s7, v7 dst_sel:DWORD dst_unused:UNUSED_PAD src0_sel:DWORD src1_sel:WORD_1
	v_subrev_u32_e32 v6, 31, v5
	v_cmp_gt_u32_e32 vcc, s15, v0
	s_sub_u32 s18, s20, s14
	v_cndmask_b32_e32 v5, v6, v5, vcc
	s_subb_u32 s19, s21, 0
	v_cndmask_b32_e64 v7, v15, v5, s[0:1]
	s_mul_i32 s0, s19, 0x1e08
	s_mul_hi_u32 s1, s18, 0x1e08
	s_add_i32 s1, s1, s0
	s_mul_i32 s0, s18, 0x1e08
	s_waitcnt lgkmcnt(0)
	s_add_u32 s0, s10, s0
	s_addc_u32 s1, s11, s1
	v_mov_b32_e32 v5, s1
	v_add_co_u32_e32 v8, vcc, s0, v14
	v_addc_co_u32_e32 v9, vcc, 0, v5, vcc
	s_movk_i32 s0, 0x3c0
	v_cmp_lt_u32_e32 vcc, s0, v0
	v_cndmask_b32_e64 v16, 0, 1, vcc
	v_mov_b32_e32 v5, s21
	v_add_co_u32_e32 v6, vcc, s20, v16
	v_addc_co_u32_e32 v10, vcc, 0, v5, vcc
	v_subrev_co_u32_e32 v5, vcc, s14, v6
	v_subbrev_co_u32_e32 v6, vcc, 0, v10, vcc
	v_lshlrev_b64 v[5:6], 2, v[5:6]
	v_mov_b32_e32 v11, s9
	v_add_co_u32_e32 v10, vcc, s8, v5
	v_addc_co_u32_e32 v11, vcc, v11, v6, vcc
	v_mov_b32_e32 v5, 0
	v_mov_b32_e32 v13, s5
	v_mov_b32_e32 v6, 0
	v_mov_b32_e32 v12, s4
	s_branch .LBB94_10
.LBB94_9:                               ;   in Loop: Header=BB94_10 Depth=1
	s_or_b64 exec, exec, s[0:1]
	s_add_u32 s18, s18, 1
	s_addc_u32 s19, s19, 0
	v_cmp_lt_i64_e32 vcc, s[18:19], v[12:13]
	v_add_co_u32_e64 v10, s[0:1], 4, v10
	v_addc_co_u32_e64 v11, s[0:1], 0, v11, s[0:1]
	s_cbranch_vccz .LBB94_12
.LBB94_10:                              ; =>This Inner Loop Header: Depth=1
	v_mov_b32_e32 v18, s19
	v_add_co_u32_e32 v17, vcc, s18, v16
	v_addc_co_u32_e32 v18, vcc, 0, v18, vcc
	v_cmp_gt_i64_e32 vcc, s[4:5], v[17:18]
	s_and_saveexec_b64 s[0:1], vcc
	s_cbranch_execz .LBB94_9
; %bb.11:                               ;   in Loop: Header=BB94_10 Depth=1
	global_load_dword v17, v[10:11], off
	v_mov_b32_e32 v21, s3
	global_load_dwordx2 v[19:20], v[8:9], off
	s_waitcnt vmcnt(1)
	v_subrev_u32_e32 v17, s14, v17
	v_mad_u64_u32 v[17:18], s[8:9], v17, 31, v[7:8]
	v_ashrrev_i32_e32 v18, 31, v17
	v_lshlrev_b64 v[17:18], 3, v[17:18]
	v_add_co_u32_e32 v17, vcc, s2, v17
	v_addc_co_u32_e32 v18, vcc, v21, v18, vcc
	global_load_dwordx2 v[17:18], v[17:18], off
	v_add_co_u32_e32 v8, vcc, 0x1e08, v8
	v_addc_co_u32_e32 v9, vcc, 0, v9, vcc
	s_waitcnt vmcnt(0)
	v_fma_f64 v[5:6], v[19:20], v[17:18], v[5:6]
	s_branch .LBB94_9
.LBB94_12:
	s_and_b64 vcc, exec, s[16:17]
	ds_write_b64 v14, v[5:6]
	s_waitcnt lgkmcnt(0)
	s_barrier
	s_cbranch_vccz .LBB94_24
; %bb.13:
	v_cmp_gt_u16_e32 vcc, 15, v15
	s_and_saveexec_b64 s[0:1], vcc
	s_cbranch_execz .LBB94_15
; %bb.14:
	ds_read2_b64 v[7:10], v14 offset1:16
	s_waitcnt lgkmcnt(0)
	v_add_f64 v[7:8], v[9:10], v[7:8]
	ds_write_b64 v14, v[7:8]
.LBB94_15:
	s_or_b64 exec, exec, s[0:1]
	v_cmp_gt_u16_e32 vcc, 8, v15
	s_waitcnt lgkmcnt(0)
	s_barrier
	s_and_saveexec_b64 s[0:1], vcc
	s_cbranch_execz .LBB94_17
; %bb.16:
	ds_read2_b64 v[7:10], v14 offset1:8
	s_waitcnt lgkmcnt(0)
	v_add_f64 v[7:8], v[9:10], v[7:8]
	ds_write_b64 v14, v[7:8]
.LBB94_17:
	s_or_b64 exec, exec, s[0:1]
	v_cmp_gt_u16_e32 vcc, 4, v15
	s_waitcnt lgkmcnt(0)
	s_barrier
	;; [unrolled: 12-line block ×3, first 2 shown]
	s_and_saveexec_b64 s[0:1], vcc
	s_cbranch_execz .LBB94_21
; %bb.20:
	ds_read2_b64 v[7:10], v14 offset1:2
	s_waitcnt lgkmcnt(0)
	v_add_f64 v[7:8], v[9:10], v[7:8]
	ds_write_b64 v14, v[7:8]
.LBB94_21:
	s_or_b64 exec, exec, s[0:1]
	v_mov_b32_e32 v8, v6
	v_cmp_gt_u32_e32 vcc, 31, v0
	v_mov_b32_e32 v7, v5
	s_waitcnt lgkmcnt(0)
	s_barrier
	s_and_saveexec_b64 s[0:1], vcc
	s_cbranch_execz .LBB94_23
; %bb.22:
	s_movk_i32 s2, 0xf0
	v_mad_u32_u24 v7, v0, s2, v14
	ds_read2_b64 v[7:10], v7 offset1:1
	s_waitcnt lgkmcnt(0)
	v_add_f64 v[7:8], v[7:8], v[9:10]
.LBB94_23:
	s_or_b64 exec, exec, s[0:1]
	s_branch .LBB94_36
.LBB94_24:
                                        ; implicit-def: $vgpr7_vgpr8
	s_cbranch_execz .LBB94_36
; %bb.25:
	s_movk_i32 s0, 0x1d1
	v_cmp_gt_u32_e32 vcc, s0, v0
	s_and_saveexec_b64 s[0:1], vcc
	s_cbranch_execz .LBB94_27
; %bb.26:
	ds_read_b64 v[7:8], v14 offset:3968
	ds_read_b64 v[9:10], v14
	s_waitcnt lgkmcnt(0)
	v_add_f64 v[7:8], v[7:8], v[9:10]
	ds_write_b64 v14, v[7:8]
.LBB94_27:
	s_or_b64 exec, exec, s[0:1]
	s_movk_i32 s0, 0xf8
	v_cmp_gt_u32_e32 vcc, s0, v0
	s_waitcnt lgkmcnt(0)
	s_barrier
	s_and_saveexec_b64 s[0:1], vcc
	s_cbranch_execz .LBB94_29
; %bb.28:
	ds_read2_b64 v[7:10], v14 offset1:248
	s_waitcnt lgkmcnt(0)
	v_add_f64 v[7:8], v[9:10], v[7:8]
	ds_write_b64 v14, v[7:8]
.LBB94_29:
	s_or_b64 exec, exec, s[0:1]
	s_movk_i32 s0, 0x7c
	v_cmp_gt_u32_e32 vcc, s0, v0
	s_waitcnt lgkmcnt(0)
	s_barrier
	s_and_saveexec_b64 s[0:1], vcc
	s_cbranch_execz .LBB94_31
; %bb.30:
	ds_read2_b64 v[7:10], v14 offset1:124
	s_waitcnt lgkmcnt(0)
	v_add_f64 v[7:8], v[9:10], v[7:8]
	ds_write_b64 v14, v[7:8]
.LBB94_31:
	s_or_b64 exec, exec, s[0:1]
	v_cmp_gt_u32_e32 vcc, 62, v0
	s_waitcnt lgkmcnt(0)
	s_barrier
	s_and_saveexec_b64 s[0:1], vcc
	s_cbranch_execz .LBB94_33
; %bb.32:
	ds_read2_b64 v[7:10], v14 offset1:62
	s_waitcnt lgkmcnt(0)
	v_add_f64 v[7:8], v[9:10], v[7:8]
	ds_write_b64 v14, v[7:8]
.LBB94_33:
	s_or_b64 exec, exec, s[0:1]
	v_cmp_gt_u32_e32 vcc, 31, v0
	s_waitcnt lgkmcnt(0)
	s_and_saveexec_b64 s[0:1], vcc
	s_cbranch_execz .LBB94_35
; %bb.34:
	ds_read2_b64 v[5:8], v14 offset1:31
	s_waitcnt lgkmcnt(0)
	v_add_f64 v[5:6], v[5:6], v[7:8]
.LBB94_35:
	s_or_b64 exec, exec, s[0:1]
	v_mov_b32_e32 v8, v6
	v_mov_b32_e32 v7, v5
.LBB94_36:
	v_cmp_gt_u32_e32 vcc, 31, v0
	s_and_b64 exec, exec, vcc
	s_cbranch_execz .LBB94_41
; %bb.37:
	v_cmp_eq_f64_e32 vcc, 0, v[1:2]
	v_mul_f64 v[3:4], v[3:4], v[7:8]
	s_and_saveexec_b64 s[0:1], vcc
	s_xor_b64 s[0:1], exec, s[0:1]
	s_cbranch_execz .LBB94_39
; %bb.38:
	v_mad_u64_u32 v[0:1], s[2:3], s6, 31, v[0:1]
	v_mov_b32_e32 v1, 0
	v_mov_b32_e32 v2, s13
	v_lshlrev_b64 v[0:1], 3, v[0:1]
	v_add_co_u32_e32 v0, vcc, s12, v0
	v_addc_co_u32_e32 v1, vcc, v2, v1, vcc
	global_store_dwordx2 v[0:1], v[3:4], off
                                        ; implicit-def: $vgpr0
                                        ; implicit-def: $vgpr1_vgpr2
                                        ; implicit-def: $vgpr3_vgpr4
.LBB94_39:
	s_andn2_saveexec_b64 s[0:1], s[0:1]
	s_cbranch_execz .LBB94_41
; %bb.40:
	v_mad_u64_u32 v[5:6], s[0:1], s6, 31, v[0:1]
	v_mov_b32_e32 v6, 0
	v_mov_b32_e32 v0, s13
	v_lshlrev_b64 v[5:6], 3, v[5:6]
	v_add_co_u32_e32 v5, vcc, s12, v5
	v_addc_co_u32_e32 v6, vcc, v0, v6, vcc
	global_load_dwordx2 v[7:8], v[5:6], off
	s_waitcnt vmcnt(0)
	v_fma_f64 v[0:1], v[1:2], v[7:8], v[3:4]
	global_store_dwordx2 v[5:6], v[0:1], off
.LBB94_41:
	s_endpgm
	.section	.rodata,"a",@progbits
	.p2align	6, 0x0
	.amdhsa_kernel _ZN9rocsparseL20bsrxmvn_17_32_kernelILj31EdlidddEEvT2_20rocsparse_direction_NS_24const_host_device_scalarIT0_EES1_PKS1_PKT1_SA_S7_PKT3_PKT4_S5_PT5_21rocsparse_index_base_b
		.amdhsa_group_segment_fixed_size 7688
		.amdhsa_private_segment_fixed_size 0
		.amdhsa_kernarg_size 96
		.amdhsa_user_sgpr_count 6
		.amdhsa_user_sgpr_private_segment_buffer 1
		.amdhsa_user_sgpr_dispatch_ptr 0
		.amdhsa_user_sgpr_queue_ptr 0
		.amdhsa_user_sgpr_kernarg_segment_ptr 1
		.amdhsa_user_sgpr_dispatch_id 0
		.amdhsa_user_sgpr_flat_scratch_init 0
		.amdhsa_user_sgpr_private_segment_size 0
		.amdhsa_uses_dynamic_stack 0
		.amdhsa_system_sgpr_private_segment_wavefront_offset 0
		.amdhsa_system_sgpr_workgroup_id_x 1
		.amdhsa_system_sgpr_workgroup_id_y 0
		.amdhsa_system_sgpr_workgroup_id_z 0
		.amdhsa_system_sgpr_workgroup_info 0
		.amdhsa_system_vgpr_workitem_id 0
		.amdhsa_next_free_vgpr 29
		.amdhsa_next_free_sgpr 61
		.amdhsa_reserve_vcc 1
		.amdhsa_reserve_flat_scratch 0
		.amdhsa_float_round_mode_32 0
		.amdhsa_float_round_mode_16_64 0
		.amdhsa_float_denorm_mode_32 3
		.amdhsa_float_denorm_mode_16_64 3
		.amdhsa_dx10_clamp 1
		.amdhsa_ieee_mode 1
		.amdhsa_fp16_overflow 0
		.amdhsa_exception_fp_ieee_invalid_op 0
		.amdhsa_exception_fp_denorm_src 0
		.amdhsa_exception_fp_ieee_div_zero 0
		.amdhsa_exception_fp_ieee_overflow 0
		.amdhsa_exception_fp_ieee_underflow 0
		.amdhsa_exception_fp_ieee_inexact 0
		.amdhsa_exception_int_div_zero 0
	.end_amdhsa_kernel
	.section	.text._ZN9rocsparseL20bsrxmvn_17_32_kernelILj31EdlidddEEvT2_20rocsparse_direction_NS_24const_host_device_scalarIT0_EES1_PKS1_PKT1_SA_S7_PKT3_PKT4_S5_PT5_21rocsparse_index_base_b,"axG",@progbits,_ZN9rocsparseL20bsrxmvn_17_32_kernelILj31EdlidddEEvT2_20rocsparse_direction_NS_24const_host_device_scalarIT0_EES1_PKS1_PKT1_SA_S7_PKT3_PKT4_S5_PT5_21rocsparse_index_base_b,comdat
.Lfunc_end94:
	.size	_ZN9rocsparseL20bsrxmvn_17_32_kernelILj31EdlidddEEvT2_20rocsparse_direction_NS_24const_host_device_scalarIT0_EES1_PKS1_PKT1_SA_S7_PKT3_PKT4_S5_PT5_21rocsparse_index_base_b, .Lfunc_end94-_ZN9rocsparseL20bsrxmvn_17_32_kernelILj31EdlidddEEvT2_20rocsparse_direction_NS_24const_host_device_scalarIT0_EES1_PKS1_PKT1_SA_S7_PKT3_PKT4_S5_PT5_21rocsparse_index_base_b
                                        ; -- End function
	.set _ZN9rocsparseL20bsrxmvn_17_32_kernelILj31EdlidddEEvT2_20rocsparse_direction_NS_24const_host_device_scalarIT0_EES1_PKS1_PKT1_SA_S7_PKT3_PKT4_S5_PT5_21rocsparse_index_base_b.num_vgpr, 22
	.set _ZN9rocsparseL20bsrxmvn_17_32_kernelILj31EdlidddEEvT2_20rocsparse_direction_NS_24const_host_device_scalarIT0_EES1_PKS1_PKT1_SA_S7_PKT3_PKT4_S5_PT5_21rocsparse_index_base_b.num_agpr, 0
	.set _ZN9rocsparseL20bsrxmvn_17_32_kernelILj31EdlidddEEvT2_20rocsparse_direction_NS_24const_host_device_scalarIT0_EES1_PKS1_PKT1_SA_S7_PKT3_PKT4_S5_PT5_21rocsparse_index_base_b.numbered_sgpr, 22
	.set _ZN9rocsparseL20bsrxmvn_17_32_kernelILj31EdlidddEEvT2_20rocsparse_direction_NS_24const_host_device_scalarIT0_EES1_PKS1_PKT1_SA_S7_PKT3_PKT4_S5_PT5_21rocsparse_index_base_b.num_named_barrier, 0
	.set _ZN9rocsparseL20bsrxmvn_17_32_kernelILj31EdlidddEEvT2_20rocsparse_direction_NS_24const_host_device_scalarIT0_EES1_PKS1_PKT1_SA_S7_PKT3_PKT4_S5_PT5_21rocsparse_index_base_b.private_seg_size, 0
	.set _ZN9rocsparseL20bsrxmvn_17_32_kernelILj31EdlidddEEvT2_20rocsparse_direction_NS_24const_host_device_scalarIT0_EES1_PKS1_PKT1_SA_S7_PKT3_PKT4_S5_PT5_21rocsparse_index_base_b.uses_vcc, 1
	.set _ZN9rocsparseL20bsrxmvn_17_32_kernelILj31EdlidddEEvT2_20rocsparse_direction_NS_24const_host_device_scalarIT0_EES1_PKS1_PKT1_SA_S7_PKT3_PKT4_S5_PT5_21rocsparse_index_base_b.uses_flat_scratch, 0
	.set _ZN9rocsparseL20bsrxmvn_17_32_kernelILj31EdlidddEEvT2_20rocsparse_direction_NS_24const_host_device_scalarIT0_EES1_PKS1_PKT1_SA_S7_PKT3_PKT4_S5_PT5_21rocsparse_index_base_b.has_dyn_sized_stack, 0
	.set _ZN9rocsparseL20bsrxmvn_17_32_kernelILj31EdlidddEEvT2_20rocsparse_direction_NS_24const_host_device_scalarIT0_EES1_PKS1_PKT1_SA_S7_PKT3_PKT4_S5_PT5_21rocsparse_index_base_b.has_recursion, 0
	.set _ZN9rocsparseL20bsrxmvn_17_32_kernelILj31EdlidddEEvT2_20rocsparse_direction_NS_24const_host_device_scalarIT0_EES1_PKS1_PKT1_SA_S7_PKT3_PKT4_S5_PT5_21rocsparse_index_base_b.has_indirect_call, 0
	.section	.AMDGPU.csdata,"",@progbits
; Kernel info:
; codeLenInByte = 1408
; TotalNumSgprs: 26
; NumVgprs: 22
; ScratchSize: 0
; MemoryBound: 0
; FloatMode: 240
; IeeeMode: 1
; LDSByteSize: 7688 bytes/workgroup (compile time only)
; SGPRBlocks: 8
; VGPRBlocks: 7
; NumSGPRsForWavesPerEU: 65
; NumVGPRsForWavesPerEU: 29
; Occupancy: 8
; WaveLimiterHint : 1
; COMPUTE_PGM_RSRC2:SCRATCH_EN: 0
; COMPUTE_PGM_RSRC2:USER_SGPR: 6
; COMPUTE_PGM_RSRC2:TRAP_HANDLER: 0
; COMPUTE_PGM_RSRC2:TGID_X_EN: 1
; COMPUTE_PGM_RSRC2:TGID_Y_EN: 0
; COMPUTE_PGM_RSRC2:TGID_Z_EN: 0
; COMPUTE_PGM_RSRC2:TIDIG_COMP_CNT: 0
	.section	.text._ZN9rocsparseL20bsrxmvn_17_32_kernelILj32EdlidddEEvT2_20rocsparse_direction_NS_24const_host_device_scalarIT0_EES1_PKS1_PKT1_SA_S7_PKT3_PKT4_S5_PT5_21rocsparse_index_base_b,"axG",@progbits,_ZN9rocsparseL20bsrxmvn_17_32_kernelILj32EdlidddEEvT2_20rocsparse_direction_NS_24const_host_device_scalarIT0_EES1_PKS1_PKT1_SA_S7_PKT3_PKT4_S5_PT5_21rocsparse_index_base_b,comdat
	.globl	_ZN9rocsparseL20bsrxmvn_17_32_kernelILj32EdlidddEEvT2_20rocsparse_direction_NS_24const_host_device_scalarIT0_EES1_PKS1_PKT1_SA_S7_PKT3_PKT4_S5_PT5_21rocsparse_index_base_b ; -- Begin function _ZN9rocsparseL20bsrxmvn_17_32_kernelILj32EdlidddEEvT2_20rocsparse_direction_NS_24const_host_device_scalarIT0_EES1_PKS1_PKT1_SA_S7_PKT3_PKT4_S5_PT5_21rocsparse_index_base_b
	.p2align	8
	.type	_ZN9rocsparseL20bsrxmvn_17_32_kernelILj32EdlidddEEvT2_20rocsparse_direction_NS_24const_host_device_scalarIT0_EES1_PKS1_PKT1_SA_S7_PKT3_PKT4_S5_PT5_21rocsparse_index_base_b,@function
_ZN9rocsparseL20bsrxmvn_17_32_kernelILj32EdlidddEEvT2_20rocsparse_direction_NS_24const_host_device_scalarIT0_EES1_PKS1_PKT1_SA_S7_PKT3_PKT4_S5_PT5_21rocsparse_index_base_b: ; @_ZN9rocsparseL20bsrxmvn_17_32_kernelILj32EdlidddEEvT2_20rocsparse_direction_NS_24const_host_device_scalarIT0_EES1_PKS1_PKT1_SA_S7_PKT3_PKT4_S5_PT5_21rocsparse_index_base_b
; %bb.0:
	s_load_dwordx2 s[8:9], s[4:5], 0x58
	s_load_dwordx2 s[10:11], s[4:5], 0x8
	;; [unrolled: 1-line block ×3, first 2 shown]
	s_waitcnt lgkmcnt(0)
	s_bitcmp1_b32 s9, 0
	s_cselect_b64 s[12:13], -1, 0
	v_mov_b32_e32 v3, s10
	s_xor_b64 s[2:3], s[12:13], -1
	s_and_b64 vcc, exec, s[12:13]
	v_mov_b32_e32 v4, s11
	s_cbranch_vccnz .LBB95_2
; %bb.1:
	v_mov_b32_e32 v1, s10
	v_mov_b32_e32 v2, s11
	flat_load_dwordx2 v[3:4], v[1:2]
.LBB95_2:
	v_mov_b32_e32 v2, s1
	s_andn2_b64 vcc, exec, s[2:3]
	v_mov_b32_e32 v1, s0
	s_cbranch_vccnz .LBB95_4
; %bb.3:
	v_mov_b32_e32 v2, s1
	v_mov_b32_e32 v1, s0
	flat_load_dwordx2 v[1:2], v[1:2]
.LBB95_4:
	s_waitcnt vmcnt(0) lgkmcnt(0)
	v_cmp_neq_f64_e32 vcc, 0, v[3:4]
	v_cmp_neq_f64_e64 s[0:1], 1.0, v[1:2]
	s_or_b64 s[0:1], vcc, s[0:1]
	s_and_saveexec_b64 s[2:3], s[0:1]
	s_cbranch_execz .LBB95_39
; %bb.5:
	s_load_dwordx4 s[0:3], s[4:5], 0x18
	s_load_dwordx2 s[12:13], s[4:5], 0x28
	s_waitcnt lgkmcnt(0)
	s_cmp_eq_u64 s[0:1], 0
	s_cbranch_scc1 .LBB95_7
; %bb.6:
	s_ashr_i32 s7, s6, 31
	s_lshl_b64 s[6:7], s[6:7], 2
	s_add_u32 s0, s0, s6
	s_addc_u32 s1, s1, s7
	s_load_dword s0, s[0:1], 0x0
	s_waitcnt lgkmcnt(0)
	s_sub_i32 s6, s0, s8
.LBB95_7:
	s_load_dword s7, s[4:5], 0x4
	v_and_b32_e32 v12, 31, v0
	v_lshlrev_b32_e32 v11, 3, v0
	s_waitcnt lgkmcnt(0)
	s_cmp_eq_u32 s7, 1
	s_cselect_b64 s[0:1], -1, 0
	s_cmp_lg_u32 s7, 1
	s_cselect_b64 s[10:11], -1, 0
	s_ashr_i32 s7, s6, 31
	s_lshl_b64 s[14:15], s[6:7], 3
	s_add_u32 s18, s2, s14
	s_addc_u32 s19, s3, s15
	s_add_u32 s2, s18, 8
	s_addc_u32 s3, s19, 0
	;; [unrolled: 2-line block ×3, first 2 shown]
	s_cmp_eq_u64 s[12:13], 0
	s_cselect_b32 s13, s3, s9
	s_cselect_b32 s12, s2, s7
	s_load_dwordx2 s[16:17], s[12:13], 0x0
	s_load_dwordx2 s[14:15], s[18:19], 0x0
	;; [unrolled: 1-line block ×3, first 2 shown]
	s_waitcnt lgkmcnt(0)
	v_mov_b32_e32 v5, s16
	v_mov_b32_e32 v6, s17
	v_cmp_ge_i64_e32 vcc, s[14:15], v[5:6]
	v_mov_b32_e32 v5, 0
	v_mov_b32_e32 v6, 0
	s_cbranch_vccnz .LBB95_10
; %bb.8:
	s_sub_u32 s16, s16, s8
	s_load_dwordx4 s[20:23], s[4:5], 0x30
	s_load_dwordx2 s[12:13], s[4:5], 0x40
	s_subb_u32 s17, s17, 0
	v_lshrrev_b32_e32 v5, 5, v0
	v_cndmask_b32_e64 v13, v12, v5, s[0:1]
	s_sub_u32 s0, s14, s8
	s_subb_u32 s1, s15, 0
	s_lshl_b64 s[4:5], s[0:1], 13
	s_waitcnt lgkmcnt(0)
	s_add_u32 s4, s22, s4
	s_mov_b32 s9, 0
	s_addc_u32 s5, s23, s5
	v_mov_b32_e32 v5, s5
	v_add_co_u32_e32 v7, vcc, s4, v11
	s_lshl_b64 s[4:5], s[14:15], 2
	s_lshl_b64 s[14:15], s[8:9], 2
	s_sub_u32 s4, s4, s14
	s_subb_u32 s5, s5, s15
	v_addc_co_u32_e32 v8, vcc, 0, v5, vcc
	s_add_u32 s4, s20, s4
	v_mov_b32_e32 v5, 0
	v_mov_b32_e32 v9, s16
	s_addc_u32 s5, s21, s5
	v_mov_b32_e32 v6, 0
	v_mov_b32_e32 v14, s13
	;; [unrolled: 1-line block ×3, first 2 shown]
.LBB95_9:                               ; =>This Inner Loop Header: Depth=1
	s_load_dword s7, s[4:5], 0x0
	global_load_dwordx2 v[15:16], v[7:8], off
	s_waitcnt lgkmcnt(0)
	s_sub_i32 s7, s7, s8
	v_lshl_or_b32 v17, s7, 5, v13
	v_ashrrev_i32_e32 v18, 31, v17
	v_lshlrev_b64 v[17:18], 3, v[17:18]
	s_add_u32 s0, s0, 1
	v_add_co_u32_e32 v17, vcc, s12, v17
	v_addc_co_u32_e32 v18, vcc, v14, v18, vcc
	global_load_dwordx2 v[17:18], v[17:18], off
	v_add_co_u32_e32 v7, vcc, 0x2000, v7
	v_addc_co_u32_e32 v8, vcc, 0, v8, vcc
	s_addc_u32 s1, s1, 0
	v_cmp_lt_i64_e32 vcc, s[0:1], v[9:10]
	s_add_u32 s4, s4, 4
	s_addc_u32 s5, s5, 0
	s_waitcnt vmcnt(0)
	v_fma_f64 v[5:6], v[15:16], v[17:18], v[5:6]
	s_cbranch_vccnz .LBB95_9
.LBB95_10:
	s_and_b64 vcc, exec, s[10:11]
	ds_write_b64 v11, v[5:6]
	s_waitcnt lgkmcnt(0)
	s_barrier
	s_cbranch_vccz .LBB95_22
; %bb.11:
	v_cmp_gt_u32_e32 vcc, 16, v12
	s_and_saveexec_b64 s[0:1], vcc
	s_cbranch_execz .LBB95_13
; %bb.12:
	ds_read2_b64 v[7:10], v11 offset1:16
	s_waitcnt lgkmcnt(0)
	v_add_f64 v[7:8], v[9:10], v[7:8]
	ds_write_b64 v11, v[7:8]
.LBB95_13:
	s_or_b64 exec, exec, s[0:1]
	v_cmp_gt_u32_e32 vcc, 8, v12
	s_waitcnt lgkmcnt(0)
	s_barrier
	s_and_saveexec_b64 s[0:1], vcc
	s_cbranch_execz .LBB95_15
; %bb.14:
	ds_read2_b64 v[7:10], v11 offset1:8
	s_waitcnt lgkmcnt(0)
	v_add_f64 v[7:8], v[9:10], v[7:8]
	ds_write_b64 v11, v[7:8]
.LBB95_15:
	s_or_b64 exec, exec, s[0:1]
	v_cmp_gt_u32_e32 vcc, 4, v12
	s_waitcnt lgkmcnt(0)
	s_barrier
	;; [unrolled: 12-line block ×3, first 2 shown]
	s_and_saveexec_b64 s[0:1], vcc
	s_cbranch_execz .LBB95_19
; %bb.18:
	ds_read2_b64 v[7:10], v11 offset1:2
	s_waitcnt lgkmcnt(0)
	v_add_f64 v[7:8], v[9:10], v[7:8]
	ds_write_b64 v11, v[7:8]
.LBB95_19:
	s_or_b64 exec, exec, s[0:1]
	v_mov_b32_e32 v8, v6
	v_cmp_gt_u32_e32 vcc, 32, v0
	v_mov_b32_e32 v7, v5
	s_waitcnt lgkmcnt(0)
	s_barrier
	s_and_saveexec_b64 s[0:1], vcc
	s_cbranch_execz .LBB95_21
; %bb.20:
	s_movk_i32 s4, 0xf8
	v_mad_u32_u24 v7, v0, s4, v11
	ds_read_b128 v[7:10], v7
	s_waitcnt lgkmcnt(0)
	v_add_f64 v[7:8], v[7:8], v[9:10]
.LBB95_21:
	s_or_b64 exec, exec, s[0:1]
	s_branch .LBB95_34
.LBB95_22:
                                        ; implicit-def: $vgpr7_vgpr8
	s_cbranch_execz .LBB95_34
; %bb.23:
	s_movk_i32 s0, 0x200
	v_cmp_gt_u32_e32 vcc, s0, v0
	s_and_saveexec_b64 s[0:1], vcc
	s_cbranch_execz .LBB95_25
; %bb.24:
	ds_read2st64_b64 v[7:10], v11 offset1:8
	s_waitcnt lgkmcnt(0)
	v_add_f64 v[7:8], v[9:10], v[7:8]
	ds_write_b64 v11, v[7:8]
.LBB95_25:
	s_or_b64 exec, exec, s[0:1]
	s_movk_i32 s0, 0x100
	v_cmp_gt_u32_e32 vcc, s0, v0
	s_waitcnt lgkmcnt(0)
	s_barrier
	s_and_saveexec_b64 s[0:1], vcc
	s_cbranch_execz .LBB95_27
; %bb.26:
	ds_read2st64_b64 v[7:10], v11 offset1:4
	s_waitcnt lgkmcnt(0)
	v_add_f64 v[7:8], v[9:10], v[7:8]
	ds_write_b64 v11, v[7:8]
.LBB95_27:
	s_or_b64 exec, exec, s[0:1]
	s_movk_i32 s0, 0x80
	v_cmp_gt_u32_e32 vcc, s0, v0
	s_waitcnt lgkmcnt(0)
	s_barrier
	s_and_saveexec_b64 s[0:1], vcc
	s_cbranch_execz .LBB95_29
; %bb.28:
	ds_read2st64_b64 v[7:10], v11 offset1:2
	s_waitcnt lgkmcnt(0)
	v_add_f64 v[7:8], v[9:10], v[7:8]
	ds_write_b64 v11, v[7:8]
.LBB95_29:
	s_or_b64 exec, exec, s[0:1]
	v_cmp_gt_u32_e32 vcc, 64, v0
	s_waitcnt lgkmcnt(0)
	s_barrier
	s_and_saveexec_b64 s[0:1], vcc
	s_cbranch_execz .LBB95_31
; %bb.30:
	ds_read2st64_b64 v[7:10], v11 offset1:1
	s_waitcnt lgkmcnt(0)
	v_add_f64 v[7:8], v[9:10], v[7:8]
	ds_write_b64 v11, v[7:8]
.LBB95_31:
	s_or_b64 exec, exec, s[0:1]
	v_cmp_gt_u32_e32 vcc, 32, v0
	s_waitcnt lgkmcnt(0)
	s_and_saveexec_b64 s[0:1], vcc
	s_cbranch_execz .LBB95_33
; %bb.32:
	ds_read2_b64 v[5:8], v11 offset1:32
	s_waitcnt lgkmcnt(0)
	v_add_f64 v[5:6], v[5:6], v[7:8]
.LBB95_33:
	s_or_b64 exec, exec, s[0:1]
	v_mov_b32_e32 v8, v6
	v_mov_b32_e32 v7, v5
.LBB95_34:
	v_cmp_gt_u32_e32 vcc, 32, v0
	s_and_b64 exec, exec, vcc
	s_cbranch_execz .LBB95_39
; %bb.35:
	v_cmp_eq_f64_e32 vcc, 0, v[1:2]
	v_mul_f64 v[3:4], v[3:4], v[7:8]
	v_lshl_or_b32 v5, s6, 5, v0
	s_and_saveexec_b64 s[0:1], vcc
	s_xor_b64 s[0:1], exec, s[0:1]
	s_cbranch_execz .LBB95_37
; %bb.36:
	v_mov_b32_e32 v6, 0
	v_lshlrev_b64 v[0:1], 3, v[5:6]
	v_mov_b32_e32 v2, s3
	v_add_co_u32_e32 v0, vcc, s2, v0
	v_addc_co_u32_e32 v1, vcc, v2, v1, vcc
	global_store_dwordx2 v[0:1], v[3:4], off
                                        ; implicit-def: $vgpr5
                                        ; implicit-def: $vgpr1_vgpr2
                                        ; implicit-def: $vgpr3_vgpr4
.LBB95_37:
	s_andn2_saveexec_b64 s[0:1], s[0:1]
	s_cbranch_execz .LBB95_39
; %bb.38:
	v_mov_b32_e32 v6, 0
	v_lshlrev_b64 v[5:6], 3, v[5:6]
	v_mov_b32_e32 v0, s3
	v_add_co_u32_e32 v5, vcc, s2, v5
	v_addc_co_u32_e32 v6, vcc, v0, v6, vcc
	global_load_dwordx2 v[7:8], v[5:6], off
	s_waitcnt vmcnt(0)
	v_fma_f64 v[0:1], v[1:2], v[7:8], v[3:4]
	global_store_dwordx2 v[5:6], v[0:1], off
.LBB95_39:
	s_endpgm
	.section	.rodata,"a",@progbits
	.p2align	6, 0x0
	.amdhsa_kernel _ZN9rocsparseL20bsrxmvn_17_32_kernelILj32EdlidddEEvT2_20rocsparse_direction_NS_24const_host_device_scalarIT0_EES1_PKS1_PKT1_SA_S7_PKT3_PKT4_S5_PT5_21rocsparse_index_base_b
		.amdhsa_group_segment_fixed_size 8192
		.amdhsa_private_segment_fixed_size 0
		.amdhsa_kernarg_size 96
		.amdhsa_user_sgpr_count 6
		.amdhsa_user_sgpr_private_segment_buffer 1
		.amdhsa_user_sgpr_dispatch_ptr 0
		.amdhsa_user_sgpr_queue_ptr 0
		.amdhsa_user_sgpr_kernarg_segment_ptr 1
		.amdhsa_user_sgpr_dispatch_id 0
		.amdhsa_user_sgpr_flat_scratch_init 0
		.amdhsa_user_sgpr_private_segment_size 0
		.amdhsa_uses_dynamic_stack 0
		.amdhsa_system_sgpr_private_segment_wavefront_offset 0
		.amdhsa_system_sgpr_workgroup_id_x 1
		.amdhsa_system_sgpr_workgroup_id_y 0
		.amdhsa_system_sgpr_workgroup_id_z 0
		.amdhsa_system_sgpr_workgroup_info 0
		.amdhsa_system_vgpr_workitem_id 0
		.amdhsa_next_free_vgpr 29
		.amdhsa_next_free_sgpr 61
		.amdhsa_reserve_vcc 1
		.amdhsa_reserve_flat_scratch 0
		.amdhsa_float_round_mode_32 0
		.amdhsa_float_round_mode_16_64 0
		.amdhsa_float_denorm_mode_32 3
		.amdhsa_float_denorm_mode_16_64 3
		.amdhsa_dx10_clamp 1
		.amdhsa_ieee_mode 1
		.amdhsa_fp16_overflow 0
		.amdhsa_exception_fp_ieee_invalid_op 0
		.amdhsa_exception_fp_denorm_src 0
		.amdhsa_exception_fp_ieee_div_zero 0
		.amdhsa_exception_fp_ieee_overflow 0
		.amdhsa_exception_fp_ieee_underflow 0
		.amdhsa_exception_fp_ieee_inexact 0
		.amdhsa_exception_int_div_zero 0
	.end_amdhsa_kernel
	.section	.text._ZN9rocsparseL20bsrxmvn_17_32_kernelILj32EdlidddEEvT2_20rocsparse_direction_NS_24const_host_device_scalarIT0_EES1_PKS1_PKT1_SA_S7_PKT3_PKT4_S5_PT5_21rocsparse_index_base_b,"axG",@progbits,_ZN9rocsparseL20bsrxmvn_17_32_kernelILj32EdlidddEEvT2_20rocsparse_direction_NS_24const_host_device_scalarIT0_EES1_PKS1_PKT1_SA_S7_PKT3_PKT4_S5_PT5_21rocsparse_index_base_b,comdat
.Lfunc_end95:
	.size	_ZN9rocsparseL20bsrxmvn_17_32_kernelILj32EdlidddEEvT2_20rocsparse_direction_NS_24const_host_device_scalarIT0_EES1_PKS1_PKT1_SA_S7_PKT3_PKT4_S5_PT5_21rocsparse_index_base_b, .Lfunc_end95-_ZN9rocsparseL20bsrxmvn_17_32_kernelILj32EdlidddEEvT2_20rocsparse_direction_NS_24const_host_device_scalarIT0_EES1_PKS1_PKT1_SA_S7_PKT3_PKT4_S5_PT5_21rocsparse_index_base_b
                                        ; -- End function
	.set _ZN9rocsparseL20bsrxmvn_17_32_kernelILj32EdlidddEEvT2_20rocsparse_direction_NS_24const_host_device_scalarIT0_EES1_PKS1_PKT1_SA_S7_PKT3_PKT4_S5_PT5_21rocsparse_index_base_b.num_vgpr, 19
	.set _ZN9rocsparseL20bsrxmvn_17_32_kernelILj32EdlidddEEvT2_20rocsparse_direction_NS_24const_host_device_scalarIT0_EES1_PKS1_PKT1_SA_S7_PKT3_PKT4_S5_PT5_21rocsparse_index_base_b.num_agpr, 0
	.set _ZN9rocsparseL20bsrxmvn_17_32_kernelILj32EdlidddEEvT2_20rocsparse_direction_NS_24const_host_device_scalarIT0_EES1_PKS1_PKT1_SA_S7_PKT3_PKT4_S5_PT5_21rocsparse_index_base_b.numbered_sgpr, 24
	.set _ZN9rocsparseL20bsrxmvn_17_32_kernelILj32EdlidddEEvT2_20rocsparse_direction_NS_24const_host_device_scalarIT0_EES1_PKS1_PKT1_SA_S7_PKT3_PKT4_S5_PT5_21rocsparse_index_base_b.num_named_barrier, 0
	.set _ZN9rocsparseL20bsrxmvn_17_32_kernelILj32EdlidddEEvT2_20rocsparse_direction_NS_24const_host_device_scalarIT0_EES1_PKS1_PKT1_SA_S7_PKT3_PKT4_S5_PT5_21rocsparse_index_base_b.private_seg_size, 0
	.set _ZN9rocsparseL20bsrxmvn_17_32_kernelILj32EdlidddEEvT2_20rocsparse_direction_NS_24const_host_device_scalarIT0_EES1_PKS1_PKT1_SA_S7_PKT3_PKT4_S5_PT5_21rocsparse_index_base_b.uses_vcc, 1
	.set _ZN9rocsparseL20bsrxmvn_17_32_kernelILj32EdlidddEEvT2_20rocsparse_direction_NS_24const_host_device_scalarIT0_EES1_PKS1_PKT1_SA_S7_PKT3_PKT4_S5_PT5_21rocsparse_index_base_b.uses_flat_scratch, 0
	.set _ZN9rocsparseL20bsrxmvn_17_32_kernelILj32EdlidddEEvT2_20rocsparse_direction_NS_24const_host_device_scalarIT0_EES1_PKS1_PKT1_SA_S7_PKT3_PKT4_S5_PT5_21rocsparse_index_base_b.has_dyn_sized_stack, 0
	.set _ZN9rocsparseL20bsrxmvn_17_32_kernelILj32EdlidddEEvT2_20rocsparse_direction_NS_24const_host_device_scalarIT0_EES1_PKS1_PKT1_SA_S7_PKT3_PKT4_S5_PT5_21rocsparse_index_base_b.has_recursion, 0
	.set _ZN9rocsparseL20bsrxmvn_17_32_kernelILj32EdlidddEEvT2_20rocsparse_direction_NS_24const_host_device_scalarIT0_EES1_PKS1_PKT1_SA_S7_PKT3_PKT4_S5_PT5_21rocsparse_index_base_b.has_indirect_call, 0
	.section	.AMDGPU.csdata,"",@progbits
; Kernel info:
; codeLenInByte = 1248
; TotalNumSgprs: 28
; NumVgprs: 19
; ScratchSize: 0
; MemoryBound: 0
; FloatMode: 240
; IeeeMode: 1
; LDSByteSize: 8192 bytes/workgroup (compile time only)
; SGPRBlocks: 8
; VGPRBlocks: 7
; NumSGPRsForWavesPerEU: 65
; NumVGPRsForWavesPerEU: 29
; Occupancy: 8
; WaveLimiterHint : 1
; COMPUTE_PGM_RSRC2:SCRATCH_EN: 0
; COMPUTE_PGM_RSRC2:USER_SGPR: 6
; COMPUTE_PGM_RSRC2:TRAP_HANDLER: 0
; COMPUTE_PGM_RSRC2:TGID_X_EN: 1
; COMPUTE_PGM_RSRC2:TGID_Y_EN: 0
; COMPUTE_PGM_RSRC2:TGID_Z_EN: 0
; COMPUTE_PGM_RSRC2:TIDIG_COMP_CNT: 0
	.section	.text._ZN9rocsparseL20bsrxmvn_17_32_kernelILj17E21rocsparse_complex_numIfEliS2_S2_S2_EEvT2_20rocsparse_direction_NS_24const_host_device_scalarIT0_EES3_PKS3_PKT1_SC_S9_PKT3_PKT4_S7_PT5_21rocsparse_index_base_b,"axG",@progbits,_ZN9rocsparseL20bsrxmvn_17_32_kernelILj17E21rocsparse_complex_numIfEliS2_S2_S2_EEvT2_20rocsparse_direction_NS_24const_host_device_scalarIT0_EES3_PKS3_PKT1_SC_S9_PKT3_PKT4_S7_PT5_21rocsparse_index_base_b,comdat
	.globl	_ZN9rocsparseL20bsrxmvn_17_32_kernelILj17E21rocsparse_complex_numIfEliS2_S2_S2_EEvT2_20rocsparse_direction_NS_24const_host_device_scalarIT0_EES3_PKS3_PKT1_SC_S9_PKT3_PKT4_S7_PT5_21rocsparse_index_base_b ; -- Begin function _ZN9rocsparseL20bsrxmvn_17_32_kernelILj17E21rocsparse_complex_numIfEliS2_S2_S2_EEvT2_20rocsparse_direction_NS_24const_host_device_scalarIT0_EES3_PKS3_PKT1_SC_S9_PKT3_PKT4_S7_PT5_21rocsparse_index_base_b
	.p2align	8
	.type	_ZN9rocsparseL20bsrxmvn_17_32_kernelILj17E21rocsparse_complex_numIfEliS2_S2_S2_EEvT2_20rocsparse_direction_NS_24const_host_device_scalarIT0_EES3_PKS3_PKT1_SC_S9_PKT3_PKT4_S7_PT5_21rocsparse_index_base_b,@function
_ZN9rocsparseL20bsrxmvn_17_32_kernelILj17E21rocsparse_complex_numIfEliS2_S2_S2_EEvT2_20rocsparse_direction_NS_24const_host_device_scalarIT0_EES3_PKS3_PKT1_SC_S9_PKT3_PKT4_S7_PT5_21rocsparse_index_base_b: ; @_ZN9rocsparseL20bsrxmvn_17_32_kernelILj17E21rocsparse_complex_numIfEliS2_S2_S2_EEvT2_20rocsparse_direction_NS_24const_host_device_scalarIT0_EES3_PKS3_PKT1_SC_S9_PKT3_PKT4_S7_PT5_21rocsparse_index_base_b
; %bb.0:
	s_load_dwordx2 s[0:1], s[4:5], 0x8
	s_load_dwordx2 s[14:15], s[4:5], 0x58
	s_add_u32 s7, s4, 8
	s_addc_u32 s8, s5, 0
	s_add_u32 s9, s4, 0x48
	s_load_dwordx2 s[2:3], s[4:5], 0x48
	s_addc_u32 s10, s5, 0
	s_waitcnt lgkmcnt(0)
	s_bitcmp1_b32 s15, 0
	s_cselect_b32 s1, s8, s1
	s_cselect_b32 s0, s7, s0
	v_mov_b32_e32 v1, s0
	v_mov_b32_e32 v2, s1
	flat_load_dwordx2 v[3:4], v[1:2]
	s_cselect_b32 s0, s10, s3
	s_cselect_b32 s1, s9, s2
	v_mov_b32_e32 v1, s1
	v_mov_b32_e32 v2, s0
	flat_load_dwordx2 v[1:2], v[1:2]
	s_waitcnt vmcnt(0) lgkmcnt(0)
	v_cmp_eq_f32_e32 vcc, 0, v3
	v_cmp_eq_f32_e64 s[0:1], 0, v4
	s_and_b64 s[8:9], vcc, s[0:1]
	s_mov_b64 s[0:1], -1
	s_and_saveexec_b64 s[2:3], s[8:9]
; %bb.1:
	v_cmp_neq_f32_e32 vcc, 1.0, v1
	v_cmp_neq_f32_e64 s[0:1], 0, v2
	s_or_b64 s[0:1], vcc, s[0:1]
	s_orn2_b64 s[0:1], s[0:1], exec
; %bb.2:
	s_or_b64 exec, exec, s[2:3]
	s_and_saveexec_b64 s[2:3], s[0:1]
	s_cbranch_execz .LBB96_39
; %bb.3:
	s_load_dwordx4 s[0:3], s[4:5], 0x18
	s_load_dwordx2 s[8:9], s[4:5], 0x28
	s_waitcnt lgkmcnt(0)
	s_cmp_eq_u64 s[0:1], 0
	s_cbranch_scc1 .LBB96_5
; %bb.4:
	s_ashr_i32 s7, s6, 31
	s_lshl_b64 s[6:7], s[6:7], 2
	s_add_u32 s0, s0, s6
	s_addc_u32 s1, s1, s7
	s_load_dword s0, s[0:1], 0x0
	s_waitcnt lgkmcnt(0)
	s_sub_i32 s6, s0, s14
.LBB96_5:
	s_load_dword s7, s[4:5], 0x4
	s_load_dwordx2 s[12:13], s[4:5], 0x50
	v_mul_u32_u24_e32 v7, 0xf10, v0
	v_mov_b32_e32 v5, 17
	v_mul_lo_u16_sdwa v5, v7, v5 dst_sel:DWORD dst_unused:UNUSED_PAD src0_sel:WORD_1 src1_sel:DWORD
	s_waitcnt lgkmcnt(0)
	s_cmp_eq_u32 s7, 1
	s_cselect_b64 s[0:1], -1, 0
	s_cmp_lg_u32 s7, 1
	s_cselect_b64 s[16:17], -1, 0
	s_ashr_i32 s7, s6, 31
	s_lshl_b64 s[10:11], s[6:7], 3
	s_add_u32 s2, s2, s10
	s_addc_u32 s3, s3, s11
	s_add_u32 s7, s2, 8
	s_addc_u32 s15, s3, 0
	;; [unrolled: 2-line block ×3, first 2 shown]
	s_cmp_eq_u64 s[8:9], 0
	s_cselect_b32 s9, s15, s11
	s_cselect_b32 s8, s7, s10
	s_load_dwordx2 s[18:19], s[8:9], 0x0
	s_load_dwordx2 s[20:21], s[2:3], 0x0
	v_sub_u16_e32 v13, v0, v5
	v_lshlrev_b32_e32 v12, 3, v0
	s_waitcnt lgkmcnt(0)
	v_mov_b32_e32 v5, s18
	v_mov_b32_e32 v6, s19
	v_cmp_ge_i64_e32 vcc, s[20:21], v[5:6]
	v_mov_b32_e32 v6, 0
	v_mov_b32_e32 v5, 0
	s_cbranch_vccnz .LBB96_10
; %bb.6:
	v_mov_b32_e32 v5, 31
	v_mul_lo_u16_sdwa v5, v7, v5 dst_sel:DWORD dst_unused:UNUSED_PAD src0_sel:WORD_1 src1_sel:DWORD
	s_load_dwordx4 s[8:11], s[4:5], 0x30
	s_load_dwordx2 s[2:3], s[4:5], 0x40
	s_sub_u32 s4, s18, s14
	v_lshrrev_b16_e32 v5, 9, v5
	s_subb_u32 s5, s19, 0
	v_mul_lo_u16_e32 v5, 17, v5
	v_sub_u16_sdwa v5, v7, v5 dst_sel:DWORD dst_unused:UNUSED_PAD src0_sel:WORD_1 src1_sel:DWORD
	s_sub_u32 s18, s20, s14
	v_and_b32_e32 v5, 0xff, v5
	s_subb_u32 s19, s21, 0
	v_cndmask_b32_e64 v7, v13, v5, s[0:1]
	s_mul_i32 s0, s19, 0x908
	s_mul_hi_u32 s1, s18, 0x908
	s_add_i32 s1, s1, s0
	s_mul_i32 s0, s18, 0x908
	s_waitcnt lgkmcnt(0)
	s_add_u32 s0, s10, s0
	s_addc_u32 s1, s11, s1
	v_mov_b32_e32 v5, s1
	v_add_co_u32_e32 v8, vcc, s0, v12
	s_movk_i32 s0, 0xe3
	v_addc_co_u32_e32 v9, vcc, 0, v5, vcc
	v_mul_u32_u24_sdwa v5, v0, s0 dst_sel:DWORD dst_unused:UNUSED_PAD src0_sel:WORD_0 src1_sel:DWORD
	v_lshrrev_b32_e32 v14, 16, v5
	v_mov_b32_e32 v5, s21
	v_add_co_u32_e32 v10, vcc, s20, v14
	v_addc_co_u32_e32 v5, vcc, 0, v5, vcc
	v_subrev_co_u32_e32 v10, vcc, s14, v10
	v_subbrev_co_u32_e32 v11, vcc, 0, v5, vcc
	v_lshlrev_b64 v[10:11], 2, v[10:11]
	v_mov_b32_e32 v6, 0
	v_mov_b32_e32 v5, s9
	v_add_co_u32_e32 v10, vcc, s8, v10
	v_addc_co_u32_e32 v11, vcc, v5, v11, vcc
	v_mov_b32_e32 v5, v6
	s_branch .LBB96_8
.LBB96_7:                               ;   in Loop: Header=BB96_8 Depth=1
	s_or_b64 exec, exec, s[0:1]
	s_add_u32 s18, s18, 1
	v_mov_b32_e32 v16, s5
	s_addc_u32 s19, s19, 0
	v_mov_b32_e32 v15, s4
	v_cmp_lt_i64_e32 vcc, s[18:19], v[15:16]
	v_add_co_u32_e64 v10, s[0:1], 4, v10
	v_addc_co_u32_e64 v11, s[0:1], 0, v11, s[0:1]
	s_cbranch_vccz .LBB96_10
.LBB96_8:                               ; =>This Inner Loop Header: Depth=1
	v_mov_b32_e32 v16, s19
	v_add_co_u32_e32 v15, vcc, s18, v14
	v_addc_co_u32_e32 v16, vcc, 0, v16, vcc
	v_cmp_gt_i64_e32 vcc, s[4:5], v[15:16]
	s_and_saveexec_b64 s[0:1], vcc
	s_cbranch_execz .LBB96_7
; %bb.9:                                ;   in Loop: Header=BB96_8 Depth=1
	global_load_dword v15, v[10:11], off
	v_mov_b32_e32 v19, s3
	global_load_dwordx2 v[17:18], v[8:9], off
	s_waitcnt vmcnt(1)
	v_subrev_u32_e32 v15, s14, v15
	v_mad_u64_u32 v[15:16], s[8:9], v15, 17, v[7:8]
	v_ashrrev_i32_e32 v16, 31, v15
	v_lshlrev_b64 v[15:16], 3, v[15:16]
	v_add_co_u32_e32 v15, vcc, s2, v15
	v_addc_co_u32_e32 v16, vcc, v19, v16, vcc
	global_load_dwordx2 v[15:16], v[15:16], off
	v_add_co_u32_e32 v8, vcc, 0x908, v8
	v_addc_co_u32_e32 v9, vcc, 0, v9, vcc
	s_waitcnt vmcnt(0)
	v_fmac_f32_e32 v5, v17, v15
	v_fmac_f32_e32 v6, v18, v15
	v_fma_f32 v5, -v18, v16, v5
	v_fmac_f32_e32 v6, v17, v16
	s_branch .LBB96_7
.LBB96_10:
	s_and_b64 vcc, exec, s[16:17]
	ds_write_b64 v12, v[5:6]
	s_waitcnt lgkmcnt(0)
	s_barrier
	s_cbranch_vccz .LBB96_22
; %bb.11:
	v_cmp_eq_u16_e32 vcc, 0, v13
	s_and_saveexec_b64 s[0:1], vcc
	s_cbranch_execz .LBB96_13
; %bb.12:
	ds_read2_b64 v[7:10], v12 offset1:16
	s_waitcnt lgkmcnt(0)
	v_add_f32_e32 v7, v9, v7
	v_add_f32_e32 v8, v10, v8
	ds_write_b64 v12, v[7:8]
.LBB96_13:
	s_or_b64 exec, exec, s[0:1]
	v_cmp_gt_u16_e32 vcc, 8, v13
	s_waitcnt lgkmcnt(0)
	s_barrier
	s_and_saveexec_b64 s[0:1], vcc
	s_cbranch_execz .LBB96_15
; %bb.14:
	ds_read2_b64 v[7:10], v12 offset1:8
	s_waitcnt lgkmcnt(0)
	v_add_f32_e32 v7, v9, v7
	v_add_f32_e32 v8, v10, v8
	ds_write_b64 v12, v[7:8]
.LBB96_15:
	s_or_b64 exec, exec, s[0:1]
	v_cmp_gt_u16_e32 vcc, 4, v13
	s_waitcnt lgkmcnt(0)
	s_barrier
	;; [unrolled: 13-line block ×3, first 2 shown]
	s_and_saveexec_b64 s[0:1], vcc
	s_cbranch_execz .LBB96_19
; %bb.18:
	ds_read2_b64 v[7:10], v12 offset1:2
	s_waitcnt lgkmcnt(0)
	v_add_f32_e32 v7, v9, v7
	v_add_f32_e32 v8, v10, v8
	ds_write_b64 v12, v[7:8]
.LBB96_19:
	s_or_b64 exec, exec, s[0:1]
	v_cmp_gt_u32_e32 vcc, 17, v0
	v_mov_b32_e32 v8, v6
	v_mov_b32_e32 v7, v5
	s_waitcnt lgkmcnt(0)
	s_barrier
	s_and_saveexec_b64 s[0:1], vcc
	s_cbranch_execz .LBB96_21
; %bb.20:
	v_lshl_add_u32 v7, v0, 7, v12
	ds_read2_b64 v[7:10], v7 offset1:1
	s_waitcnt lgkmcnt(0)
	v_add_f32_e32 v7, v9, v7
	v_add_f32_e32 v8, v10, v8
.LBB96_21:
	s_or_b64 exec, exec, s[0:1]
	v_cmp_gt_u32_e64 s[0:1], 17, v0
	s_branch .LBB96_34
.LBB96_22:
                                        ; implicit-def: $vgpr8
                                        ; implicit-def: $vgpr7
	v_cmp_gt_u32_e64 s[0:1], 17, v0
	s_cbranch_execz .LBB96_34
; %bb.23:
	s_and_saveexec_b64 s[2:3], s[0:1]
	s_cbranch_execz .LBB96_25
; %bb.24:
	ds_read_b64 v[7:8], v12 offset:2176
	ds_read_b64 v[9:10], v12
	s_waitcnt lgkmcnt(0)
	v_add_f32_e32 v7, v7, v9
	v_add_f32_e32 v8, v8, v10
	ds_write_b64 v12, v[7:8]
.LBB96_25:
	s_or_b64 exec, exec, s[2:3]
	s_movk_i32 s2, 0x88
	v_cmp_gt_u32_e32 vcc, s2, v0
	s_waitcnt lgkmcnt(0)
	s_barrier
	s_and_saveexec_b64 s[2:3], vcc
	s_cbranch_execz .LBB96_27
; %bb.26:
	ds_read2_b64 v[7:10], v12 offset1:136
	s_waitcnt lgkmcnt(0)
	v_add_f32_e32 v7, v9, v7
	v_add_f32_e32 v8, v10, v8
	ds_write_b64 v12, v[7:8]
.LBB96_27:
	s_or_b64 exec, exec, s[2:3]
	s_movk_i32 s2, 0x44
	v_cmp_gt_u32_e32 vcc, s2, v0
	s_waitcnt lgkmcnt(0)
	s_barrier
	s_and_saveexec_b64 s[2:3], vcc
	s_cbranch_execz .LBB96_29
; %bb.28:
	ds_read2_b64 v[7:10], v12 offset1:68
	s_waitcnt lgkmcnt(0)
	v_add_f32_e32 v7, v9, v7
	v_add_f32_e32 v8, v10, v8
	ds_write_b64 v12, v[7:8]
.LBB96_29:
	s_or_b64 exec, exec, s[2:3]
	v_cmp_gt_u32_e32 vcc, 34, v0
	s_waitcnt lgkmcnt(0)
	s_barrier
	s_and_saveexec_b64 s[2:3], vcc
	s_cbranch_execz .LBB96_31
; %bb.30:
	ds_read2_b64 v[7:10], v12 offset1:34
	s_waitcnt lgkmcnt(0)
	v_add_f32_e32 v7, v9, v7
	v_add_f32_e32 v8, v10, v8
	ds_write_b64 v12, v[7:8]
.LBB96_31:
	s_or_b64 exec, exec, s[2:3]
	s_waitcnt lgkmcnt(0)
	s_and_saveexec_b64 s[2:3], s[0:1]
	s_cbranch_execz .LBB96_33
; %bb.32:
	ds_read2_b64 v[5:8], v12 offset1:17
	s_waitcnt lgkmcnt(0)
	v_add_f32_e32 v5, v7, v5
	v_add_f32_e32 v6, v8, v6
.LBB96_33:
	s_or_b64 exec, exec, s[2:3]
	v_mov_b32_e32 v8, v6
	v_mov_b32_e32 v7, v5
.LBB96_34:
	v_cmp_gt_u32_e32 vcc, 17, v0
	s_and_b64 exec, exec, vcc
	s_cbranch_execz .LBB96_39
; %bb.35:
	v_cmp_eq_f32_e32 vcc, 0, v1
	v_cmp_eq_f32_e64 s[0:1], 0, v2
	v_mul_f32_e64 v5, v8, -v4
	v_mul_f32_e32 v6, v3, v8
	s_and_b64 s[0:1], vcc, s[0:1]
	v_fmac_f32_e32 v5, v3, v7
	v_fmac_f32_e32 v6, v4, v7
	s_and_saveexec_b64 s[2:3], s[0:1]
	s_xor_b64 s[0:1], exec, s[2:3]
	s_cbranch_execz .LBB96_37
; %bb.36:
	v_mad_u64_u32 v[0:1], s[2:3], s6, 17, v[0:1]
	v_mov_b32_e32 v1, 0
	v_mov_b32_e32 v2, s13
	v_lshlrev_b64 v[0:1], 3, v[0:1]
	v_add_co_u32_e32 v0, vcc, s12, v0
	v_addc_co_u32_e32 v1, vcc, v2, v1, vcc
	global_store_dwordx2 v[0:1], v[5:6], off
                                        ; implicit-def: $vgpr0
                                        ; implicit-def: $vgpr1_vgpr2
                                        ; implicit-def: $vgpr5
.LBB96_37:
	s_andn2_saveexec_b64 s[0:1], s[0:1]
	s_cbranch_execz .LBB96_39
; %bb.38:
	v_mad_u64_u32 v[3:4], s[0:1], s6, 17, v[0:1]
	v_mov_b32_e32 v4, 0
	v_mov_b32_e32 v0, s13
	v_lshlrev_b64 v[3:4], 3, v[3:4]
	v_add_co_u32_e32 v3, vcc, s12, v3
	v_addc_co_u32_e32 v4, vcc, v0, v4, vcc
	global_load_dwordx2 v[7:8], v[3:4], off
	s_waitcnt vmcnt(0)
	v_fmac_f32_e32 v5, v1, v7
	v_fmac_f32_e32 v6, v2, v7
	v_fma_f32 v5, -v2, v8, v5
	v_fmac_f32_e32 v6, v1, v8
	global_store_dwordx2 v[3:4], v[5:6], off
.LBB96_39:
	s_endpgm
	.section	.rodata,"a",@progbits
	.p2align	6, 0x0
	.amdhsa_kernel _ZN9rocsparseL20bsrxmvn_17_32_kernelILj17E21rocsparse_complex_numIfEliS2_S2_S2_EEvT2_20rocsparse_direction_NS_24const_host_device_scalarIT0_EES3_PKS3_PKT1_SC_S9_PKT3_PKT4_S7_PT5_21rocsparse_index_base_b
		.amdhsa_group_segment_fixed_size 2312
		.amdhsa_private_segment_fixed_size 0
		.amdhsa_kernarg_size 96
		.amdhsa_user_sgpr_count 6
		.amdhsa_user_sgpr_private_segment_buffer 1
		.amdhsa_user_sgpr_dispatch_ptr 0
		.amdhsa_user_sgpr_queue_ptr 0
		.amdhsa_user_sgpr_kernarg_segment_ptr 1
		.amdhsa_user_sgpr_dispatch_id 0
		.amdhsa_user_sgpr_flat_scratch_init 0
		.amdhsa_user_sgpr_private_segment_size 0
		.amdhsa_uses_dynamic_stack 0
		.amdhsa_system_sgpr_private_segment_wavefront_offset 0
		.amdhsa_system_sgpr_workgroup_id_x 1
		.amdhsa_system_sgpr_workgroup_id_y 0
		.amdhsa_system_sgpr_workgroup_id_z 0
		.amdhsa_system_sgpr_workgroup_info 0
		.amdhsa_system_vgpr_workitem_id 0
		.amdhsa_next_free_vgpr 20
		.amdhsa_next_free_sgpr 22
		.amdhsa_reserve_vcc 1
		.amdhsa_reserve_flat_scratch 0
		.amdhsa_float_round_mode_32 0
		.amdhsa_float_round_mode_16_64 0
		.amdhsa_float_denorm_mode_32 3
		.amdhsa_float_denorm_mode_16_64 3
		.amdhsa_dx10_clamp 1
		.amdhsa_ieee_mode 1
		.amdhsa_fp16_overflow 0
		.amdhsa_exception_fp_ieee_invalid_op 0
		.amdhsa_exception_fp_denorm_src 0
		.amdhsa_exception_fp_ieee_div_zero 0
		.amdhsa_exception_fp_ieee_overflow 0
		.amdhsa_exception_fp_ieee_underflow 0
		.amdhsa_exception_fp_ieee_inexact 0
		.amdhsa_exception_int_div_zero 0
	.end_amdhsa_kernel
	.section	.text._ZN9rocsparseL20bsrxmvn_17_32_kernelILj17E21rocsparse_complex_numIfEliS2_S2_S2_EEvT2_20rocsparse_direction_NS_24const_host_device_scalarIT0_EES3_PKS3_PKT1_SC_S9_PKT3_PKT4_S7_PT5_21rocsparse_index_base_b,"axG",@progbits,_ZN9rocsparseL20bsrxmvn_17_32_kernelILj17E21rocsparse_complex_numIfEliS2_S2_S2_EEvT2_20rocsparse_direction_NS_24const_host_device_scalarIT0_EES3_PKS3_PKT1_SC_S9_PKT3_PKT4_S7_PT5_21rocsparse_index_base_b,comdat
.Lfunc_end96:
	.size	_ZN9rocsparseL20bsrxmvn_17_32_kernelILj17E21rocsparse_complex_numIfEliS2_S2_S2_EEvT2_20rocsparse_direction_NS_24const_host_device_scalarIT0_EES3_PKS3_PKT1_SC_S9_PKT3_PKT4_S7_PT5_21rocsparse_index_base_b, .Lfunc_end96-_ZN9rocsparseL20bsrxmvn_17_32_kernelILj17E21rocsparse_complex_numIfEliS2_S2_S2_EEvT2_20rocsparse_direction_NS_24const_host_device_scalarIT0_EES3_PKS3_PKT1_SC_S9_PKT3_PKT4_S7_PT5_21rocsparse_index_base_b
                                        ; -- End function
	.set _ZN9rocsparseL20bsrxmvn_17_32_kernelILj17E21rocsparse_complex_numIfEliS2_S2_S2_EEvT2_20rocsparse_direction_NS_24const_host_device_scalarIT0_EES3_PKS3_PKT1_SC_S9_PKT3_PKT4_S7_PT5_21rocsparse_index_base_b.num_vgpr, 20
	.set _ZN9rocsparseL20bsrxmvn_17_32_kernelILj17E21rocsparse_complex_numIfEliS2_S2_S2_EEvT2_20rocsparse_direction_NS_24const_host_device_scalarIT0_EES3_PKS3_PKT1_SC_S9_PKT3_PKT4_S7_PT5_21rocsparse_index_base_b.num_agpr, 0
	.set _ZN9rocsparseL20bsrxmvn_17_32_kernelILj17E21rocsparse_complex_numIfEliS2_S2_S2_EEvT2_20rocsparse_direction_NS_24const_host_device_scalarIT0_EES3_PKS3_PKT1_SC_S9_PKT3_PKT4_S7_PT5_21rocsparse_index_base_b.numbered_sgpr, 22
	.set _ZN9rocsparseL20bsrxmvn_17_32_kernelILj17E21rocsparse_complex_numIfEliS2_S2_S2_EEvT2_20rocsparse_direction_NS_24const_host_device_scalarIT0_EES3_PKS3_PKT1_SC_S9_PKT3_PKT4_S7_PT5_21rocsparse_index_base_b.num_named_barrier, 0
	.set _ZN9rocsparseL20bsrxmvn_17_32_kernelILj17E21rocsparse_complex_numIfEliS2_S2_S2_EEvT2_20rocsparse_direction_NS_24const_host_device_scalarIT0_EES3_PKS3_PKT1_SC_S9_PKT3_PKT4_S7_PT5_21rocsparse_index_base_b.private_seg_size, 0
	.set _ZN9rocsparseL20bsrxmvn_17_32_kernelILj17E21rocsparse_complex_numIfEliS2_S2_S2_EEvT2_20rocsparse_direction_NS_24const_host_device_scalarIT0_EES3_PKS3_PKT1_SC_S9_PKT3_PKT4_S7_PT5_21rocsparse_index_base_b.uses_vcc, 1
	.set _ZN9rocsparseL20bsrxmvn_17_32_kernelILj17E21rocsparse_complex_numIfEliS2_S2_S2_EEvT2_20rocsparse_direction_NS_24const_host_device_scalarIT0_EES3_PKS3_PKT1_SC_S9_PKT3_PKT4_S7_PT5_21rocsparse_index_base_b.uses_flat_scratch, 0
	.set _ZN9rocsparseL20bsrxmvn_17_32_kernelILj17E21rocsparse_complex_numIfEliS2_S2_S2_EEvT2_20rocsparse_direction_NS_24const_host_device_scalarIT0_EES3_PKS3_PKT1_SC_S9_PKT3_PKT4_S7_PT5_21rocsparse_index_base_b.has_dyn_sized_stack, 0
	.set _ZN9rocsparseL20bsrxmvn_17_32_kernelILj17E21rocsparse_complex_numIfEliS2_S2_S2_EEvT2_20rocsparse_direction_NS_24const_host_device_scalarIT0_EES3_PKS3_PKT1_SC_S9_PKT3_PKT4_S7_PT5_21rocsparse_index_base_b.has_recursion, 0
	.set _ZN9rocsparseL20bsrxmvn_17_32_kernelILj17E21rocsparse_complex_numIfEliS2_S2_S2_EEvT2_20rocsparse_direction_NS_24const_host_device_scalarIT0_EES3_PKS3_PKT1_SC_S9_PKT3_PKT4_S7_PT5_21rocsparse_index_base_b.has_indirect_call, 0
	.section	.AMDGPU.csdata,"",@progbits
; Kernel info:
; codeLenInByte = 1488
; TotalNumSgprs: 26
; NumVgprs: 20
; ScratchSize: 0
; MemoryBound: 0
; FloatMode: 240
; IeeeMode: 1
; LDSByteSize: 2312 bytes/workgroup (compile time only)
; SGPRBlocks: 3
; VGPRBlocks: 4
; NumSGPRsForWavesPerEU: 26
; NumVGPRsForWavesPerEU: 20
; Occupancy: 10
; WaveLimiterHint : 1
; COMPUTE_PGM_RSRC2:SCRATCH_EN: 0
; COMPUTE_PGM_RSRC2:USER_SGPR: 6
; COMPUTE_PGM_RSRC2:TRAP_HANDLER: 0
; COMPUTE_PGM_RSRC2:TGID_X_EN: 1
; COMPUTE_PGM_RSRC2:TGID_Y_EN: 0
; COMPUTE_PGM_RSRC2:TGID_Z_EN: 0
; COMPUTE_PGM_RSRC2:TIDIG_COMP_CNT: 0
	.section	.text._ZN9rocsparseL20bsrxmvn_17_32_kernelILj18E21rocsparse_complex_numIfEliS2_S2_S2_EEvT2_20rocsparse_direction_NS_24const_host_device_scalarIT0_EES3_PKS3_PKT1_SC_S9_PKT3_PKT4_S7_PT5_21rocsparse_index_base_b,"axG",@progbits,_ZN9rocsparseL20bsrxmvn_17_32_kernelILj18E21rocsparse_complex_numIfEliS2_S2_S2_EEvT2_20rocsparse_direction_NS_24const_host_device_scalarIT0_EES3_PKS3_PKT1_SC_S9_PKT3_PKT4_S7_PT5_21rocsparse_index_base_b,comdat
	.globl	_ZN9rocsparseL20bsrxmvn_17_32_kernelILj18E21rocsparse_complex_numIfEliS2_S2_S2_EEvT2_20rocsparse_direction_NS_24const_host_device_scalarIT0_EES3_PKS3_PKT1_SC_S9_PKT3_PKT4_S7_PT5_21rocsparse_index_base_b ; -- Begin function _ZN9rocsparseL20bsrxmvn_17_32_kernelILj18E21rocsparse_complex_numIfEliS2_S2_S2_EEvT2_20rocsparse_direction_NS_24const_host_device_scalarIT0_EES3_PKS3_PKT1_SC_S9_PKT3_PKT4_S7_PT5_21rocsparse_index_base_b
	.p2align	8
	.type	_ZN9rocsparseL20bsrxmvn_17_32_kernelILj18E21rocsparse_complex_numIfEliS2_S2_S2_EEvT2_20rocsparse_direction_NS_24const_host_device_scalarIT0_EES3_PKS3_PKT1_SC_S9_PKT3_PKT4_S7_PT5_21rocsparse_index_base_b,@function
_ZN9rocsparseL20bsrxmvn_17_32_kernelILj18E21rocsparse_complex_numIfEliS2_S2_S2_EEvT2_20rocsparse_direction_NS_24const_host_device_scalarIT0_EES3_PKS3_PKT1_SC_S9_PKT3_PKT4_S7_PT5_21rocsparse_index_base_b: ; @_ZN9rocsparseL20bsrxmvn_17_32_kernelILj18E21rocsparse_complex_numIfEliS2_S2_S2_EEvT2_20rocsparse_direction_NS_24const_host_device_scalarIT0_EES3_PKS3_PKT1_SC_S9_PKT3_PKT4_S7_PT5_21rocsparse_index_base_b
; %bb.0:
	s_load_dwordx2 s[0:1], s[4:5], 0x8
	s_load_dwordx2 s[14:15], s[4:5], 0x58
	s_add_u32 s7, s4, 8
	s_addc_u32 s8, s5, 0
	s_add_u32 s9, s4, 0x48
	s_load_dwordx2 s[2:3], s[4:5], 0x48
	s_addc_u32 s10, s5, 0
	s_waitcnt lgkmcnt(0)
	s_bitcmp1_b32 s15, 0
	s_cselect_b32 s1, s8, s1
	s_cselect_b32 s0, s7, s0
	v_mov_b32_e32 v1, s0
	v_mov_b32_e32 v2, s1
	flat_load_dwordx2 v[3:4], v[1:2]
	s_cselect_b32 s0, s10, s3
	s_cselect_b32 s1, s9, s2
	v_mov_b32_e32 v1, s1
	v_mov_b32_e32 v2, s0
	flat_load_dwordx2 v[1:2], v[1:2]
	s_waitcnt vmcnt(0) lgkmcnt(0)
	v_cmp_eq_f32_e32 vcc, 0, v3
	v_cmp_eq_f32_e64 s[0:1], 0, v4
	s_and_b64 s[8:9], vcc, s[0:1]
	s_mov_b64 s[0:1], -1
	s_and_saveexec_b64 s[2:3], s[8:9]
; %bb.1:
	v_cmp_neq_f32_e32 vcc, 1.0, v1
	v_cmp_neq_f32_e64 s[0:1], 0, v2
	s_or_b64 s[0:1], vcc, s[0:1]
	s_orn2_b64 s[0:1], s[0:1], exec
; %bb.2:
	s_or_b64 exec, exec, s[2:3]
	s_and_saveexec_b64 s[2:3], s[0:1]
	s_cbranch_execz .LBB97_39
; %bb.3:
	s_load_dwordx4 s[0:3], s[4:5], 0x18
	s_load_dwordx2 s[8:9], s[4:5], 0x28
	s_waitcnt lgkmcnt(0)
	s_cmp_eq_u64 s[0:1], 0
	s_cbranch_scc1 .LBB97_5
; %bb.4:
	s_ashr_i32 s7, s6, 31
	s_lshl_b64 s[6:7], s[6:7], 2
	s_add_u32 s0, s0, s6
	s_addc_u32 s1, s1, s7
	s_load_dword s0, s[0:1], 0x0
	s_waitcnt lgkmcnt(0)
	s_sub_i32 s6, s0, s14
.LBB97_5:
	s_load_dword s7, s[4:5], 0x4
	s_load_dwordx2 s[12:13], s[4:5], 0x50
	v_mul_u32_u24_e32 v7, 0xe39, v0
	v_mov_b32_e32 v8, 18
	v_mul_lo_u16_sdwa v5, v7, v8 dst_sel:DWORD dst_unused:UNUSED_PAD src0_sel:WORD_1 src1_sel:DWORD
	s_waitcnt lgkmcnt(0)
	s_cmp_eq_u32 s7, 1
	s_cselect_b64 s[0:1], -1, 0
	s_cmp_lg_u32 s7, 1
	s_cselect_b64 s[16:17], -1, 0
	s_ashr_i32 s7, s6, 31
	s_lshl_b64 s[10:11], s[6:7], 3
	s_add_u32 s2, s2, s10
	s_addc_u32 s3, s3, s11
	s_add_u32 s7, s2, 8
	s_addc_u32 s15, s3, 0
	s_add_u32 s10, s8, s10
	s_addc_u32 s11, s9, s11
	s_cmp_eq_u64 s[8:9], 0
	s_cselect_b32 s9, s15, s11
	s_cselect_b32 s8, s7, s10
	s_load_dwordx2 s[18:19], s[8:9], 0x0
	s_load_dwordx2 s[20:21], s[2:3], 0x0
	v_sub_u16_e32 v13, v0, v5
	v_lshlrev_b32_e32 v12, 3, v0
	s_waitcnt lgkmcnt(0)
	v_mov_b32_e32 v5, s18
	v_mov_b32_e32 v6, s19
	v_cmp_ge_i64_e32 vcc, s[20:21], v[5:6]
	v_mov_b32_e32 v6, 0
	v_mov_b32_e32 v5, 0
	s_cbranch_vccnz .LBB97_10
; %bb.6:
	v_mov_b32_e32 v5, 15
	s_load_dwordx4 s[8:11], s[4:5], 0x30
	s_load_dwordx2 s[2:3], s[4:5], 0x40
	s_sub_u32 s4, s18, s14
	v_mul_lo_u16_sdwa v5, v7, v5 dst_sel:DWORD dst_unused:UNUSED_PAD src0_sel:WORD_1 src1_sel:DWORD
	s_subb_u32 s5, s19, 0
	v_mul_lo_u16_sdwa v5, v5, v8 dst_sel:DWORD dst_unused:UNUSED_PAD src0_sel:BYTE_1 src1_sel:DWORD
	v_sub_u16_sdwa v5, v7, v5 dst_sel:DWORD dst_unused:UNUSED_PAD src0_sel:WORD_1 src1_sel:DWORD
	s_sub_u32 s18, s20, s14
	v_and_b32_e32 v5, 0xff, v5
	s_subb_u32 s19, s21, 0
	v_cndmask_b32_e64 v7, v13, v5, s[0:1]
	s_mul_i32 s0, s19, 0xa20
	s_mul_hi_u32 s1, s18, 0xa20
	s_add_i32 s1, s1, s0
	s_mul_i32 s0, s18, 0xa20
	s_waitcnt lgkmcnt(0)
	s_add_u32 s0, s10, s0
	s_addc_u32 s1, s11, s1
	v_mov_b32_e32 v5, s1
	v_add_co_u32_e32 v8, vcc, s0, v12
	s_movk_i32 s0, 0x195
	v_addc_co_u32_e32 v9, vcc, 0, v5, vcc
	v_mul_u32_u24_sdwa v5, v0, s0 dst_sel:DWORD dst_unused:UNUSED_PAD src0_sel:WORD_0 src1_sel:DWORD
	v_lshrrev_b32_e32 v14, 17, v5
	v_mov_b32_e32 v5, s21
	v_add_co_u32_e32 v10, vcc, s20, v14
	v_addc_co_u32_e32 v5, vcc, 0, v5, vcc
	v_subrev_co_u32_e32 v10, vcc, s14, v10
	v_subbrev_co_u32_e32 v11, vcc, 0, v5, vcc
	v_lshlrev_b64 v[10:11], 2, v[10:11]
	v_mov_b32_e32 v6, 0
	v_mov_b32_e32 v5, s9
	v_add_co_u32_e32 v10, vcc, s8, v10
	v_addc_co_u32_e32 v11, vcc, v5, v11, vcc
	v_mov_b32_e32 v5, v6
	s_branch .LBB97_8
.LBB97_7:                               ;   in Loop: Header=BB97_8 Depth=1
	s_or_b64 exec, exec, s[0:1]
	s_add_u32 s18, s18, 1
	v_mov_b32_e32 v16, s5
	s_addc_u32 s19, s19, 0
	v_mov_b32_e32 v15, s4
	v_cmp_lt_i64_e32 vcc, s[18:19], v[15:16]
	v_add_co_u32_e64 v10, s[0:1], 4, v10
	v_addc_co_u32_e64 v11, s[0:1], 0, v11, s[0:1]
	s_cbranch_vccz .LBB97_10
.LBB97_8:                               ; =>This Inner Loop Header: Depth=1
	v_mov_b32_e32 v16, s19
	v_add_co_u32_e32 v15, vcc, s18, v14
	v_addc_co_u32_e32 v16, vcc, 0, v16, vcc
	v_cmp_gt_i64_e32 vcc, s[4:5], v[15:16]
	s_and_saveexec_b64 s[0:1], vcc
	s_cbranch_execz .LBB97_7
; %bb.9:                                ;   in Loop: Header=BB97_8 Depth=1
	global_load_dword v15, v[10:11], off
	v_mov_b32_e32 v19, s3
	global_load_dwordx2 v[17:18], v[8:9], off
	s_waitcnt vmcnt(1)
	v_subrev_u32_e32 v15, s14, v15
	v_mad_u64_u32 v[15:16], s[8:9], v15, 18, v[7:8]
	v_ashrrev_i32_e32 v16, 31, v15
	v_lshlrev_b64 v[15:16], 3, v[15:16]
	v_add_co_u32_e32 v15, vcc, s2, v15
	v_addc_co_u32_e32 v16, vcc, v19, v16, vcc
	global_load_dwordx2 v[15:16], v[15:16], off
	v_add_co_u32_e32 v8, vcc, 0xa20, v8
	v_addc_co_u32_e32 v9, vcc, 0, v9, vcc
	s_waitcnt vmcnt(0)
	v_fmac_f32_e32 v5, v17, v15
	v_fmac_f32_e32 v6, v18, v15
	v_fma_f32 v5, -v18, v16, v5
	v_fmac_f32_e32 v6, v17, v16
	s_branch .LBB97_7
.LBB97_10:
	s_and_b64 vcc, exec, s[16:17]
	ds_write_b64 v12, v[5:6]
	s_waitcnt lgkmcnt(0)
	s_barrier
	s_cbranch_vccz .LBB97_22
; %bb.11:
	v_cmp_gt_u16_e32 vcc, 2, v13
	s_and_saveexec_b64 s[0:1], vcc
	s_cbranch_execz .LBB97_13
; %bb.12:
	ds_read2_b64 v[7:10], v12 offset1:16
	s_waitcnt lgkmcnt(0)
	v_add_f32_e32 v7, v9, v7
	v_add_f32_e32 v8, v10, v8
	ds_write_b64 v12, v[7:8]
.LBB97_13:
	s_or_b64 exec, exec, s[0:1]
	v_cmp_gt_u16_e64 s[0:1], 8, v13
	s_waitcnt lgkmcnt(0)
	s_barrier
	s_and_saveexec_b64 s[2:3], s[0:1]
	s_cbranch_execz .LBB97_15
; %bb.14:
	ds_read2_b64 v[7:10], v12 offset1:8
	s_waitcnt lgkmcnt(0)
	v_add_f32_e32 v7, v9, v7
	v_add_f32_e32 v8, v10, v8
	ds_write_b64 v12, v[7:8]
.LBB97_15:
	s_or_b64 exec, exec, s[2:3]
	v_cmp_gt_u16_e64 s[0:1], 4, v13
	s_waitcnt lgkmcnt(0)
	s_barrier
	s_and_saveexec_b64 s[2:3], s[0:1]
	s_cbranch_execz .LBB97_17
; %bb.16:
	ds_read2_b64 v[7:10], v12 offset1:4
	s_waitcnt lgkmcnt(0)
	v_add_f32_e32 v7, v9, v7
	v_add_f32_e32 v8, v10, v8
	ds_write_b64 v12, v[7:8]
.LBB97_17:
	s_or_b64 exec, exec, s[2:3]
	s_waitcnt lgkmcnt(0)
	s_barrier
	s_and_saveexec_b64 s[0:1], vcc
	s_cbranch_execz .LBB97_19
; %bb.18:
	ds_read2_b64 v[7:10], v12 offset1:2
	s_waitcnt lgkmcnt(0)
	v_add_f32_e32 v7, v9, v7
	v_add_f32_e32 v8, v10, v8
	ds_write_b64 v12, v[7:8]
.LBB97_19:
	s_or_b64 exec, exec, s[0:1]
	v_cmp_gt_u32_e32 vcc, 18, v0
	v_mov_b32_e32 v8, v6
	v_mov_b32_e32 v7, v5
	s_waitcnt lgkmcnt(0)
	s_barrier
	s_and_saveexec_b64 s[0:1], vcc
	s_cbranch_execz .LBB97_21
; %bb.20:
	s_movk_i32 s2, 0x88
	v_mad_u32_u24 v7, v0, s2, v12
	ds_read2_b64 v[7:10], v7 offset1:1
	s_waitcnt lgkmcnt(0)
	v_add_f32_e32 v7, v9, v7
	v_add_f32_e32 v8, v10, v8
.LBB97_21:
	s_or_b64 exec, exec, s[0:1]
	s_branch .LBB97_34
.LBB97_22:
                                        ; implicit-def: $vgpr8
                                        ; implicit-def: $vgpr7
	s_cbranch_execz .LBB97_34
; %bb.23:
	v_cmp_gt_u32_e32 vcc, 36, v0
	s_and_saveexec_b64 s[0:1], vcc
	s_cbranch_execz .LBB97_25
; %bb.24:
	ds_read_b64 v[7:8], v12 offset:2304
	ds_read_b64 v[9:10], v12
	s_waitcnt lgkmcnt(0)
	v_add_f32_e32 v7, v7, v9
	v_add_f32_e32 v8, v8, v10
	ds_write_b64 v12, v[7:8]
.LBB97_25:
	s_or_b64 exec, exec, s[0:1]
	s_movk_i32 s0, 0x90
	v_cmp_gt_u32_e64 s[0:1], s0, v0
	s_waitcnt lgkmcnt(0)
	s_barrier
	s_and_saveexec_b64 s[2:3], s[0:1]
	s_cbranch_execz .LBB97_27
; %bb.26:
	ds_read2_b64 v[7:10], v12 offset1:144
	s_waitcnt lgkmcnt(0)
	v_add_f32_e32 v7, v9, v7
	v_add_f32_e32 v8, v10, v8
	ds_write_b64 v12, v[7:8]
.LBB97_27:
	s_or_b64 exec, exec, s[2:3]
	s_movk_i32 s0, 0x48
	v_cmp_gt_u32_e64 s[0:1], s0, v0
	s_waitcnt lgkmcnt(0)
	s_barrier
	s_and_saveexec_b64 s[2:3], s[0:1]
	s_cbranch_execz .LBB97_29
; %bb.28:
	ds_read2_b64 v[7:10], v12 offset1:72
	s_waitcnt lgkmcnt(0)
	v_add_f32_e32 v7, v9, v7
	v_add_f32_e32 v8, v10, v8
	ds_write_b64 v12, v[7:8]
.LBB97_29:
	s_or_b64 exec, exec, s[2:3]
	s_waitcnt lgkmcnt(0)
	s_barrier
	s_and_saveexec_b64 s[0:1], vcc
	s_cbranch_execz .LBB97_31
; %bb.30:
	ds_read2_b64 v[7:10], v12 offset1:36
	s_waitcnt lgkmcnt(0)
	v_add_f32_e32 v7, v9, v7
	v_add_f32_e32 v8, v10, v8
	ds_write_b64 v12, v[7:8]
.LBB97_31:
	s_or_b64 exec, exec, s[0:1]
	v_cmp_gt_u32_e32 vcc, 18, v0
	s_waitcnt lgkmcnt(0)
	s_and_saveexec_b64 s[0:1], vcc
	s_cbranch_execz .LBB97_33
; %bb.32:
	ds_read2_b64 v[5:8], v12 offset1:18
	s_waitcnt lgkmcnt(0)
	v_add_f32_e32 v5, v7, v5
	v_add_f32_e32 v6, v8, v6
.LBB97_33:
	s_or_b64 exec, exec, s[0:1]
	v_mov_b32_e32 v8, v6
	v_mov_b32_e32 v7, v5
.LBB97_34:
	v_cmp_gt_u32_e32 vcc, 18, v0
	s_and_b64 exec, exec, vcc
	s_cbranch_execz .LBB97_39
; %bb.35:
	v_cmp_eq_f32_e32 vcc, 0, v1
	v_cmp_eq_f32_e64 s[0:1], 0, v2
	v_mul_f32_e64 v5, v8, -v4
	v_mul_f32_e32 v6, v3, v8
	s_and_b64 s[0:1], vcc, s[0:1]
	v_fmac_f32_e32 v5, v3, v7
	v_fmac_f32_e32 v6, v4, v7
	s_and_saveexec_b64 s[2:3], s[0:1]
	s_xor_b64 s[0:1], exec, s[2:3]
	s_cbranch_execz .LBB97_37
; %bb.36:
	v_mad_u64_u32 v[0:1], s[2:3], s6, 18, v[0:1]
	v_mov_b32_e32 v1, 0
	v_mov_b32_e32 v2, s13
	v_lshlrev_b64 v[0:1], 3, v[0:1]
	v_add_co_u32_e32 v0, vcc, s12, v0
	v_addc_co_u32_e32 v1, vcc, v2, v1, vcc
	global_store_dwordx2 v[0:1], v[5:6], off
                                        ; implicit-def: $vgpr0
                                        ; implicit-def: $vgpr1_vgpr2
                                        ; implicit-def: $vgpr5
.LBB97_37:
	s_andn2_saveexec_b64 s[0:1], s[0:1]
	s_cbranch_execz .LBB97_39
; %bb.38:
	v_mad_u64_u32 v[3:4], s[0:1], s6, 18, v[0:1]
	v_mov_b32_e32 v4, 0
	v_mov_b32_e32 v0, s13
	v_lshlrev_b64 v[3:4], 3, v[3:4]
	v_add_co_u32_e32 v3, vcc, s12, v3
	v_addc_co_u32_e32 v4, vcc, v0, v4, vcc
	global_load_dwordx2 v[7:8], v[3:4], off
	s_waitcnt vmcnt(0)
	v_fmac_f32_e32 v5, v1, v7
	v_fmac_f32_e32 v6, v2, v7
	v_fma_f32 v5, -v2, v8, v5
	v_fmac_f32_e32 v6, v1, v8
	global_store_dwordx2 v[3:4], v[5:6], off
.LBB97_39:
	s_endpgm
	.section	.rodata,"a",@progbits
	.p2align	6, 0x0
	.amdhsa_kernel _ZN9rocsparseL20bsrxmvn_17_32_kernelILj18E21rocsparse_complex_numIfEliS2_S2_S2_EEvT2_20rocsparse_direction_NS_24const_host_device_scalarIT0_EES3_PKS3_PKT1_SC_S9_PKT3_PKT4_S7_PT5_21rocsparse_index_base_b
		.amdhsa_group_segment_fixed_size 2592
		.amdhsa_private_segment_fixed_size 0
		.amdhsa_kernarg_size 96
		.amdhsa_user_sgpr_count 6
		.amdhsa_user_sgpr_private_segment_buffer 1
		.amdhsa_user_sgpr_dispatch_ptr 0
		.amdhsa_user_sgpr_queue_ptr 0
		.amdhsa_user_sgpr_kernarg_segment_ptr 1
		.amdhsa_user_sgpr_dispatch_id 0
		.amdhsa_user_sgpr_flat_scratch_init 0
		.amdhsa_user_sgpr_private_segment_size 0
		.amdhsa_uses_dynamic_stack 0
		.amdhsa_system_sgpr_private_segment_wavefront_offset 0
		.amdhsa_system_sgpr_workgroup_id_x 1
		.amdhsa_system_sgpr_workgroup_id_y 0
		.amdhsa_system_sgpr_workgroup_id_z 0
		.amdhsa_system_sgpr_workgroup_info 0
		.amdhsa_system_vgpr_workitem_id 0
		.amdhsa_next_free_vgpr 25
		.amdhsa_next_free_sgpr 61
		.amdhsa_reserve_vcc 1
		.amdhsa_reserve_flat_scratch 0
		.amdhsa_float_round_mode_32 0
		.amdhsa_float_round_mode_16_64 0
		.amdhsa_float_denorm_mode_32 3
		.amdhsa_float_denorm_mode_16_64 3
		.amdhsa_dx10_clamp 1
		.amdhsa_ieee_mode 1
		.amdhsa_fp16_overflow 0
		.amdhsa_exception_fp_ieee_invalid_op 0
		.amdhsa_exception_fp_denorm_src 0
		.amdhsa_exception_fp_ieee_div_zero 0
		.amdhsa_exception_fp_ieee_overflow 0
		.amdhsa_exception_fp_ieee_underflow 0
		.amdhsa_exception_fp_ieee_inexact 0
		.amdhsa_exception_int_div_zero 0
	.end_amdhsa_kernel
	.section	.text._ZN9rocsparseL20bsrxmvn_17_32_kernelILj18E21rocsparse_complex_numIfEliS2_S2_S2_EEvT2_20rocsparse_direction_NS_24const_host_device_scalarIT0_EES3_PKS3_PKT1_SC_S9_PKT3_PKT4_S7_PT5_21rocsparse_index_base_b,"axG",@progbits,_ZN9rocsparseL20bsrxmvn_17_32_kernelILj18E21rocsparse_complex_numIfEliS2_S2_S2_EEvT2_20rocsparse_direction_NS_24const_host_device_scalarIT0_EES3_PKS3_PKT1_SC_S9_PKT3_PKT4_S7_PT5_21rocsparse_index_base_b,comdat
.Lfunc_end97:
	.size	_ZN9rocsparseL20bsrxmvn_17_32_kernelILj18E21rocsparse_complex_numIfEliS2_S2_S2_EEvT2_20rocsparse_direction_NS_24const_host_device_scalarIT0_EES3_PKS3_PKT1_SC_S9_PKT3_PKT4_S7_PT5_21rocsparse_index_base_b, .Lfunc_end97-_ZN9rocsparseL20bsrxmvn_17_32_kernelILj18E21rocsparse_complex_numIfEliS2_S2_S2_EEvT2_20rocsparse_direction_NS_24const_host_device_scalarIT0_EES3_PKS3_PKT1_SC_S9_PKT3_PKT4_S7_PT5_21rocsparse_index_base_b
                                        ; -- End function
	.set _ZN9rocsparseL20bsrxmvn_17_32_kernelILj18E21rocsparse_complex_numIfEliS2_S2_S2_EEvT2_20rocsparse_direction_NS_24const_host_device_scalarIT0_EES3_PKS3_PKT1_SC_S9_PKT3_PKT4_S7_PT5_21rocsparse_index_base_b.num_vgpr, 20
	.set _ZN9rocsparseL20bsrxmvn_17_32_kernelILj18E21rocsparse_complex_numIfEliS2_S2_S2_EEvT2_20rocsparse_direction_NS_24const_host_device_scalarIT0_EES3_PKS3_PKT1_SC_S9_PKT3_PKT4_S7_PT5_21rocsparse_index_base_b.num_agpr, 0
	.set _ZN9rocsparseL20bsrxmvn_17_32_kernelILj18E21rocsparse_complex_numIfEliS2_S2_S2_EEvT2_20rocsparse_direction_NS_24const_host_device_scalarIT0_EES3_PKS3_PKT1_SC_S9_PKT3_PKT4_S7_PT5_21rocsparse_index_base_b.numbered_sgpr, 22
	.set _ZN9rocsparseL20bsrxmvn_17_32_kernelILj18E21rocsparse_complex_numIfEliS2_S2_S2_EEvT2_20rocsparse_direction_NS_24const_host_device_scalarIT0_EES3_PKS3_PKT1_SC_S9_PKT3_PKT4_S7_PT5_21rocsparse_index_base_b.num_named_barrier, 0
	.set _ZN9rocsparseL20bsrxmvn_17_32_kernelILj18E21rocsparse_complex_numIfEliS2_S2_S2_EEvT2_20rocsparse_direction_NS_24const_host_device_scalarIT0_EES3_PKS3_PKT1_SC_S9_PKT3_PKT4_S7_PT5_21rocsparse_index_base_b.private_seg_size, 0
	.set _ZN9rocsparseL20bsrxmvn_17_32_kernelILj18E21rocsparse_complex_numIfEliS2_S2_S2_EEvT2_20rocsparse_direction_NS_24const_host_device_scalarIT0_EES3_PKS3_PKT1_SC_S9_PKT3_PKT4_S7_PT5_21rocsparse_index_base_b.uses_vcc, 1
	.set _ZN9rocsparseL20bsrxmvn_17_32_kernelILj18E21rocsparse_complex_numIfEliS2_S2_S2_EEvT2_20rocsparse_direction_NS_24const_host_device_scalarIT0_EES3_PKS3_PKT1_SC_S9_PKT3_PKT4_S7_PT5_21rocsparse_index_base_b.uses_flat_scratch, 0
	.set _ZN9rocsparseL20bsrxmvn_17_32_kernelILj18E21rocsparse_complex_numIfEliS2_S2_S2_EEvT2_20rocsparse_direction_NS_24const_host_device_scalarIT0_EES3_PKS3_PKT1_SC_S9_PKT3_PKT4_S7_PT5_21rocsparse_index_base_b.has_dyn_sized_stack, 0
	.set _ZN9rocsparseL20bsrxmvn_17_32_kernelILj18E21rocsparse_complex_numIfEliS2_S2_S2_EEvT2_20rocsparse_direction_NS_24const_host_device_scalarIT0_EES3_PKS3_PKT1_SC_S9_PKT3_PKT4_S7_PT5_21rocsparse_index_base_b.has_recursion, 0
	.set _ZN9rocsparseL20bsrxmvn_17_32_kernelILj18E21rocsparse_complex_numIfEliS2_S2_S2_EEvT2_20rocsparse_direction_NS_24const_host_device_scalarIT0_EES3_PKS3_PKT1_SC_S9_PKT3_PKT4_S7_PT5_21rocsparse_index_base_b.has_indirect_call, 0
	.section	.AMDGPU.csdata,"",@progbits
; Kernel info:
; codeLenInByte = 1492
; TotalNumSgprs: 26
; NumVgprs: 20
; ScratchSize: 0
; MemoryBound: 0
; FloatMode: 240
; IeeeMode: 1
; LDSByteSize: 2592 bytes/workgroup (compile time only)
; SGPRBlocks: 8
; VGPRBlocks: 6
; NumSGPRsForWavesPerEU: 65
; NumVGPRsForWavesPerEU: 25
; Occupancy: 9
; WaveLimiterHint : 1
; COMPUTE_PGM_RSRC2:SCRATCH_EN: 0
; COMPUTE_PGM_RSRC2:USER_SGPR: 6
; COMPUTE_PGM_RSRC2:TRAP_HANDLER: 0
; COMPUTE_PGM_RSRC2:TGID_X_EN: 1
; COMPUTE_PGM_RSRC2:TGID_Y_EN: 0
; COMPUTE_PGM_RSRC2:TGID_Z_EN: 0
; COMPUTE_PGM_RSRC2:TIDIG_COMP_CNT: 0
	.section	.text._ZN9rocsparseL20bsrxmvn_17_32_kernelILj19E21rocsparse_complex_numIfEliS2_S2_S2_EEvT2_20rocsparse_direction_NS_24const_host_device_scalarIT0_EES3_PKS3_PKT1_SC_S9_PKT3_PKT4_S7_PT5_21rocsparse_index_base_b,"axG",@progbits,_ZN9rocsparseL20bsrxmvn_17_32_kernelILj19E21rocsparse_complex_numIfEliS2_S2_S2_EEvT2_20rocsparse_direction_NS_24const_host_device_scalarIT0_EES3_PKS3_PKT1_SC_S9_PKT3_PKT4_S7_PT5_21rocsparse_index_base_b,comdat
	.globl	_ZN9rocsparseL20bsrxmvn_17_32_kernelILj19E21rocsparse_complex_numIfEliS2_S2_S2_EEvT2_20rocsparse_direction_NS_24const_host_device_scalarIT0_EES3_PKS3_PKT1_SC_S9_PKT3_PKT4_S7_PT5_21rocsparse_index_base_b ; -- Begin function _ZN9rocsparseL20bsrxmvn_17_32_kernelILj19E21rocsparse_complex_numIfEliS2_S2_S2_EEvT2_20rocsparse_direction_NS_24const_host_device_scalarIT0_EES3_PKS3_PKT1_SC_S9_PKT3_PKT4_S7_PT5_21rocsparse_index_base_b
	.p2align	8
	.type	_ZN9rocsparseL20bsrxmvn_17_32_kernelILj19E21rocsparse_complex_numIfEliS2_S2_S2_EEvT2_20rocsparse_direction_NS_24const_host_device_scalarIT0_EES3_PKS3_PKT1_SC_S9_PKT3_PKT4_S7_PT5_21rocsparse_index_base_b,@function
_ZN9rocsparseL20bsrxmvn_17_32_kernelILj19E21rocsparse_complex_numIfEliS2_S2_S2_EEvT2_20rocsparse_direction_NS_24const_host_device_scalarIT0_EES3_PKS3_PKT1_SC_S9_PKT3_PKT4_S7_PT5_21rocsparse_index_base_b: ; @_ZN9rocsparseL20bsrxmvn_17_32_kernelILj19E21rocsparse_complex_numIfEliS2_S2_S2_EEvT2_20rocsparse_direction_NS_24const_host_device_scalarIT0_EES3_PKS3_PKT1_SC_S9_PKT3_PKT4_S7_PT5_21rocsparse_index_base_b
; %bb.0:
	s_load_dwordx2 s[0:1], s[4:5], 0x8
	s_load_dwordx2 s[14:15], s[4:5], 0x58
	s_add_u32 s7, s4, 8
	s_addc_u32 s8, s5, 0
	s_add_u32 s9, s4, 0x48
	s_load_dwordx2 s[2:3], s[4:5], 0x48
	s_addc_u32 s10, s5, 0
	s_waitcnt lgkmcnt(0)
	s_bitcmp1_b32 s15, 0
	s_cselect_b32 s1, s8, s1
	s_cselect_b32 s0, s7, s0
	v_mov_b32_e32 v1, s0
	v_mov_b32_e32 v2, s1
	flat_load_dwordx2 v[3:4], v[1:2]
	s_cselect_b32 s0, s10, s3
	s_cselect_b32 s1, s9, s2
	v_mov_b32_e32 v1, s1
	v_mov_b32_e32 v2, s0
	flat_load_dwordx2 v[1:2], v[1:2]
	s_waitcnt vmcnt(0) lgkmcnt(0)
	v_cmp_eq_f32_e32 vcc, 0, v3
	v_cmp_eq_f32_e64 s[0:1], 0, v4
	s_and_b64 s[8:9], vcc, s[0:1]
	s_mov_b64 s[0:1], -1
	s_and_saveexec_b64 s[2:3], s[8:9]
; %bb.1:
	v_cmp_neq_f32_e32 vcc, 1.0, v1
	v_cmp_neq_f32_e64 s[0:1], 0, v2
	s_or_b64 s[0:1], vcc, s[0:1]
	s_orn2_b64 s[0:1], s[0:1], exec
; %bb.2:
	s_or_b64 exec, exec, s[2:3]
	s_and_saveexec_b64 s[2:3], s[0:1]
	s_cbranch_execz .LBB98_39
; %bb.3:
	s_load_dwordx4 s[0:3], s[4:5], 0x18
	s_load_dwordx2 s[8:9], s[4:5], 0x28
	s_waitcnt lgkmcnt(0)
	s_cmp_eq_u64 s[0:1], 0
	s_cbranch_scc1 .LBB98_5
; %bb.4:
	s_ashr_i32 s7, s6, 31
	s_lshl_b64 s[6:7], s[6:7], 2
	s_add_u32 s0, s0, s6
	s_addc_u32 s1, s1, s7
	s_load_dword s0, s[0:1], 0x0
	s_waitcnt lgkmcnt(0)
	s_sub_i32 s6, s0, s14
.LBB98_5:
	s_load_dword s7, s[4:5], 0x4
	s_load_dwordx2 s[12:13], s[4:5], 0x50
	v_mul_u32_u24_e32 v7, 0xd7a, v0
	v_mov_b32_e32 v8, 19
	v_mul_lo_u16_sdwa v5, v7, v8 dst_sel:DWORD dst_unused:UNUSED_PAD src0_sel:WORD_1 src1_sel:DWORD
	s_waitcnt lgkmcnt(0)
	s_cmp_eq_u32 s7, 1
	s_cselect_b64 s[0:1], -1, 0
	s_cmp_lg_u32 s7, 1
	s_cselect_b64 s[16:17], -1, 0
	s_ashr_i32 s7, s6, 31
	s_lshl_b64 s[10:11], s[6:7], 3
	s_add_u32 s2, s2, s10
	s_addc_u32 s3, s3, s11
	s_add_u32 s7, s2, 8
	s_addc_u32 s15, s3, 0
	;; [unrolled: 2-line block ×3, first 2 shown]
	s_cmp_eq_u64 s[8:9], 0
	s_cselect_b32 s9, s15, s11
	s_cselect_b32 s8, s7, s10
	s_load_dwordx2 s[18:19], s[8:9], 0x0
	s_load_dwordx2 s[20:21], s[2:3], 0x0
	v_sub_u16_e32 v15, v0, v5
	v_lshlrev_b32_e32 v14, 3, v0
	s_waitcnt lgkmcnt(0)
	v_mov_b32_e32 v5, s18
	v_mov_b32_e32 v6, s19
	v_cmp_ge_i64_e32 vcc, s[20:21], v[5:6]
	v_mov_b32_e32 v6, 0
	v_mov_b32_e32 v5, 0
	s_cbranch_vccnz .LBB98_10
; %bb.6:
	v_mov_b32_e32 v5, 14
	s_load_dwordx4 s[8:11], s[4:5], 0x30
	s_load_dwordx2 s[2:3], s[4:5], 0x40
	s_sub_u32 s4, s18, s14
	v_mul_lo_u16_sdwa v5, v7, v5 dst_sel:DWORD dst_unused:UNUSED_PAD src0_sel:WORD_1 src1_sel:DWORD
	s_subb_u32 s5, s19, 0
	v_mul_lo_u16_sdwa v5, v5, v8 dst_sel:DWORD dst_unused:UNUSED_PAD src0_sel:BYTE_1 src1_sel:DWORD
	v_sub_u16_sdwa v5, v7, v5 dst_sel:DWORD dst_unused:UNUSED_PAD src0_sel:WORD_1 src1_sel:DWORD
	s_sub_u32 s18, s20, s14
	v_and_b32_e32 v5, 0xff, v5
	s_subb_u32 s19, s21, 0
	v_cndmask_b32_e64 v7, v15, v5, s[0:1]
	s_mul_i32 s0, s19, 0xb48
	s_mul_hi_u32 s1, s18, 0xb48
	s_add_i32 s1, s1, s0
	s_mul_i32 s0, s18, 0xb48
	s_waitcnt lgkmcnt(0)
	s_add_u32 s0, s10, s0
	s_addc_u32 s1, s11, s1
	v_mov_b32_e32 v5, s1
	v_add_co_u32_e32 v8, vcc, s0, v14
	s_movk_i32 s0, 0xb6
	v_addc_co_u32_e32 v9, vcc, 0, v5, vcc
	v_mul_u32_u24_sdwa v5, v0, s0 dst_sel:DWORD dst_unused:UNUSED_PAD src0_sel:WORD_0 src1_sel:DWORD
	v_lshrrev_b32_e32 v16, 16, v5
	v_mov_b32_e32 v5, s21
	v_add_co_u32_e32 v10, vcc, s20, v16
	v_addc_co_u32_e32 v5, vcc, 0, v5, vcc
	v_subrev_co_u32_e32 v10, vcc, s14, v10
	v_subbrev_co_u32_e32 v11, vcc, 0, v5, vcc
	v_lshlrev_b64 v[10:11], 2, v[10:11]
	v_mov_b32_e32 v6, 0
	v_mov_b32_e32 v5, s9
	v_add_co_u32_e32 v10, vcc, s8, v10
	v_mov_b32_e32 v13, s5
	v_addc_co_u32_e32 v11, vcc, v5, v11, vcc
	v_mov_b32_e32 v12, s4
	v_mov_b32_e32 v5, v6
	s_branch .LBB98_8
.LBB98_7:                               ;   in Loop: Header=BB98_8 Depth=1
	s_or_b64 exec, exec, s[0:1]
	s_add_u32 s18, s18, 1
	s_addc_u32 s19, s19, 0
	v_cmp_lt_i64_e32 vcc, s[18:19], v[12:13]
	v_add_co_u32_e64 v10, s[0:1], 4, v10
	v_addc_co_u32_e64 v11, s[0:1], 0, v11, s[0:1]
	s_cbranch_vccz .LBB98_10
.LBB98_8:                               ; =>This Inner Loop Header: Depth=1
	v_mov_b32_e32 v18, s19
	v_add_co_u32_e32 v17, vcc, s18, v16
	v_addc_co_u32_e32 v18, vcc, 0, v18, vcc
	v_cmp_gt_i64_e32 vcc, s[4:5], v[17:18]
	s_and_saveexec_b64 s[0:1], vcc
	s_cbranch_execz .LBB98_7
; %bb.9:                                ;   in Loop: Header=BB98_8 Depth=1
	global_load_dword v17, v[10:11], off
	v_mov_b32_e32 v21, s3
	global_load_dwordx2 v[19:20], v[8:9], off
	s_waitcnt vmcnt(1)
	v_subrev_u32_e32 v17, s14, v17
	v_mad_u64_u32 v[17:18], s[8:9], v17, 19, v[7:8]
	v_ashrrev_i32_e32 v18, 31, v17
	v_lshlrev_b64 v[17:18], 3, v[17:18]
	v_add_co_u32_e32 v17, vcc, s2, v17
	v_addc_co_u32_e32 v18, vcc, v21, v18, vcc
	global_load_dwordx2 v[17:18], v[17:18], off
	v_add_co_u32_e32 v8, vcc, 0xb48, v8
	v_addc_co_u32_e32 v9, vcc, 0, v9, vcc
	s_waitcnt vmcnt(0)
	v_fmac_f32_e32 v5, v19, v17
	v_fmac_f32_e32 v6, v20, v17
	v_fma_f32 v5, -v20, v18, v5
	v_fmac_f32_e32 v6, v19, v18
	s_branch .LBB98_7
.LBB98_10:
	s_and_b64 vcc, exec, s[16:17]
	ds_write_b64 v14, v[5:6]
	s_waitcnt lgkmcnt(0)
	s_barrier
	s_cbranch_vccz .LBB98_22
; %bb.11:
	v_cmp_gt_u16_e32 vcc, 3, v15
	s_and_saveexec_b64 s[0:1], vcc
	s_cbranch_execz .LBB98_13
; %bb.12:
	ds_read2_b64 v[7:10], v14 offset1:16
	s_waitcnt lgkmcnt(0)
	v_add_f32_e32 v7, v9, v7
	v_add_f32_e32 v8, v10, v8
	ds_write_b64 v14, v[7:8]
.LBB98_13:
	s_or_b64 exec, exec, s[0:1]
	v_cmp_gt_u16_e32 vcc, 8, v15
	s_waitcnt lgkmcnt(0)
	s_barrier
	s_and_saveexec_b64 s[0:1], vcc
	s_cbranch_execz .LBB98_15
; %bb.14:
	ds_read2_b64 v[7:10], v14 offset1:8
	s_waitcnt lgkmcnt(0)
	v_add_f32_e32 v7, v9, v7
	v_add_f32_e32 v8, v10, v8
	ds_write_b64 v14, v[7:8]
.LBB98_15:
	s_or_b64 exec, exec, s[0:1]
	v_cmp_gt_u16_e32 vcc, 4, v15
	s_waitcnt lgkmcnt(0)
	s_barrier
	;; [unrolled: 13-line block ×3, first 2 shown]
	s_and_saveexec_b64 s[0:1], vcc
	s_cbranch_execz .LBB98_19
; %bb.18:
	ds_read2_b64 v[7:10], v14 offset1:2
	s_waitcnt lgkmcnt(0)
	v_add_f32_e32 v7, v9, v7
	v_add_f32_e32 v8, v10, v8
	ds_write_b64 v14, v[7:8]
.LBB98_19:
	s_or_b64 exec, exec, s[0:1]
	v_cmp_gt_u32_e32 vcc, 19, v0
	v_mov_b32_e32 v8, v6
	v_mov_b32_e32 v7, v5
	s_waitcnt lgkmcnt(0)
	s_barrier
	s_and_saveexec_b64 s[0:1], vcc
	s_cbranch_execz .LBB98_21
; %bb.20:
	s_movk_i32 s2, 0x90
	v_mad_u32_u24 v7, v0, s2, v14
	ds_read2_b64 v[7:10], v7 offset1:1
	s_waitcnt lgkmcnt(0)
	v_add_f32_e32 v7, v9, v7
	v_add_f32_e32 v8, v10, v8
.LBB98_21:
	s_or_b64 exec, exec, s[0:1]
	s_branch .LBB98_34
.LBB98_22:
                                        ; implicit-def: $vgpr8
                                        ; implicit-def: $vgpr7
	s_cbranch_execz .LBB98_34
; %bb.23:
	v_cmp_gt_u32_e32 vcc, 57, v0
	s_and_saveexec_b64 s[0:1], vcc
	s_cbranch_execz .LBB98_25
; %bb.24:
	ds_read_b64 v[7:8], v14 offset:2432
	ds_read_b64 v[9:10], v14
	s_waitcnt lgkmcnt(0)
	v_add_f32_e32 v7, v7, v9
	v_add_f32_e32 v8, v8, v10
	ds_write_b64 v14, v[7:8]
.LBB98_25:
	s_or_b64 exec, exec, s[0:1]
	s_movk_i32 s0, 0x98
	v_cmp_gt_u32_e32 vcc, s0, v0
	s_waitcnt lgkmcnt(0)
	s_barrier
	s_and_saveexec_b64 s[0:1], vcc
	s_cbranch_execz .LBB98_27
; %bb.26:
	ds_read2_b64 v[7:10], v14 offset1:152
	s_waitcnt lgkmcnt(0)
	v_add_f32_e32 v7, v9, v7
	v_add_f32_e32 v8, v10, v8
	ds_write_b64 v14, v[7:8]
.LBB98_27:
	s_or_b64 exec, exec, s[0:1]
	s_movk_i32 s0, 0x4c
	v_cmp_gt_u32_e32 vcc, s0, v0
	s_waitcnt lgkmcnt(0)
	s_barrier
	s_and_saveexec_b64 s[0:1], vcc
	s_cbranch_execz .LBB98_29
; %bb.28:
	ds_read2_b64 v[7:10], v14 offset1:76
	s_waitcnt lgkmcnt(0)
	v_add_f32_e32 v7, v9, v7
	v_add_f32_e32 v8, v10, v8
	ds_write_b64 v14, v[7:8]
.LBB98_29:
	s_or_b64 exec, exec, s[0:1]
	v_cmp_gt_u32_e32 vcc, 38, v0
	s_waitcnt lgkmcnt(0)
	s_barrier
	s_and_saveexec_b64 s[0:1], vcc
	s_cbranch_execz .LBB98_31
; %bb.30:
	ds_read2_b64 v[7:10], v14 offset1:38
	s_waitcnt lgkmcnt(0)
	v_add_f32_e32 v7, v9, v7
	v_add_f32_e32 v8, v10, v8
	ds_write_b64 v14, v[7:8]
.LBB98_31:
	s_or_b64 exec, exec, s[0:1]
	v_cmp_gt_u32_e32 vcc, 19, v0
	s_waitcnt lgkmcnt(0)
	s_and_saveexec_b64 s[0:1], vcc
	s_cbranch_execz .LBB98_33
; %bb.32:
	ds_read2_b64 v[5:8], v14 offset1:19
	s_waitcnt lgkmcnt(0)
	v_add_f32_e32 v5, v7, v5
	v_add_f32_e32 v6, v8, v6
.LBB98_33:
	s_or_b64 exec, exec, s[0:1]
	v_mov_b32_e32 v8, v6
	v_mov_b32_e32 v7, v5
.LBB98_34:
	v_cmp_gt_u32_e32 vcc, 19, v0
	s_and_b64 exec, exec, vcc
	s_cbranch_execz .LBB98_39
; %bb.35:
	v_cmp_eq_f32_e32 vcc, 0, v1
	v_cmp_eq_f32_e64 s[0:1], 0, v2
	v_mul_f32_e64 v5, v8, -v4
	v_mul_f32_e32 v6, v3, v8
	s_and_b64 s[0:1], vcc, s[0:1]
	v_fmac_f32_e32 v5, v3, v7
	v_fmac_f32_e32 v6, v4, v7
	s_and_saveexec_b64 s[2:3], s[0:1]
	s_xor_b64 s[0:1], exec, s[2:3]
	s_cbranch_execz .LBB98_37
; %bb.36:
	v_mad_u64_u32 v[0:1], s[2:3], s6, 19, v[0:1]
	v_mov_b32_e32 v1, 0
	v_mov_b32_e32 v2, s13
	v_lshlrev_b64 v[0:1], 3, v[0:1]
	v_add_co_u32_e32 v0, vcc, s12, v0
	v_addc_co_u32_e32 v1, vcc, v2, v1, vcc
	global_store_dwordx2 v[0:1], v[5:6], off
                                        ; implicit-def: $vgpr0
                                        ; implicit-def: $vgpr1_vgpr2
                                        ; implicit-def: $vgpr5
.LBB98_37:
	s_andn2_saveexec_b64 s[0:1], s[0:1]
	s_cbranch_execz .LBB98_39
; %bb.38:
	v_mad_u64_u32 v[3:4], s[0:1], s6, 19, v[0:1]
	v_mov_b32_e32 v4, 0
	v_mov_b32_e32 v0, s13
	v_lshlrev_b64 v[3:4], 3, v[3:4]
	v_add_co_u32_e32 v3, vcc, s12, v3
	v_addc_co_u32_e32 v4, vcc, v0, v4, vcc
	global_load_dwordx2 v[7:8], v[3:4], off
	s_waitcnt vmcnt(0)
	v_fmac_f32_e32 v5, v1, v7
	v_fmac_f32_e32 v6, v2, v7
	v_fma_f32 v5, -v2, v8, v5
	v_fmac_f32_e32 v6, v1, v8
	global_store_dwordx2 v[3:4], v[5:6], off
.LBB98_39:
	s_endpgm
	.section	.rodata,"a",@progbits
	.p2align	6, 0x0
	.amdhsa_kernel _ZN9rocsparseL20bsrxmvn_17_32_kernelILj19E21rocsparse_complex_numIfEliS2_S2_S2_EEvT2_20rocsparse_direction_NS_24const_host_device_scalarIT0_EES3_PKS3_PKT1_SC_S9_PKT3_PKT4_S7_PT5_21rocsparse_index_base_b
		.amdhsa_group_segment_fixed_size 2888
		.amdhsa_private_segment_fixed_size 0
		.amdhsa_kernarg_size 96
		.amdhsa_user_sgpr_count 6
		.amdhsa_user_sgpr_private_segment_buffer 1
		.amdhsa_user_sgpr_dispatch_ptr 0
		.amdhsa_user_sgpr_queue_ptr 0
		.amdhsa_user_sgpr_kernarg_segment_ptr 1
		.amdhsa_user_sgpr_dispatch_id 0
		.amdhsa_user_sgpr_flat_scratch_init 0
		.amdhsa_user_sgpr_private_segment_size 0
		.amdhsa_uses_dynamic_stack 0
		.amdhsa_system_sgpr_private_segment_wavefront_offset 0
		.amdhsa_system_sgpr_workgroup_id_x 1
		.amdhsa_system_sgpr_workgroup_id_y 0
		.amdhsa_system_sgpr_workgroup_id_z 0
		.amdhsa_system_sgpr_workgroup_info 0
		.amdhsa_system_vgpr_workitem_id 0
		.amdhsa_next_free_vgpr 25
		.amdhsa_next_free_sgpr 61
		.amdhsa_reserve_vcc 1
		.amdhsa_reserve_flat_scratch 0
		.amdhsa_float_round_mode_32 0
		.amdhsa_float_round_mode_16_64 0
		.amdhsa_float_denorm_mode_32 3
		.amdhsa_float_denorm_mode_16_64 3
		.amdhsa_dx10_clamp 1
		.amdhsa_ieee_mode 1
		.amdhsa_fp16_overflow 0
		.amdhsa_exception_fp_ieee_invalid_op 0
		.amdhsa_exception_fp_denorm_src 0
		.amdhsa_exception_fp_ieee_div_zero 0
		.amdhsa_exception_fp_ieee_overflow 0
		.amdhsa_exception_fp_ieee_underflow 0
		.amdhsa_exception_fp_ieee_inexact 0
		.amdhsa_exception_int_div_zero 0
	.end_amdhsa_kernel
	.section	.text._ZN9rocsparseL20bsrxmvn_17_32_kernelILj19E21rocsparse_complex_numIfEliS2_S2_S2_EEvT2_20rocsparse_direction_NS_24const_host_device_scalarIT0_EES3_PKS3_PKT1_SC_S9_PKT3_PKT4_S7_PT5_21rocsparse_index_base_b,"axG",@progbits,_ZN9rocsparseL20bsrxmvn_17_32_kernelILj19E21rocsparse_complex_numIfEliS2_S2_S2_EEvT2_20rocsparse_direction_NS_24const_host_device_scalarIT0_EES3_PKS3_PKT1_SC_S9_PKT3_PKT4_S7_PT5_21rocsparse_index_base_b,comdat
.Lfunc_end98:
	.size	_ZN9rocsparseL20bsrxmvn_17_32_kernelILj19E21rocsparse_complex_numIfEliS2_S2_S2_EEvT2_20rocsparse_direction_NS_24const_host_device_scalarIT0_EES3_PKS3_PKT1_SC_S9_PKT3_PKT4_S7_PT5_21rocsparse_index_base_b, .Lfunc_end98-_ZN9rocsparseL20bsrxmvn_17_32_kernelILj19E21rocsparse_complex_numIfEliS2_S2_S2_EEvT2_20rocsparse_direction_NS_24const_host_device_scalarIT0_EES3_PKS3_PKT1_SC_S9_PKT3_PKT4_S7_PT5_21rocsparse_index_base_b
                                        ; -- End function
	.set _ZN9rocsparseL20bsrxmvn_17_32_kernelILj19E21rocsparse_complex_numIfEliS2_S2_S2_EEvT2_20rocsparse_direction_NS_24const_host_device_scalarIT0_EES3_PKS3_PKT1_SC_S9_PKT3_PKT4_S7_PT5_21rocsparse_index_base_b.num_vgpr, 22
	.set _ZN9rocsparseL20bsrxmvn_17_32_kernelILj19E21rocsparse_complex_numIfEliS2_S2_S2_EEvT2_20rocsparse_direction_NS_24const_host_device_scalarIT0_EES3_PKS3_PKT1_SC_S9_PKT3_PKT4_S7_PT5_21rocsparse_index_base_b.num_agpr, 0
	.set _ZN9rocsparseL20bsrxmvn_17_32_kernelILj19E21rocsparse_complex_numIfEliS2_S2_S2_EEvT2_20rocsparse_direction_NS_24const_host_device_scalarIT0_EES3_PKS3_PKT1_SC_S9_PKT3_PKT4_S7_PT5_21rocsparse_index_base_b.numbered_sgpr, 22
	.set _ZN9rocsparseL20bsrxmvn_17_32_kernelILj19E21rocsparse_complex_numIfEliS2_S2_S2_EEvT2_20rocsparse_direction_NS_24const_host_device_scalarIT0_EES3_PKS3_PKT1_SC_S9_PKT3_PKT4_S7_PT5_21rocsparse_index_base_b.num_named_barrier, 0
	.set _ZN9rocsparseL20bsrxmvn_17_32_kernelILj19E21rocsparse_complex_numIfEliS2_S2_S2_EEvT2_20rocsparse_direction_NS_24const_host_device_scalarIT0_EES3_PKS3_PKT1_SC_S9_PKT3_PKT4_S7_PT5_21rocsparse_index_base_b.private_seg_size, 0
	.set _ZN9rocsparseL20bsrxmvn_17_32_kernelILj19E21rocsparse_complex_numIfEliS2_S2_S2_EEvT2_20rocsparse_direction_NS_24const_host_device_scalarIT0_EES3_PKS3_PKT1_SC_S9_PKT3_PKT4_S7_PT5_21rocsparse_index_base_b.uses_vcc, 1
	.set _ZN9rocsparseL20bsrxmvn_17_32_kernelILj19E21rocsparse_complex_numIfEliS2_S2_S2_EEvT2_20rocsparse_direction_NS_24const_host_device_scalarIT0_EES3_PKS3_PKT1_SC_S9_PKT3_PKT4_S7_PT5_21rocsparse_index_base_b.uses_flat_scratch, 0
	.set _ZN9rocsparseL20bsrxmvn_17_32_kernelILj19E21rocsparse_complex_numIfEliS2_S2_S2_EEvT2_20rocsparse_direction_NS_24const_host_device_scalarIT0_EES3_PKS3_PKT1_SC_S9_PKT3_PKT4_S7_PT5_21rocsparse_index_base_b.has_dyn_sized_stack, 0
	.set _ZN9rocsparseL20bsrxmvn_17_32_kernelILj19E21rocsparse_complex_numIfEliS2_S2_S2_EEvT2_20rocsparse_direction_NS_24const_host_device_scalarIT0_EES3_PKS3_PKT1_SC_S9_PKT3_PKT4_S7_PT5_21rocsparse_index_base_b.has_recursion, 0
	.set _ZN9rocsparseL20bsrxmvn_17_32_kernelILj19E21rocsparse_complex_numIfEliS2_S2_S2_EEvT2_20rocsparse_direction_NS_24const_host_device_scalarIT0_EES3_PKS3_PKT1_SC_S9_PKT3_PKT4_S7_PT5_21rocsparse_index_base_b.has_indirect_call, 0
	.section	.AMDGPU.csdata,"",@progbits
; Kernel info:
; codeLenInByte = 1484
; TotalNumSgprs: 26
; NumVgprs: 22
; ScratchSize: 0
; MemoryBound: 0
; FloatMode: 240
; IeeeMode: 1
; LDSByteSize: 2888 bytes/workgroup (compile time only)
; SGPRBlocks: 8
; VGPRBlocks: 6
; NumSGPRsForWavesPerEU: 65
; NumVGPRsForWavesPerEU: 25
; Occupancy: 9
; WaveLimiterHint : 1
; COMPUTE_PGM_RSRC2:SCRATCH_EN: 0
; COMPUTE_PGM_RSRC2:USER_SGPR: 6
; COMPUTE_PGM_RSRC2:TRAP_HANDLER: 0
; COMPUTE_PGM_RSRC2:TGID_X_EN: 1
; COMPUTE_PGM_RSRC2:TGID_Y_EN: 0
; COMPUTE_PGM_RSRC2:TGID_Z_EN: 0
; COMPUTE_PGM_RSRC2:TIDIG_COMP_CNT: 0
	.section	.text._ZN9rocsparseL20bsrxmvn_17_32_kernelILj20E21rocsparse_complex_numIfEliS2_S2_S2_EEvT2_20rocsparse_direction_NS_24const_host_device_scalarIT0_EES3_PKS3_PKT1_SC_S9_PKT3_PKT4_S7_PT5_21rocsparse_index_base_b,"axG",@progbits,_ZN9rocsparseL20bsrxmvn_17_32_kernelILj20E21rocsparse_complex_numIfEliS2_S2_S2_EEvT2_20rocsparse_direction_NS_24const_host_device_scalarIT0_EES3_PKS3_PKT1_SC_S9_PKT3_PKT4_S7_PT5_21rocsparse_index_base_b,comdat
	.globl	_ZN9rocsparseL20bsrxmvn_17_32_kernelILj20E21rocsparse_complex_numIfEliS2_S2_S2_EEvT2_20rocsparse_direction_NS_24const_host_device_scalarIT0_EES3_PKS3_PKT1_SC_S9_PKT3_PKT4_S7_PT5_21rocsparse_index_base_b ; -- Begin function _ZN9rocsparseL20bsrxmvn_17_32_kernelILj20E21rocsparse_complex_numIfEliS2_S2_S2_EEvT2_20rocsparse_direction_NS_24const_host_device_scalarIT0_EES3_PKS3_PKT1_SC_S9_PKT3_PKT4_S7_PT5_21rocsparse_index_base_b
	.p2align	8
	.type	_ZN9rocsparseL20bsrxmvn_17_32_kernelILj20E21rocsparse_complex_numIfEliS2_S2_S2_EEvT2_20rocsparse_direction_NS_24const_host_device_scalarIT0_EES3_PKS3_PKT1_SC_S9_PKT3_PKT4_S7_PT5_21rocsparse_index_base_b,@function
_ZN9rocsparseL20bsrxmvn_17_32_kernelILj20E21rocsparse_complex_numIfEliS2_S2_S2_EEvT2_20rocsparse_direction_NS_24const_host_device_scalarIT0_EES3_PKS3_PKT1_SC_S9_PKT3_PKT4_S7_PT5_21rocsparse_index_base_b: ; @_ZN9rocsparseL20bsrxmvn_17_32_kernelILj20E21rocsparse_complex_numIfEliS2_S2_S2_EEvT2_20rocsparse_direction_NS_24const_host_device_scalarIT0_EES3_PKS3_PKT1_SC_S9_PKT3_PKT4_S7_PT5_21rocsparse_index_base_b
; %bb.0:
	s_load_dwordx2 s[0:1], s[4:5], 0x8
	s_load_dwordx2 s[14:15], s[4:5], 0x58
	s_add_u32 s7, s4, 8
	s_addc_u32 s8, s5, 0
	s_add_u32 s9, s4, 0x48
	s_load_dwordx2 s[2:3], s[4:5], 0x48
	s_addc_u32 s10, s5, 0
	s_waitcnt lgkmcnt(0)
	s_bitcmp1_b32 s15, 0
	s_cselect_b32 s1, s8, s1
	s_cselect_b32 s0, s7, s0
	v_mov_b32_e32 v1, s0
	v_mov_b32_e32 v2, s1
	flat_load_dwordx2 v[3:4], v[1:2]
	s_cselect_b32 s0, s10, s3
	s_cselect_b32 s1, s9, s2
	v_mov_b32_e32 v1, s1
	v_mov_b32_e32 v2, s0
	flat_load_dwordx2 v[1:2], v[1:2]
	s_waitcnt vmcnt(0) lgkmcnt(0)
	v_cmp_eq_f32_e32 vcc, 0, v3
	v_cmp_eq_f32_e64 s[0:1], 0, v4
	s_and_b64 s[8:9], vcc, s[0:1]
	s_mov_b64 s[0:1], -1
	s_and_saveexec_b64 s[2:3], s[8:9]
; %bb.1:
	v_cmp_neq_f32_e32 vcc, 1.0, v1
	v_cmp_neq_f32_e64 s[0:1], 0, v2
	s_or_b64 s[0:1], vcc, s[0:1]
	s_orn2_b64 s[0:1], s[0:1], exec
; %bb.2:
	s_or_b64 exec, exec, s[2:3]
	s_and_saveexec_b64 s[2:3], s[0:1]
	s_cbranch_execz .LBB99_39
; %bb.3:
	s_load_dwordx4 s[0:3], s[4:5], 0x18
	s_load_dwordx2 s[8:9], s[4:5], 0x28
	s_waitcnt lgkmcnt(0)
	s_cmp_eq_u64 s[0:1], 0
	s_cbranch_scc1 .LBB99_5
; %bb.4:
	s_ashr_i32 s7, s6, 31
	s_lshl_b64 s[6:7], s[6:7], 2
	s_add_u32 s0, s0, s6
	s_addc_u32 s1, s1, s7
	s_load_dword s0, s[0:1], 0x0
	s_waitcnt lgkmcnt(0)
	s_sub_i32 s6, s0, s14
.LBB99_5:
	s_load_dword s7, s[4:5], 0x4
	s_load_dwordx2 s[12:13], s[4:5], 0x50
	v_mul_u32_u24_e32 v7, 0xccd, v0
	v_mov_b32_e32 v8, 20
	v_mul_lo_u16_sdwa v5, v7, v8 dst_sel:DWORD dst_unused:UNUSED_PAD src0_sel:WORD_1 src1_sel:DWORD
	s_waitcnt lgkmcnt(0)
	s_cmp_eq_u32 s7, 1
	s_cselect_b64 s[0:1], -1, 0
	s_cmp_lg_u32 s7, 1
	s_cselect_b64 s[16:17], -1, 0
	s_ashr_i32 s7, s6, 31
	s_lshl_b64 s[10:11], s[6:7], 3
	s_add_u32 s2, s2, s10
	s_addc_u32 s3, s3, s11
	s_add_u32 s7, s2, 8
	s_addc_u32 s15, s3, 0
	;; [unrolled: 2-line block ×3, first 2 shown]
	s_cmp_eq_u64 s[8:9], 0
	s_cselect_b32 s9, s15, s11
	s_cselect_b32 s8, s7, s10
	s_load_dwordx2 s[18:19], s[8:9], 0x0
	s_load_dwordx2 s[20:21], s[2:3], 0x0
	v_sub_u16_e32 v15, v0, v5
	v_lshlrev_b32_e32 v14, 3, v0
	s_waitcnt lgkmcnt(0)
	v_mov_b32_e32 v5, s18
	v_mov_b32_e32 v6, s19
	v_cmp_ge_i64_e32 vcc, s[20:21], v[5:6]
	v_mov_b32_e32 v6, 0
	v_mov_b32_e32 v5, 0
	s_cbranch_vccnz .LBB99_10
; %bb.6:
	v_mov_b32_e32 v5, 13
	s_load_dwordx4 s[8:11], s[4:5], 0x30
	s_load_dwordx2 s[2:3], s[4:5], 0x40
	s_sub_u32 s4, s18, s14
	v_mul_lo_u16_sdwa v5, v7, v5 dst_sel:DWORD dst_unused:UNUSED_PAD src0_sel:WORD_1 src1_sel:DWORD
	s_subb_u32 s5, s19, 0
	v_mul_lo_u16_sdwa v5, v5, v8 dst_sel:DWORD dst_unused:UNUSED_PAD src0_sel:BYTE_1 src1_sel:DWORD
	v_sub_u16_sdwa v5, v7, v5 dst_sel:DWORD dst_unused:UNUSED_PAD src0_sel:WORD_1 src1_sel:DWORD
	s_sub_u32 s18, s20, s14
	v_and_b32_e32 v5, 0xff, v5
	s_subb_u32 s19, s21, 0
	v_cndmask_b32_e64 v7, v15, v5, s[0:1]
	s_mul_i32 s0, s19, 0xc80
	s_mul_hi_u32 s1, s18, 0xc80
	s_add_i32 s1, s1, s0
	s_mul_i32 s0, s18, 0xc80
	s_waitcnt lgkmcnt(0)
	s_add_u32 s0, s10, s0
	s_addc_u32 s1, s11, s1
	v_mov_b32_e32 v5, s1
	v_add_co_u32_e32 v8, vcc, s0, v14
	s_movk_i32 s0, 0xa4
	v_addc_co_u32_e32 v9, vcc, 0, v5, vcc
	v_mul_u32_u24_sdwa v5, v0, s0 dst_sel:DWORD dst_unused:UNUSED_PAD src0_sel:WORD_0 src1_sel:DWORD
	v_lshrrev_b32_e32 v16, 16, v5
	v_mov_b32_e32 v5, s21
	v_add_co_u32_e32 v10, vcc, s20, v16
	v_addc_co_u32_e32 v5, vcc, 0, v5, vcc
	v_subrev_co_u32_e32 v10, vcc, s14, v10
	v_subbrev_co_u32_e32 v11, vcc, 0, v5, vcc
	v_lshlrev_b64 v[10:11], 2, v[10:11]
	v_mov_b32_e32 v6, 0
	v_mov_b32_e32 v5, s9
	v_add_co_u32_e32 v10, vcc, s8, v10
	v_mov_b32_e32 v13, s5
	v_addc_co_u32_e32 v11, vcc, v5, v11, vcc
	v_mov_b32_e32 v12, s4
	v_mov_b32_e32 v5, v6
	s_branch .LBB99_8
.LBB99_7:                               ;   in Loop: Header=BB99_8 Depth=1
	s_or_b64 exec, exec, s[0:1]
	s_add_u32 s18, s18, 1
	s_addc_u32 s19, s19, 0
	v_cmp_lt_i64_e32 vcc, s[18:19], v[12:13]
	v_add_co_u32_e64 v10, s[0:1], 4, v10
	v_addc_co_u32_e64 v11, s[0:1], 0, v11, s[0:1]
	s_cbranch_vccz .LBB99_10
.LBB99_8:                               ; =>This Inner Loop Header: Depth=1
	v_mov_b32_e32 v18, s19
	v_add_co_u32_e32 v17, vcc, s18, v16
	v_addc_co_u32_e32 v18, vcc, 0, v18, vcc
	v_cmp_gt_i64_e32 vcc, s[4:5], v[17:18]
	s_and_saveexec_b64 s[0:1], vcc
	s_cbranch_execz .LBB99_7
; %bb.9:                                ;   in Loop: Header=BB99_8 Depth=1
	global_load_dword v17, v[10:11], off
	v_mov_b32_e32 v21, s3
	global_load_dwordx2 v[19:20], v[8:9], off
	s_waitcnt vmcnt(1)
	v_subrev_u32_e32 v17, s14, v17
	v_mad_u64_u32 v[17:18], s[8:9], v17, 20, v[7:8]
	v_ashrrev_i32_e32 v18, 31, v17
	v_lshlrev_b64 v[17:18], 3, v[17:18]
	v_add_co_u32_e32 v17, vcc, s2, v17
	v_addc_co_u32_e32 v18, vcc, v21, v18, vcc
	global_load_dwordx2 v[17:18], v[17:18], off
	v_add_co_u32_e32 v8, vcc, 0xc80, v8
	v_addc_co_u32_e32 v9, vcc, 0, v9, vcc
	s_waitcnt vmcnt(0)
	v_fmac_f32_e32 v5, v19, v17
	v_fmac_f32_e32 v6, v20, v17
	v_fma_f32 v5, -v20, v18, v5
	v_fmac_f32_e32 v6, v19, v18
	s_branch .LBB99_7
.LBB99_10:
	s_and_b64 vcc, exec, s[16:17]
	ds_write_b64 v14, v[5:6]
	s_waitcnt lgkmcnt(0)
	s_barrier
	s_cbranch_vccz .LBB99_22
; %bb.11:
	v_cmp_gt_u16_e32 vcc, 4, v15
	s_and_saveexec_b64 s[0:1], vcc
	s_cbranch_execz .LBB99_13
; %bb.12:
	ds_read2_b64 v[7:10], v14 offset1:16
	s_waitcnt lgkmcnt(0)
	v_add_f32_e32 v7, v9, v7
	v_add_f32_e32 v8, v10, v8
	ds_write_b64 v14, v[7:8]
.LBB99_13:
	s_or_b64 exec, exec, s[0:1]
	v_cmp_gt_u16_e64 s[0:1], 8, v15
	s_waitcnt lgkmcnt(0)
	s_barrier
	s_and_saveexec_b64 s[2:3], s[0:1]
	s_cbranch_execz .LBB99_15
; %bb.14:
	ds_read2_b64 v[7:10], v14 offset1:8
	s_waitcnt lgkmcnt(0)
	v_add_f32_e32 v7, v9, v7
	v_add_f32_e32 v8, v10, v8
	ds_write_b64 v14, v[7:8]
.LBB99_15:
	s_or_b64 exec, exec, s[2:3]
	s_waitcnt lgkmcnt(0)
	s_barrier
	s_and_saveexec_b64 s[0:1], vcc
	s_cbranch_execz .LBB99_17
; %bb.16:
	ds_read2_b64 v[7:10], v14 offset1:4
	s_waitcnt lgkmcnt(0)
	v_add_f32_e32 v7, v9, v7
	v_add_f32_e32 v8, v10, v8
	ds_write_b64 v14, v[7:8]
.LBB99_17:
	s_or_b64 exec, exec, s[0:1]
	v_cmp_gt_u16_e32 vcc, 2, v15
	s_waitcnt lgkmcnt(0)
	s_barrier
	s_and_saveexec_b64 s[0:1], vcc
	s_cbranch_execz .LBB99_19
; %bb.18:
	ds_read2_b64 v[7:10], v14 offset1:2
	s_waitcnt lgkmcnt(0)
	v_add_f32_e32 v7, v9, v7
	v_add_f32_e32 v8, v10, v8
	ds_write_b64 v14, v[7:8]
.LBB99_19:
	s_or_b64 exec, exec, s[0:1]
	v_cmp_gt_u32_e32 vcc, 20, v0
	v_mov_b32_e32 v8, v6
	v_mov_b32_e32 v7, v5
	s_waitcnt lgkmcnt(0)
	s_barrier
	s_and_saveexec_b64 s[0:1], vcc
	s_cbranch_execz .LBB99_21
; %bb.20:
	s_movk_i32 s2, 0x98
	v_mad_u32_u24 v7, v0, s2, v14
	ds_read2_b64 v[7:10], v7 offset1:1
	s_waitcnt lgkmcnt(0)
	v_add_f32_e32 v7, v9, v7
	v_add_f32_e32 v8, v10, v8
.LBB99_21:
	s_or_b64 exec, exec, s[0:1]
	s_branch .LBB99_34
.LBB99_22:
                                        ; implicit-def: $vgpr8
                                        ; implicit-def: $vgpr7
	s_cbranch_execz .LBB99_34
; %bb.23:
	s_movk_i32 s0, 0x50
	v_cmp_gt_u32_e32 vcc, s0, v0
	s_and_saveexec_b64 s[0:1], vcc
	s_cbranch_execz .LBB99_25
; %bb.24:
	ds_read2st64_b64 v[7:10], v14 offset1:5
	s_waitcnt lgkmcnt(0)
	v_add_f32_e32 v7, v9, v7
	v_add_f32_e32 v8, v10, v8
	ds_write_b64 v14, v[7:8]
.LBB99_25:
	s_or_b64 exec, exec, s[0:1]
	s_movk_i32 s0, 0xa0
	v_cmp_gt_u32_e64 s[0:1], s0, v0
	s_waitcnt lgkmcnt(0)
	s_barrier
	s_and_saveexec_b64 s[2:3], s[0:1]
	s_cbranch_execz .LBB99_27
; %bb.26:
	ds_read2_b64 v[7:10], v14 offset1:160
	s_waitcnt lgkmcnt(0)
	v_add_f32_e32 v7, v9, v7
	v_add_f32_e32 v8, v10, v8
	ds_write_b64 v14, v[7:8]
.LBB99_27:
	s_or_b64 exec, exec, s[2:3]
	s_waitcnt lgkmcnt(0)
	s_barrier
	s_and_saveexec_b64 s[0:1], vcc
	s_cbranch_execz .LBB99_29
; %bb.28:
	ds_read2_b64 v[7:10], v14 offset1:80
	s_waitcnt lgkmcnt(0)
	v_add_f32_e32 v7, v9, v7
	v_add_f32_e32 v8, v10, v8
	ds_write_b64 v14, v[7:8]
.LBB99_29:
	s_or_b64 exec, exec, s[0:1]
	v_cmp_gt_u32_e32 vcc, 40, v0
	s_waitcnt lgkmcnt(0)
	s_barrier
	s_and_saveexec_b64 s[0:1], vcc
	s_cbranch_execz .LBB99_31
; %bb.30:
	ds_read2_b64 v[7:10], v14 offset1:40
	s_waitcnt lgkmcnt(0)
	v_add_f32_e32 v7, v9, v7
	v_add_f32_e32 v8, v10, v8
	ds_write_b64 v14, v[7:8]
.LBB99_31:
	s_or_b64 exec, exec, s[0:1]
	v_cmp_gt_u32_e32 vcc, 20, v0
	s_waitcnt lgkmcnt(0)
	s_and_saveexec_b64 s[0:1], vcc
	s_cbranch_execz .LBB99_33
; %bb.32:
	ds_read2_b64 v[5:8], v14 offset1:20
	s_waitcnt lgkmcnt(0)
	v_add_f32_e32 v5, v7, v5
	v_add_f32_e32 v6, v8, v6
.LBB99_33:
	s_or_b64 exec, exec, s[0:1]
	v_mov_b32_e32 v8, v6
	v_mov_b32_e32 v7, v5
.LBB99_34:
	v_cmp_gt_u32_e32 vcc, 20, v0
	s_and_b64 exec, exec, vcc
	s_cbranch_execz .LBB99_39
; %bb.35:
	v_cmp_eq_f32_e32 vcc, 0, v1
	v_cmp_eq_f32_e64 s[0:1], 0, v2
	v_mul_f32_e64 v5, v8, -v4
	v_mul_f32_e32 v6, v3, v8
	s_and_b64 s[0:1], vcc, s[0:1]
	v_fmac_f32_e32 v5, v3, v7
	v_fmac_f32_e32 v6, v4, v7
	s_and_saveexec_b64 s[2:3], s[0:1]
	s_xor_b64 s[0:1], exec, s[2:3]
	s_cbranch_execz .LBB99_37
; %bb.36:
	v_mad_u64_u32 v[0:1], s[2:3], s6, 20, v[0:1]
	v_mov_b32_e32 v1, 0
	v_mov_b32_e32 v2, s13
	v_lshlrev_b64 v[0:1], 3, v[0:1]
	v_add_co_u32_e32 v0, vcc, s12, v0
	v_addc_co_u32_e32 v1, vcc, v2, v1, vcc
	global_store_dwordx2 v[0:1], v[5:6], off
                                        ; implicit-def: $vgpr0
                                        ; implicit-def: $vgpr1_vgpr2
                                        ; implicit-def: $vgpr5
.LBB99_37:
	s_andn2_saveexec_b64 s[0:1], s[0:1]
	s_cbranch_execz .LBB99_39
; %bb.38:
	v_mad_u64_u32 v[3:4], s[0:1], s6, 20, v[0:1]
	v_mov_b32_e32 v4, 0
	v_mov_b32_e32 v0, s13
	v_lshlrev_b64 v[3:4], 3, v[3:4]
	v_add_co_u32_e32 v3, vcc, s12, v3
	v_addc_co_u32_e32 v4, vcc, v0, v4, vcc
	global_load_dwordx2 v[7:8], v[3:4], off
	s_waitcnt vmcnt(0)
	v_fmac_f32_e32 v5, v1, v7
	v_fmac_f32_e32 v6, v2, v7
	v_fma_f32 v5, -v2, v8, v5
	v_fmac_f32_e32 v6, v1, v8
	global_store_dwordx2 v[3:4], v[5:6], off
.LBB99_39:
	s_endpgm
	.section	.rodata,"a",@progbits
	.p2align	6, 0x0
	.amdhsa_kernel _ZN9rocsparseL20bsrxmvn_17_32_kernelILj20E21rocsparse_complex_numIfEliS2_S2_S2_EEvT2_20rocsparse_direction_NS_24const_host_device_scalarIT0_EES3_PKS3_PKT1_SC_S9_PKT3_PKT4_S7_PT5_21rocsparse_index_base_b
		.amdhsa_group_segment_fixed_size 3200
		.amdhsa_private_segment_fixed_size 0
		.amdhsa_kernarg_size 96
		.amdhsa_user_sgpr_count 6
		.amdhsa_user_sgpr_private_segment_buffer 1
		.amdhsa_user_sgpr_dispatch_ptr 0
		.amdhsa_user_sgpr_queue_ptr 0
		.amdhsa_user_sgpr_kernarg_segment_ptr 1
		.amdhsa_user_sgpr_dispatch_id 0
		.amdhsa_user_sgpr_flat_scratch_init 0
		.amdhsa_user_sgpr_private_segment_size 0
		.amdhsa_uses_dynamic_stack 0
		.amdhsa_system_sgpr_private_segment_wavefront_offset 0
		.amdhsa_system_sgpr_workgroup_id_x 1
		.amdhsa_system_sgpr_workgroup_id_y 0
		.amdhsa_system_sgpr_workgroup_id_z 0
		.amdhsa_system_sgpr_workgroup_info 0
		.amdhsa_system_vgpr_workitem_id 0
		.amdhsa_next_free_vgpr 25
		.amdhsa_next_free_sgpr 61
		.amdhsa_reserve_vcc 1
		.amdhsa_reserve_flat_scratch 0
		.amdhsa_float_round_mode_32 0
		.amdhsa_float_round_mode_16_64 0
		.amdhsa_float_denorm_mode_32 3
		.amdhsa_float_denorm_mode_16_64 3
		.amdhsa_dx10_clamp 1
		.amdhsa_ieee_mode 1
		.amdhsa_fp16_overflow 0
		.amdhsa_exception_fp_ieee_invalid_op 0
		.amdhsa_exception_fp_denorm_src 0
		.amdhsa_exception_fp_ieee_div_zero 0
		.amdhsa_exception_fp_ieee_overflow 0
		.amdhsa_exception_fp_ieee_underflow 0
		.amdhsa_exception_fp_ieee_inexact 0
		.amdhsa_exception_int_div_zero 0
	.end_amdhsa_kernel
	.section	.text._ZN9rocsparseL20bsrxmvn_17_32_kernelILj20E21rocsparse_complex_numIfEliS2_S2_S2_EEvT2_20rocsparse_direction_NS_24const_host_device_scalarIT0_EES3_PKS3_PKT1_SC_S9_PKT3_PKT4_S7_PT5_21rocsparse_index_base_b,"axG",@progbits,_ZN9rocsparseL20bsrxmvn_17_32_kernelILj20E21rocsparse_complex_numIfEliS2_S2_S2_EEvT2_20rocsparse_direction_NS_24const_host_device_scalarIT0_EES3_PKS3_PKT1_SC_S9_PKT3_PKT4_S7_PT5_21rocsparse_index_base_b,comdat
.Lfunc_end99:
	.size	_ZN9rocsparseL20bsrxmvn_17_32_kernelILj20E21rocsparse_complex_numIfEliS2_S2_S2_EEvT2_20rocsparse_direction_NS_24const_host_device_scalarIT0_EES3_PKS3_PKT1_SC_S9_PKT3_PKT4_S7_PT5_21rocsparse_index_base_b, .Lfunc_end99-_ZN9rocsparseL20bsrxmvn_17_32_kernelILj20E21rocsparse_complex_numIfEliS2_S2_S2_EEvT2_20rocsparse_direction_NS_24const_host_device_scalarIT0_EES3_PKS3_PKT1_SC_S9_PKT3_PKT4_S7_PT5_21rocsparse_index_base_b
                                        ; -- End function
	.set _ZN9rocsparseL20bsrxmvn_17_32_kernelILj20E21rocsparse_complex_numIfEliS2_S2_S2_EEvT2_20rocsparse_direction_NS_24const_host_device_scalarIT0_EES3_PKS3_PKT1_SC_S9_PKT3_PKT4_S7_PT5_21rocsparse_index_base_b.num_vgpr, 22
	.set _ZN9rocsparseL20bsrxmvn_17_32_kernelILj20E21rocsparse_complex_numIfEliS2_S2_S2_EEvT2_20rocsparse_direction_NS_24const_host_device_scalarIT0_EES3_PKS3_PKT1_SC_S9_PKT3_PKT4_S7_PT5_21rocsparse_index_base_b.num_agpr, 0
	.set _ZN9rocsparseL20bsrxmvn_17_32_kernelILj20E21rocsparse_complex_numIfEliS2_S2_S2_EEvT2_20rocsparse_direction_NS_24const_host_device_scalarIT0_EES3_PKS3_PKT1_SC_S9_PKT3_PKT4_S7_PT5_21rocsparse_index_base_b.numbered_sgpr, 22
	.set _ZN9rocsparseL20bsrxmvn_17_32_kernelILj20E21rocsparse_complex_numIfEliS2_S2_S2_EEvT2_20rocsparse_direction_NS_24const_host_device_scalarIT0_EES3_PKS3_PKT1_SC_S9_PKT3_PKT4_S7_PT5_21rocsparse_index_base_b.num_named_barrier, 0
	.set _ZN9rocsparseL20bsrxmvn_17_32_kernelILj20E21rocsparse_complex_numIfEliS2_S2_S2_EEvT2_20rocsparse_direction_NS_24const_host_device_scalarIT0_EES3_PKS3_PKT1_SC_S9_PKT3_PKT4_S7_PT5_21rocsparse_index_base_b.private_seg_size, 0
	.set _ZN9rocsparseL20bsrxmvn_17_32_kernelILj20E21rocsparse_complex_numIfEliS2_S2_S2_EEvT2_20rocsparse_direction_NS_24const_host_device_scalarIT0_EES3_PKS3_PKT1_SC_S9_PKT3_PKT4_S7_PT5_21rocsparse_index_base_b.uses_vcc, 1
	.set _ZN9rocsparseL20bsrxmvn_17_32_kernelILj20E21rocsparse_complex_numIfEliS2_S2_S2_EEvT2_20rocsparse_direction_NS_24const_host_device_scalarIT0_EES3_PKS3_PKT1_SC_S9_PKT3_PKT4_S7_PT5_21rocsparse_index_base_b.uses_flat_scratch, 0
	.set _ZN9rocsparseL20bsrxmvn_17_32_kernelILj20E21rocsparse_complex_numIfEliS2_S2_S2_EEvT2_20rocsparse_direction_NS_24const_host_device_scalarIT0_EES3_PKS3_PKT1_SC_S9_PKT3_PKT4_S7_PT5_21rocsparse_index_base_b.has_dyn_sized_stack, 0
	.set _ZN9rocsparseL20bsrxmvn_17_32_kernelILj20E21rocsparse_complex_numIfEliS2_S2_S2_EEvT2_20rocsparse_direction_NS_24const_host_device_scalarIT0_EES3_PKS3_PKT1_SC_S9_PKT3_PKT4_S7_PT5_21rocsparse_index_base_b.has_recursion, 0
	.set _ZN9rocsparseL20bsrxmvn_17_32_kernelILj20E21rocsparse_complex_numIfEliS2_S2_S2_EEvT2_20rocsparse_direction_NS_24const_host_device_scalarIT0_EES3_PKS3_PKT1_SC_S9_PKT3_PKT4_S7_PT5_21rocsparse_index_base_b.has_indirect_call, 0
	.section	.AMDGPU.csdata,"",@progbits
; Kernel info:
; codeLenInByte = 1476
; TotalNumSgprs: 26
; NumVgprs: 22
; ScratchSize: 0
; MemoryBound: 0
; FloatMode: 240
; IeeeMode: 1
; LDSByteSize: 3200 bytes/workgroup (compile time only)
; SGPRBlocks: 8
; VGPRBlocks: 6
; NumSGPRsForWavesPerEU: 65
; NumVGPRsForWavesPerEU: 25
; Occupancy: 9
; WaveLimiterHint : 1
; COMPUTE_PGM_RSRC2:SCRATCH_EN: 0
; COMPUTE_PGM_RSRC2:USER_SGPR: 6
; COMPUTE_PGM_RSRC2:TRAP_HANDLER: 0
; COMPUTE_PGM_RSRC2:TGID_X_EN: 1
; COMPUTE_PGM_RSRC2:TGID_Y_EN: 0
; COMPUTE_PGM_RSRC2:TGID_Z_EN: 0
; COMPUTE_PGM_RSRC2:TIDIG_COMP_CNT: 0
	.section	.text._ZN9rocsparseL20bsrxmvn_17_32_kernelILj21E21rocsparse_complex_numIfEliS2_S2_S2_EEvT2_20rocsparse_direction_NS_24const_host_device_scalarIT0_EES3_PKS3_PKT1_SC_S9_PKT3_PKT4_S7_PT5_21rocsparse_index_base_b,"axG",@progbits,_ZN9rocsparseL20bsrxmvn_17_32_kernelILj21E21rocsparse_complex_numIfEliS2_S2_S2_EEvT2_20rocsparse_direction_NS_24const_host_device_scalarIT0_EES3_PKS3_PKT1_SC_S9_PKT3_PKT4_S7_PT5_21rocsparse_index_base_b,comdat
	.globl	_ZN9rocsparseL20bsrxmvn_17_32_kernelILj21E21rocsparse_complex_numIfEliS2_S2_S2_EEvT2_20rocsparse_direction_NS_24const_host_device_scalarIT0_EES3_PKS3_PKT1_SC_S9_PKT3_PKT4_S7_PT5_21rocsparse_index_base_b ; -- Begin function _ZN9rocsparseL20bsrxmvn_17_32_kernelILj21E21rocsparse_complex_numIfEliS2_S2_S2_EEvT2_20rocsparse_direction_NS_24const_host_device_scalarIT0_EES3_PKS3_PKT1_SC_S9_PKT3_PKT4_S7_PT5_21rocsparse_index_base_b
	.p2align	8
	.type	_ZN9rocsparseL20bsrxmvn_17_32_kernelILj21E21rocsparse_complex_numIfEliS2_S2_S2_EEvT2_20rocsparse_direction_NS_24const_host_device_scalarIT0_EES3_PKS3_PKT1_SC_S9_PKT3_PKT4_S7_PT5_21rocsparse_index_base_b,@function
_ZN9rocsparseL20bsrxmvn_17_32_kernelILj21E21rocsparse_complex_numIfEliS2_S2_S2_EEvT2_20rocsparse_direction_NS_24const_host_device_scalarIT0_EES3_PKS3_PKT1_SC_S9_PKT3_PKT4_S7_PT5_21rocsparse_index_base_b: ; @_ZN9rocsparseL20bsrxmvn_17_32_kernelILj21E21rocsparse_complex_numIfEliS2_S2_S2_EEvT2_20rocsparse_direction_NS_24const_host_device_scalarIT0_EES3_PKS3_PKT1_SC_S9_PKT3_PKT4_S7_PT5_21rocsparse_index_base_b
; %bb.0:
	s_load_dwordx2 s[0:1], s[4:5], 0x8
	s_load_dwordx2 s[14:15], s[4:5], 0x58
	s_add_u32 s7, s4, 8
	s_addc_u32 s8, s5, 0
	s_add_u32 s9, s4, 0x48
	s_load_dwordx2 s[2:3], s[4:5], 0x48
	s_addc_u32 s10, s5, 0
	s_waitcnt lgkmcnt(0)
	s_bitcmp1_b32 s15, 0
	s_cselect_b32 s1, s8, s1
	s_cselect_b32 s0, s7, s0
	v_mov_b32_e32 v1, s0
	v_mov_b32_e32 v2, s1
	flat_load_dwordx2 v[3:4], v[1:2]
	s_cselect_b32 s0, s10, s3
	s_cselect_b32 s1, s9, s2
	v_mov_b32_e32 v1, s1
	v_mov_b32_e32 v2, s0
	flat_load_dwordx2 v[1:2], v[1:2]
	s_waitcnt vmcnt(0) lgkmcnt(0)
	v_cmp_eq_f32_e32 vcc, 0, v3
	v_cmp_eq_f32_e64 s[0:1], 0, v4
	s_and_b64 s[8:9], vcc, s[0:1]
	s_mov_b64 s[0:1], -1
	s_and_saveexec_b64 s[2:3], s[8:9]
; %bb.1:
	v_cmp_neq_f32_e32 vcc, 1.0, v1
	v_cmp_neq_f32_e64 s[0:1], 0, v2
	s_or_b64 s[0:1], vcc, s[0:1]
	s_orn2_b64 s[0:1], s[0:1], exec
; %bb.2:
	s_or_b64 exec, exec, s[2:3]
	s_and_saveexec_b64 s[2:3], s[0:1]
	s_cbranch_execz .LBB100_39
; %bb.3:
	s_load_dwordx4 s[0:3], s[4:5], 0x18
	s_load_dwordx2 s[8:9], s[4:5], 0x28
	s_waitcnt lgkmcnt(0)
	s_cmp_eq_u64 s[0:1], 0
	s_cbranch_scc1 .LBB100_5
; %bb.4:
	s_ashr_i32 s7, s6, 31
	s_lshl_b64 s[6:7], s[6:7], 2
	s_add_u32 s0, s0, s6
	s_addc_u32 s1, s1, s7
	s_load_dword s0, s[0:1], 0x0
	s_waitcnt lgkmcnt(0)
	s_sub_i32 s6, s0, s14
.LBB100_5:
	s_load_dword s7, s[4:5], 0x4
	s_load_dwordx2 s[12:13], s[4:5], 0x50
	v_mul_u32_u24_e32 v7, 0xc31, v0
	v_mov_b32_e32 v5, 21
	v_mul_lo_u16_sdwa v5, v7, v5 dst_sel:DWORD dst_unused:UNUSED_PAD src0_sel:WORD_1 src1_sel:DWORD
	s_waitcnt lgkmcnt(0)
	s_cmp_eq_u32 s7, 1
	s_cselect_b64 s[0:1], -1, 0
	s_cmp_lg_u32 s7, 1
	s_cselect_b64 s[16:17], -1, 0
	s_ashr_i32 s7, s6, 31
	s_lshl_b64 s[10:11], s[6:7], 3
	s_add_u32 s2, s2, s10
	s_addc_u32 s3, s3, s11
	s_add_u32 s7, s2, 8
	s_addc_u32 s15, s3, 0
	;; [unrolled: 2-line block ×3, first 2 shown]
	s_cmp_eq_u64 s[8:9], 0
	s_cselect_b32 s9, s15, s11
	s_cselect_b32 s8, s7, s10
	s_load_dwordx2 s[18:19], s[8:9], 0x0
	s_load_dwordx2 s[20:21], s[2:3], 0x0
	v_sub_u16_e32 v15, v0, v5
	v_lshlrev_b32_e32 v14, 3, v0
	s_waitcnt lgkmcnt(0)
	v_mov_b32_e32 v5, s18
	v_mov_b32_e32 v6, s19
	v_cmp_ge_i64_e32 vcc, s[20:21], v[5:6]
	v_mov_b32_e32 v6, 0
	v_mov_b32_e32 v5, 0
	s_cbranch_vccnz .LBB100_10
; %bb.6:
	v_mov_b32_e32 v5, 25
	v_mul_lo_u16_sdwa v5, v7, v5 dst_sel:DWORD dst_unused:UNUSED_PAD src0_sel:WORD_1 src1_sel:DWORD
	s_load_dwordx4 s[8:11], s[4:5], 0x30
	s_load_dwordx2 s[2:3], s[4:5], 0x40
	s_sub_u32 s4, s18, s14
	v_lshrrev_b16_e32 v5, 9, v5
	s_subb_u32 s5, s19, 0
	v_mul_lo_u16_e32 v5, 21, v5
	v_sub_u16_sdwa v5, v7, v5 dst_sel:DWORD dst_unused:UNUSED_PAD src0_sel:WORD_1 src1_sel:DWORD
	s_sub_u32 s18, s20, s14
	v_and_b32_e32 v5, 0xff, v5
	s_subb_u32 s19, s21, 0
	v_cndmask_b32_e64 v7, v15, v5, s[0:1]
	s_mul_i32 s0, s19, 0xdc8
	s_mul_hi_u32 s1, s18, 0xdc8
	s_add_i32 s1, s1, s0
	s_mul_i32 s0, s18, 0xdc8
	s_waitcnt lgkmcnt(0)
	s_add_u32 s0, s10, s0
	s_addc_u32 s1, s11, s1
	v_mov_b32_e32 v5, s1
	v_add_co_u32_e32 v8, vcc, s0, v14
	s_movk_i32 s0, 0x253
	v_addc_co_u32_e32 v9, vcc, 0, v5, vcc
	v_mul_u32_u24_sdwa v5, v0, s0 dst_sel:DWORD dst_unused:UNUSED_PAD src0_sel:WORD_0 src1_sel:DWORD
	v_lshrrev_b32_e32 v16, 18, v5
	v_mov_b32_e32 v5, s21
	v_add_co_u32_e32 v10, vcc, s20, v16
	v_addc_co_u32_e32 v5, vcc, 0, v5, vcc
	v_subrev_co_u32_e32 v10, vcc, s14, v10
	v_subbrev_co_u32_e32 v11, vcc, 0, v5, vcc
	v_lshlrev_b64 v[10:11], 2, v[10:11]
	v_mov_b32_e32 v6, 0
	v_mov_b32_e32 v5, s9
	v_add_co_u32_e32 v10, vcc, s8, v10
	v_mov_b32_e32 v13, s5
	v_addc_co_u32_e32 v11, vcc, v5, v11, vcc
	v_mov_b32_e32 v12, s4
	v_mov_b32_e32 v5, v6
	s_branch .LBB100_8
.LBB100_7:                              ;   in Loop: Header=BB100_8 Depth=1
	s_or_b64 exec, exec, s[0:1]
	s_add_u32 s18, s18, 1
	s_addc_u32 s19, s19, 0
	v_cmp_lt_i64_e32 vcc, s[18:19], v[12:13]
	v_add_co_u32_e64 v10, s[0:1], 4, v10
	v_addc_co_u32_e64 v11, s[0:1], 0, v11, s[0:1]
	s_cbranch_vccz .LBB100_10
.LBB100_8:                              ; =>This Inner Loop Header: Depth=1
	v_mov_b32_e32 v18, s19
	v_add_co_u32_e32 v17, vcc, s18, v16
	v_addc_co_u32_e32 v18, vcc, 0, v18, vcc
	v_cmp_gt_i64_e32 vcc, s[4:5], v[17:18]
	s_and_saveexec_b64 s[0:1], vcc
	s_cbranch_execz .LBB100_7
; %bb.9:                                ;   in Loop: Header=BB100_8 Depth=1
	global_load_dword v17, v[10:11], off
	v_mov_b32_e32 v21, s3
	global_load_dwordx2 v[19:20], v[8:9], off
	s_waitcnt vmcnt(1)
	v_subrev_u32_e32 v17, s14, v17
	v_mad_u64_u32 v[17:18], s[8:9], v17, 21, v[7:8]
	v_ashrrev_i32_e32 v18, 31, v17
	v_lshlrev_b64 v[17:18], 3, v[17:18]
	v_add_co_u32_e32 v17, vcc, s2, v17
	v_addc_co_u32_e32 v18, vcc, v21, v18, vcc
	global_load_dwordx2 v[17:18], v[17:18], off
	v_add_co_u32_e32 v8, vcc, 0xdc8, v8
	v_addc_co_u32_e32 v9, vcc, 0, v9, vcc
	s_waitcnt vmcnt(0)
	v_fmac_f32_e32 v5, v19, v17
	v_fmac_f32_e32 v6, v20, v17
	v_fma_f32 v5, -v20, v18, v5
	v_fmac_f32_e32 v6, v19, v18
	s_branch .LBB100_7
.LBB100_10:
	s_and_b64 vcc, exec, s[16:17]
	ds_write_b64 v14, v[5:6]
	s_waitcnt lgkmcnt(0)
	s_barrier
	s_cbranch_vccz .LBB100_22
; %bb.11:
	v_cmp_gt_u16_e32 vcc, 5, v15
	s_and_saveexec_b64 s[0:1], vcc
	s_cbranch_execz .LBB100_13
; %bb.12:
	ds_read2_b64 v[7:10], v14 offset1:16
	s_waitcnt lgkmcnt(0)
	v_add_f32_e32 v7, v9, v7
	v_add_f32_e32 v8, v10, v8
	ds_write_b64 v14, v[7:8]
.LBB100_13:
	s_or_b64 exec, exec, s[0:1]
	v_cmp_gt_u16_e32 vcc, 8, v15
	s_waitcnt lgkmcnt(0)
	s_barrier
	s_and_saveexec_b64 s[0:1], vcc
	s_cbranch_execz .LBB100_15
; %bb.14:
	ds_read2_b64 v[7:10], v14 offset1:8
	s_waitcnt lgkmcnt(0)
	v_add_f32_e32 v7, v9, v7
	v_add_f32_e32 v8, v10, v8
	ds_write_b64 v14, v[7:8]
.LBB100_15:
	s_or_b64 exec, exec, s[0:1]
	v_cmp_gt_u16_e32 vcc, 4, v15
	s_waitcnt lgkmcnt(0)
	s_barrier
	;; [unrolled: 13-line block ×3, first 2 shown]
	s_and_saveexec_b64 s[0:1], vcc
	s_cbranch_execz .LBB100_19
; %bb.18:
	ds_read2_b64 v[7:10], v14 offset1:2
	s_waitcnt lgkmcnt(0)
	v_add_f32_e32 v7, v9, v7
	v_add_f32_e32 v8, v10, v8
	ds_write_b64 v14, v[7:8]
.LBB100_19:
	s_or_b64 exec, exec, s[0:1]
	v_cmp_gt_u32_e32 vcc, 21, v0
	v_mov_b32_e32 v8, v6
	v_mov_b32_e32 v7, v5
	s_waitcnt lgkmcnt(0)
	s_barrier
	s_and_saveexec_b64 s[0:1], vcc
	s_cbranch_execz .LBB100_21
; %bb.20:
	s_movk_i32 s2, 0xa0
	v_mad_u32_u24 v7, v0, s2, v14
	ds_read2_b64 v[7:10], v7 offset1:1
	s_waitcnt lgkmcnt(0)
	v_add_f32_e32 v7, v9, v7
	v_add_f32_e32 v8, v10, v8
.LBB100_21:
	s_or_b64 exec, exec, s[0:1]
	s_branch .LBB100_34
.LBB100_22:
                                        ; implicit-def: $vgpr8
                                        ; implicit-def: $vgpr7
	s_cbranch_execz .LBB100_34
; %bb.23:
	s_movk_i32 s0, 0x69
	v_cmp_gt_u32_e32 vcc, s0, v0
	s_and_saveexec_b64 s[0:1], vcc
	s_cbranch_execz .LBB100_25
; %bb.24:
	ds_read_b64 v[7:8], v14 offset:2688
	ds_read_b64 v[9:10], v14
	s_waitcnt lgkmcnt(0)
	v_add_f32_e32 v7, v7, v9
	v_add_f32_e32 v8, v8, v10
	ds_write_b64 v14, v[7:8]
.LBB100_25:
	s_or_b64 exec, exec, s[0:1]
	s_movk_i32 s0, 0xa8
	v_cmp_gt_u32_e32 vcc, s0, v0
	s_waitcnt lgkmcnt(0)
	s_barrier
	s_and_saveexec_b64 s[0:1], vcc
	s_cbranch_execz .LBB100_27
; %bb.26:
	ds_read2_b64 v[7:10], v14 offset1:168
	s_waitcnt lgkmcnt(0)
	v_add_f32_e32 v7, v9, v7
	v_add_f32_e32 v8, v10, v8
	ds_write_b64 v14, v[7:8]
.LBB100_27:
	s_or_b64 exec, exec, s[0:1]
	s_movk_i32 s0, 0x54
	v_cmp_gt_u32_e32 vcc, s0, v0
	s_waitcnt lgkmcnt(0)
	s_barrier
	s_and_saveexec_b64 s[0:1], vcc
	s_cbranch_execz .LBB100_29
; %bb.28:
	ds_read2_b64 v[7:10], v14 offset1:84
	s_waitcnt lgkmcnt(0)
	v_add_f32_e32 v7, v9, v7
	v_add_f32_e32 v8, v10, v8
	ds_write_b64 v14, v[7:8]
.LBB100_29:
	s_or_b64 exec, exec, s[0:1]
	v_cmp_gt_u32_e32 vcc, 42, v0
	s_waitcnt lgkmcnt(0)
	s_barrier
	s_and_saveexec_b64 s[0:1], vcc
	s_cbranch_execz .LBB100_31
; %bb.30:
	ds_read2_b64 v[7:10], v14 offset1:42
	s_waitcnt lgkmcnt(0)
	v_add_f32_e32 v7, v9, v7
	v_add_f32_e32 v8, v10, v8
	ds_write_b64 v14, v[7:8]
.LBB100_31:
	s_or_b64 exec, exec, s[0:1]
	v_cmp_gt_u32_e32 vcc, 21, v0
	s_waitcnt lgkmcnt(0)
	s_and_saveexec_b64 s[0:1], vcc
	s_cbranch_execz .LBB100_33
; %bb.32:
	ds_read2_b64 v[5:8], v14 offset1:21
	s_waitcnt lgkmcnt(0)
	v_add_f32_e32 v5, v7, v5
	v_add_f32_e32 v6, v8, v6
.LBB100_33:
	s_or_b64 exec, exec, s[0:1]
	v_mov_b32_e32 v8, v6
	v_mov_b32_e32 v7, v5
.LBB100_34:
	v_cmp_gt_u32_e32 vcc, 21, v0
	s_and_b64 exec, exec, vcc
	s_cbranch_execz .LBB100_39
; %bb.35:
	v_cmp_eq_f32_e32 vcc, 0, v1
	v_cmp_eq_f32_e64 s[0:1], 0, v2
	v_mul_f32_e64 v5, v8, -v4
	v_mul_f32_e32 v6, v3, v8
	s_and_b64 s[0:1], vcc, s[0:1]
	v_fmac_f32_e32 v5, v3, v7
	v_fmac_f32_e32 v6, v4, v7
	s_and_saveexec_b64 s[2:3], s[0:1]
	s_xor_b64 s[0:1], exec, s[2:3]
	s_cbranch_execz .LBB100_37
; %bb.36:
	v_mad_u64_u32 v[0:1], s[2:3], s6, 21, v[0:1]
	v_mov_b32_e32 v1, 0
	v_mov_b32_e32 v2, s13
	v_lshlrev_b64 v[0:1], 3, v[0:1]
	v_add_co_u32_e32 v0, vcc, s12, v0
	v_addc_co_u32_e32 v1, vcc, v2, v1, vcc
	global_store_dwordx2 v[0:1], v[5:6], off
                                        ; implicit-def: $vgpr0
                                        ; implicit-def: $vgpr1_vgpr2
                                        ; implicit-def: $vgpr5
.LBB100_37:
	s_andn2_saveexec_b64 s[0:1], s[0:1]
	s_cbranch_execz .LBB100_39
; %bb.38:
	v_mad_u64_u32 v[3:4], s[0:1], s6, 21, v[0:1]
	v_mov_b32_e32 v4, 0
	v_mov_b32_e32 v0, s13
	v_lshlrev_b64 v[3:4], 3, v[3:4]
	v_add_co_u32_e32 v3, vcc, s12, v3
	v_addc_co_u32_e32 v4, vcc, v0, v4, vcc
	global_load_dwordx2 v[7:8], v[3:4], off
	s_waitcnt vmcnt(0)
	v_fmac_f32_e32 v5, v1, v7
	v_fmac_f32_e32 v6, v2, v7
	v_fma_f32 v5, -v2, v8, v5
	v_fmac_f32_e32 v6, v1, v8
	global_store_dwordx2 v[3:4], v[5:6], off
.LBB100_39:
	s_endpgm
	.section	.rodata,"a",@progbits
	.p2align	6, 0x0
	.amdhsa_kernel _ZN9rocsparseL20bsrxmvn_17_32_kernelILj21E21rocsparse_complex_numIfEliS2_S2_S2_EEvT2_20rocsparse_direction_NS_24const_host_device_scalarIT0_EES3_PKS3_PKT1_SC_S9_PKT3_PKT4_S7_PT5_21rocsparse_index_base_b
		.amdhsa_group_segment_fixed_size 3528
		.amdhsa_private_segment_fixed_size 0
		.amdhsa_kernarg_size 96
		.amdhsa_user_sgpr_count 6
		.amdhsa_user_sgpr_private_segment_buffer 1
		.amdhsa_user_sgpr_dispatch_ptr 0
		.amdhsa_user_sgpr_queue_ptr 0
		.amdhsa_user_sgpr_kernarg_segment_ptr 1
		.amdhsa_user_sgpr_dispatch_id 0
		.amdhsa_user_sgpr_flat_scratch_init 0
		.amdhsa_user_sgpr_private_segment_size 0
		.amdhsa_uses_dynamic_stack 0
		.amdhsa_system_sgpr_private_segment_wavefront_offset 0
		.amdhsa_system_sgpr_workgroup_id_x 1
		.amdhsa_system_sgpr_workgroup_id_y 0
		.amdhsa_system_sgpr_workgroup_id_z 0
		.amdhsa_system_sgpr_workgroup_info 0
		.amdhsa_system_vgpr_workitem_id 0
		.amdhsa_next_free_vgpr 25
		.amdhsa_next_free_sgpr 61
		.amdhsa_reserve_vcc 1
		.amdhsa_reserve_flat_scratch 0
		.amdhsa_float_round_mode_32 0
		.amdhsa_float_round_mode_16_64 0
		.amdhsa_float_denorm_mode_32 3
		.amdhsa_float_denorm_mode_16_64 3
		.amdhsa_dx10_clamp 1
		.amdhsa_ieee_mode 1
		.amdhsa_fp16_overflow 0
		.amdhsa_exception_fp_ieee_invalid_op 0
		.amdhsa_exception_fp_denorm_src 0
		.amdhsa_exception_fp_ieee_div_zero 0
		.amdhsa_exception_fp_ieee_overflow 0
		.amdhsa_exception_fp_ieee_underflow 0
		.amdhsa_exception_fp_ieee_inexact 0
		.amdhsa_exception_int_div_zero 0
	.end_amdhsa_kernel
	.section	.text._ZN9rocsparseL20bsrxmvn_17_32_kernelILj21E21rocsparse_complex_numIfEliS2_S2_S2_EEvT2_20rocsparse_direction_NS_24const_host_device_scalarIT0_EES3_PKS3_PKT1_SC_S9_PKT3_PKT4_S7_PT5_21rocsparse_index_base_b,"axG",@progbits,_ZN9rocsparseL20bsrxmvn_17_32_kernelILj21E21rocsparse_complex_numIfEliS2_S2_S2_EEvT2_20rocsparse_direction_NS_24const_host_device_scalarIT0_EES3_PKS3_PKT1_SC_S9_PKT3_PKT4_S7_PT5_21rocsparse_index_base_b,comdat
.Lfunc_end100:
	.size	_ZN9rocsparseL20bsrxmvn_17_32_kernelILj21E21rocsparse_complex_numIfEliS2_S2_S2_EEvT2_20rocsparse_direction_NS_24const_host_device_scalarIT0_EES3_PKS3_PKT1_SC_S9_PKT3_PKT4_S7_PT5_21rocsparse_index_base_b, .Lfunc_end100-_ZN9rocsparseL20bsrxmvn_17_32_kernelILj21E21rocsparse_complex_numIfEliS2_S2_S2_EEvT2_20rocsparse_direction_NS_24const_host_device_scalarIT0_EES3_PKS3_PKT1_SC_S9_PKT3_PKT4_S7_PT5_21rocsparse_index_base_b
                                        ; -- End function
	.set _ZN9rocsparseL20bsrxmvn_17_32_kernelILj21E21rocsparse_complex_numIfEliS2_S2_S2_EEvT2_20rocsparse_direction_NS_24const_host_device_scalarIT0_EES3_PKS3_PKT1_SC_S9_PKT3_PKT4_S7_PT5_21rocsparse_index_base_b.num_vgpr, 22
	.set _ZN9rocsparseL20bsrxmvn_17_32_kernelILj21E21rocsparse_complex_numIfEliS2_S2_S2_EEvT2_20rocsparse_direction_NS_24const_host_device_scalarIT0_EES3_PKS3_PKT1_SC_S9_PKT3_PKT4_S7_PT5_21rocsparse_index_base_b.num_agpr, 0
	.set _ZN9rocsparseL20bsrxmvn_17_32_kernelILj21E21rocsparse_complex_numIfEliS2_S2_S2_EEvT2_20rocsparse_direction_NS_24const_host_device_scalarIT0_EES3_PKS3_PKT1_SC_S9_PKT3_PKT4_S7_PT5_21rocsparse_index_base_b.numbered_sgpr, 22
	.set _ZN9rocsparseL20bsrxmvn_17_32_kernelILj21E21rocsparse_complex_numIfEliS2_S2_S2_EEvT2_20rocsparse_direction_NS_24const_host_device_scalarIT0_EES3_PKS3_PKT1_SC_S9_PKT3_PKT4_S7_PT5_21rocsparse_index_base_b.num_named_barrier, 0
	.set _ZN9rocsparseL20bsrxmvn_17_32_kernelILj21E21rocsparse_complex_numIfEliS2_S2_S2_EEvT2_20rocsparse_direction_NS_24const_host_device_scalarIT0_EES3_PKS3_PKT1_SC_S9_PKT3_PKT4_S7_PT5_21rocsparse_index_base_b.private_seg_size, 0
	.set _ZN9rocsparseL20bsrxmvn_17_32_kernelILj21E21rocsparse_complex_numIfEliS2_S2_S2_EEvT2_20rocsparse_direction_NS_24const_host_device_scalarIT0_EES3_PKS3_PKT1_SC_S9_PKT3_PKT4_S7_PT5_21rocsparse_index_base_b.uses_vcc, 1
	.set _ZN9rocsparseL20bsrxmvn_17_32_kernelILj21E21rocsparse_complex_numIfEliS2_S2_S2_EEvT2_20rocsparse_direction_NS_24const_host_device_scalarIT0_EES3_PKS3_PKT1_SC_S9_PKT3_PKT4_S7_PT5_21rocsparse_index_base_b.uses_flat_scratch, 0
	.set _ZN9rocsparseL20bsrxmvn_17_32_kernelILj21E21rocsparse_complex_numIfEliS2_S2_S2_EEvT2_20rocsparse_direction_NS_24const_host_device_scalarIT0_EES3_PKS3_PKT1_SC_S9_PKT3_PKT4_S7_PT5_21rocsparse_index_base_b.has_dyn_sized_stack, 0
	.set _ZN9rocsparseL20bsrxmvn_17_32_kernelILj21E21rocsparse_complex_numIfEliS2_S2_S2_EEvT2_20rocsparse_direction_NS_24const_host_device_scalarIT0_EES3_PKS3_PKT1_SC_S9_PKT3_PKT4_S7_PT5_21rocsparse_index_base_b.has_recursion, 0
	.set _ZN9rocsparseL20bsrxmvn_17_32_kernelILj21E21rocsparse_complex_numIfEliS2_S2_S2_EEvT2_20rocsparse_direction_NS_24const_host_device_scalarIT0_EES3_PKS3_PKT1_SC_S9_PKT3_PKT4_S7_PT5_21rocsparse_index_base_b.has_indirect_call, 0
	.section	.AMDGPU.csdata,"",@progbits
; Kernel info:
; codeLenInByte = 1488
; TotalNumSgprs: 26
; NumVgprs: 22
; ScratchSize: 0
; MemoryBound: 0
; FloatMode: 240
; IeeeMode: 1
; LDSByteSize: 3528 bytes/workgroup (compile time only)
; SGPRBlocks: 8
; VGPRBlocks: 6
; NumSGPRsForWavesPerEU: 65
; NumVGPRsForWavesPerEU: 25
; Occupancy: 9
; WaveLimiterHint : 1
; COMPUTE_PGM_RSRC2:SCRATCH_EN: 0
; COMPUTE_PGM_RSRC2:USER_SGPR: 6
; COMPUTE_PGM_RSRC2:TRAP_HANDLER: 0
; COMPUTE_PGM_RSRC2:TGID_X_EN: 1
; COMPUTE_PGM_RSRC2:TGID_Y_EN: 0
; COMPUTE_PGM_RSRC2:TGID_Z_EN: 0
; COMPUTE_PGM_RSRC2:TIDIG_COMP_CNT: 0
	.section	.text._ZN9rocsparseL20bsrxmvn_17_32_kernelILj22E21rocsparse_complex_numIfEliS2_S2_S2_EEvT2_20rocsparse_direction_NS_24const_host_device_scalarIT0_EES3_PKS3_PKT1_SC_S9_PKT3_PKT4_S7_PT5_21rocsparse_index_base_b,"axG",@progbits,_ZN9rocsparseL20bsrxmvn_17_32_kernelILj22E21rocsparse_complex_numIfEliS2_S2_S2_EEvT2_20rocsparse_direction_NS_24const_host_device_scalarIT0_EES3_PKS3_PKT1_SC_S9_PKT3_PKT4_S7_PT5_21rocsparse_index_base_b,comdat
	.globl	_ZN9rocsparseL20bsrxmvn_17_32_kernelILj22E21rocsparse_complex_numIfEliS2_S2_S2_EEvT2_20rocsparse_direction_NS_24const_host_device_scalarIT0_EES3_PKS3_PKT1_SC_S9_PKT3_PKT4_S7_PT5_21rocsparse_index_base_b ; -- Begin function _ZN9rocsparseL20bsrxmvn_17_32_kernelILj22E21rocsparse_complex_numIfEliS2_S2_S2_EEvT2_20rocsparse_direction_NS_24const_host_device_scalarIT0_EES3_PKS3_PKT1_SC_S9_PKT3_PKT4_S7_PT5_21rocsparse_index_base_b
	.p2align	8
	.type	_ZN9rocsparseL20bsrxmvn_17_32_kernelILj22E21rocsparse_complex_numIfEliS2_S2_S2_EEvT2_20rocsparse_direction_NS_24const_host_device_scalarIT0_EES3_PKS3_PKT1_SC_S9_PKT3_PKT4_S7_PT5_21rocsparse_index_base_b,@function
_ZN9rocsparseL20bsrxmvn_17_32_kernelILj22E21rocsparse_complex_numIfEliS2_S2_S2_EEvT2_20rocsparse_direction_NS_24const_host_device_scalarIT0_EES3_PKS3_PKT1_SC_S9_PKT3_PKT4_S7_PT5_21rocsparse_index_base_b: ; @_ZN9rocsparseL20bsrxmvn_17_32_kernelILj22E21rocsparse_complex_numIfEliS2_S2_S2_EEvT2_20rocsparse_direction_NS_24const_host_device_scalarIT0_EES3_PKS3_PKT1_SC_S9_PKT3_PKT4_S7_PT5_21rocsparse_index_base_b
; %bb.0:
	s_load_dwordx2 s[0:1], s[4:5], 0x8
	s_load_dwordx2 s[14:15], s[4:5], 0x58
	s_add_u32 s7, s4, 8
	s_addc_u32 s8, s5, 0
	s_add_u32 s9, s4, 0x48
	s_load_dwordx2 s[2:3], s[4:5], 0x48
	s_addc_u32 s10, s5, 0
	s_waitcnt lgkmcnt(0)
	s_bitcmp1_b32 s15, 0
	s_cselect_b32 s1, s8, s1
	s_cselect_b32 s0, s7, s0
	v_mov_b32_e32 v1, s0
	v_mov_b32_e32 v2, s1
	flat_load_dwordx2 v[3:4], v[1:2]
	s_cselect_b32 s0, s10, s3
	s_cselect_b32 s1, s9, s2
	v_mov_b32_e32 v1, s1
	v_mov_b32_e32 v2, s0
	flat_load_dwordx2 v[1:2], v[1:2]
	s_waitcnt vmcnt(0) lgkmcnt(0)
	v_cmp_eq_f32_e32 vcc, 0, v3
	v_cmp_eq_f32_e64 s[0:1], 0, v4
	s_and_b64 s[8:9], vcc, s[0:1]
	s_mov_b64 s[0:1], -1
	s_and_saveexec_b64 s[2:3], s[8:9]
; %bb.1:
	v_cmp_neq_f32_e32 vcc, 1.0, v1
	v_cmp_neq_f32_e64 s[0:1], 0, v2
	s_or_b64 s[0:1], vcc, s[0:1]
	s_orn2_b64 s[0:1], s[0:1], exec
; %bb.2:
	s_or_b64 exec, exec, s[2:3]
	s_and_saveexec_b64 s[2:3], s[0:1]
	s_cbranch_execz .LBB101_39
; %bb.3:
	s_load_dwordx4 s[0:3], s[4:5], 0x18
	s_load_dwordx2 s[8:9], s[4:5], 0x28
	s_waitcnt lgkmcnt(0)
	s_cmp_eq_u64 s[0:1], 0
	s_cbranch_scc1 .LBB101_5
; %bb.4:
	s_ashr_i32 s7, s6, 31
	s_lshl_b64 s[6:7], s[6:7], 2
	s_add_u32 s0, s0, s6
	s_addc_u32 s1, s1, s7
	s_load_dword s0, s[0:1], 0x0
	s_waitcnt lgkmcnt(0)
	s_sub_i32 s6, s0, s14
.LBB101_5:
	s_load_dword s7, s[4:5], 0x4
	s_load_dwordx2 s[12:13], s[4:5], 0x50
	v_mul_u32_u24_e32 v7, 0xba3, v0
	v_mov_b32_e32 v8, 22
	v_mul_lo_u16_sdwa v5, v7, v8 dst_sel:DWORD dst_unused:UNUSED_PAD src0_sel:WORD_1 src1_sel:DWORD
	s_waitcnt lgkmcnt(0)
	s_cmp_eq_u32 s7, 1
	s_cselect_b64 s[0:1], -1, 0
	s_cmp_lg_u32 s7, 1
	s_cselect_b64 s[16:17], -1, 0
	s_ashr_i32 s7, s6, 31
	s_lshl_b64 s[10:11], s[6:7], 3
	s_add_u32 s2, s2, s10
	s_addc_u32 s3, s3, s11
	s_add_u32 s7, s2, 8
	s_addc_u32 s15, s3, 0
	;; [unrolled: 2-line block ×3, first 2 shown]
	s_cmp_eq_u64 s[8:9], 0
	s_cselect_b32 s9, s15, s11
	s_cselect_b32 s8, s7, s10
	s_load_dwordx2 s[18:19], s[8:9], 0x0
	s_load_dwordx2 s[20:21], s[2:3], 0x0
	v_sub_u16_e32 v15, v0, v5
	v_lshlrev_b32_e32 v14, 3, v0
	s_waitcnt lgkmcnt(0)
	v_mov_b32_e32 v5, s18
	v_mov_b32_e32 v6, s19
	v_cmp_ge_i64_e32 vcc, s[20:21], v[5:6]
	v_mov_b32_e32 v6, 0
	v_mov_b32_e32 v5, 0
	s_cbranch_vccnz .LBB101_10
; %bb.6:
	v_mov_b32_e32 v5, 12
	s_load_dwordx4 s[8:11], s[4:5], 0x30
	s_load_dwordx2 s[2:3], s[4:5], 0x40
	s_sub_u32 s4, s18, s14
	v_mul_lo_u16_sdwa v5, v7, v5 dst_sel:DWORD dst_unused:UNUSED_PAD src0_sel:WORD_1 src1_sel:DWORD
	s_subb_u32 s5, s19, 0
	v_mul_lo_u16_sdwa v5, v5, v8 dst_sel:DWORD dst_unused:UNUSED_PAD src0_sel:BYTE_1 src1_sel:DWORD
	v_sub_u16_sdwa v5, v7, v5 dst_sel:DWORD dst_unused:UNUSED_PAD src0_sel:WORD_1 src1_sel:DWORD
	s_sub_u32 s18, s20, s14
	v_and_b32_e32 v5, 0xff, v5
	s_subb_u32 s19, s21, 0
	v_cndmask_b32_e64 v7, v15, v5, s[0:1]
	s_mul_i32 s0, s19, 0xf20
	s_mul_hi_u32 s1, s18, 0xf20
	s_add_i32 s1, s1, s0
	s_mul_i32 s0, s18, 0xf20
	s_waitcnt lgkmcnt(0)
	s_add_u32 s0, s10, s0
	s_addc_u32 s1, s11, s1
	v_mov_b32_e32 v5, s1
	v_add_co_u32_e32 v8, vcc, s0, v14
	s_movk_i32 s0, 0x10f
	v_addc_co_u32_e32 v9, vcc, 0, v5, vcc
	v_mul_u32_u24_sdwa v5, v0, s0 dst_sel:DWORD dst_unused:UNUSED_PAD src0_sel:WORD_0 src1_sel:DWORD
	v_lshrrev_b32_e32 v16, 17, v5
	v_mov_b32_e32 v5, s21
	v_add_co_u32_e32 v10, vcc, s20, v16
	v_addc_co_u32_e32 v5, vcc, 0, v5, vcc
	v_subrev_co_u32_e32 v10, vcc, s14, v10
	v_subbrev_co_u32_e32 v11, vcc, 0, v5, vcc
	v_lshlrev_b64 v[10:11], 2, v[10:11]
	v_mov_b32_e32 v6, 0
	v_mov_b32_e32 v5, s9
	v_add_co_u32_e32 v10, vcc, s8, v10
	v_mov_b32_e32 v13, s5
	v_addc_co_u32_e32 v11, vcc, v5, v11, vcc
	v_mov_b32_e32 v12, s4
	v_mov_b32_e32 v5, v6
	s_branch .LBB101_8
.LBB101_7:                              ;   in Loop: Header=BB101_8 Depth=1
	s_or_b64 exec, exec, s[0:1]
	s_add_u32 s18, s18, 1
	s_addc_u32 s19, s19, 0
	v_cmp_lt_i64_e32 vcc, s[18:19], v[12:13]
	v_add_co_u32_e64 v10, s[0:1], 4, v10
	v_addc_co_u32_e64 v11, s[0:1], 0, v11, s[0:1]
	s_cbranch_vccz .LBB101_10
.LBB101_8:                              ; =>This Inner Loop Header: Depth=1
	v_mov_b32_e32 v18, s19
	v_add_co_u32_e32 v17, vcc, s18, v16
	v_addc_co_u32_e32 v18, vcc, 0, v18, vcc
	v_cmp_gt_i64_e32 vcc, s[4:5], v[17:18]
	s_and_saveexec_b64 s[0:1], vcc
	s_cbranch_execz .LBB101_7
; %bb.9:                                ;   in Loop: Header=BB101_8 Depth=1
	global_load_dword v17, v[10:11], off
	v_mov_b32_e32 v21, s3
	global_load_dwordx2 v[19:20], v[8:9], off
	s_waitcnt vmcnt(1)
	v_subrev_u32_e32 v17, s14, v17
	v_mad_u64_u32 v[17:18], s[8:9], v17, 22, v[7:8]
	v_ashrrev_i32_e32 v18, 31, v17
	v_lshlrev_b64 v[17:18], 3, v[17:18]
	v_add_co_u32_e32 v17, vcc, s2, v17
	v_addc_co_u32_e32 v18, vcc, v21, v18, vcc
	global_load_dwordx2 v[17:18], v[17:18], off
	v_add_co_u32_e32 v8, vcc, 0xf20, v8
	v_addc_co_u32_e32 v9, vcc, 0, v9, vcc
	s_waitcnt vmcnt(0)
	v_fmac_f32_e32 v5, v19, v17
	v_fmac_f32_e32 v6, v20, v17
	v_fma_f32 v5, -v20, v18, v5
	v_fmac_f32_e32 v6, v19, v18
	s_branch .LBB101_7
.LBB101_10:
	s_and_b64 vcc, exec, s[16:17]
	ds_write_b64 v14, v[5:6]
	s_waitcnt lgkmcnt(0)
	s_barrier
	s_cbranch_vccz .LBB101_22
; %bb.11:
	v_cmp_gt_u16_e32 vcc, 6, v15
	s_and_saveexec_b64 s[0:1], vcc
	s_cbranch_execz .LBB101_13
; %bb.12:
	ds_read2_b64 v[7:10], v14 offset1:16
	s_waitcnt lgkmcnt(0)
	v_add_f32_e32 v7, v9, v7
	v_add_f32_e32 v8, v10, v8
	ds_write_b64 v14, v[7:8]
.LBB101_13:
	s_or_b64 exec, exec, s[0:1]
	v_cmp_gt_u16_e32 vcc, 8, v15
	s_waitcnt lgkmcnt(0)
	s_barrier
	s_and_saveexec_b64 s[0:1], vcc
	s_cbranch_execz .LBB101_15
; %bb.14:
	ds_read2_b64 v[7:10], v14 offset1:8
	s_waitcnt lgkmcnt(0)
	v_add_f32_e32 v7, v9, v7
	v_add_f32_e32 v8, v10, v8
	ds_write_b64 v14, v[7:8]
.LBB101_15:
	s_or_b64 exec, exec, s[0:1]
	v_cmp_gt_u16_e32 vcc, 4, v15
	s_waitcnt lgkmcnt(0)
	s_barrier
	;; [unrolled: 13-line block ×3, first 2 shown]
	s_and_saveexec_b64 s[0:1], vcc
	s_cbranch_execz .LBB101_19
; %bb.18:
	ds_read2_b64 v[7:10], v14 offset1:2
	s_waitcnt lgkmcnt(0)
	v_add_f32_e32 v7, v9, v7
	v_add_f32_e32 v8, v10, v8
	ds_write_b64 v14, v[7:8]
.LBB101_19:
	s_or_b64 exec, exec, s[0:1]
	v_cmp_gt_u32_e32 vcc, 22, v0
	v_mov_b32_e32 v8, v6
	v_mov_b32_e32 v7, v5
	s_waitcnt lgkmcnt(0)
	s_barrier
	s_and_saveexec_b64 s[0:1], vcc
	s_cbranch_execz .LBB101_21
; %bb.20:
	s_movk_i32 s2, 0xa8
	v_mad_u32_u24 v7, v0, s2, v14
	ds_read2_b64 v[7:10], v7 offset1:1
	s_waitcnt lgkmcnt(0)
	v_add_f32_e32 v7, v9, v7
	v_add_f32_e32 v8, v10, v8
.LBB101_21:
	s_or_b64 exec, exec, s[0:1]
	s_branch .LBB101_34
.LBB101_22:
                                        ; implicit-def: $vgpr8
                                        ; implicit-def: $vgpr7
	s_cbranch_execz .LBB101_34
; %bb.23:
	s_movk_i32 s0, 0x84
	v_cmp_gt_u32_e32 vcc, s0, v0
	s_and_saveexec_b64 s[0:1], vcc
	s_cbranch_execz .LBB101_25
; %bb.24:
	ds_read_b64 v[7:8], v14 offset:2816
	ds_read_b64 v[9:10], v14
	s_waitcnt lgkmcnt(0)
	v_add_f32_e32 v7, v7, v9
	v_add_f32_e32 v8, v8, v10
	ds_write_b64 v14, v[7:8]
.LBB101_25:
	s_or_b64 exec, exec, s[0:1]
	s_movk_i32 s0, 0xb0
	v_cmp_gt_u32_e32 vcc, s0, v0
	s_waitcnt lgkmcnt(0)
	s_barrier
	s_and_saveexec_b64 s[0:1], vcc
	s_cbranch_execz .LBB101_27
; %bb.26:
	ds_read2_b64 v[7:10], v14 offset1:176
	s_waitcnt lgkmcnt(0)
	v_add_f32_e32 v7, v9, v7
	v_add_f32_e32 v8, v10, v8
	ds_write_b64 v14, v[7:8]
.LBB101_27:
	s_or_b64 exec, exec, s[0:1]
	s_movk_i32 s0, 0x58
	v_cmp_gt_u32_e32 vcc, s0, v0
	s_waitcnt lgkmcnt(0)
	s_barrier
	s_and_saveexec_b64 s[0:1], vcc
	s_cbranch_execz .LBB101_29
; %bb.28:
	ds_read2_b64 v[7:10], v14 offset1:88
	s_waitcnt lgkmcnt(0)
	v_add_f32_e32 v7, v9, v7
	v_add_f32_e32 v8, v10, v8
	ds_write_b64 v14, v[7:8]
.LBB101_29:
	s_or_b64 exec, exec, s[0:1]
	v_cmp_gt_u32_e32 vcc, 44, v0
	s_waitcnt lgkmcnt(0)
	s_barrier
	s_and_saveexec_b64 s[0:1], vcc
	s_cbranch_execz .LBB101_31
; %bb.30:
	ds_read2_b64 v[7:10], v14 offset1:44
	s_waitcnt lgkmcnt(0)
	v_add_f32_e32 v7, v9, v7
	v_add_f32_e32 v8, v10, v8
	ds_write_b64 v14, v[7:8]
.LBB101_31:
	s_or_b64 exec, exec, s[0:1]
	v_cmp_gt_u32_e32 vcc, 22, v0
	s_waitcnt lgkmcnt(0)
	s_and_saveexec_b64 s[0:1], vcc
	s_cbranch_execz .LBB101_33
; %bb.32:
	ds_read2_b64 v[5:8], v14 offset1:22
	s_waitcnt lgkmcnt(0)
	v_add_f32_e32 v5, v7, v5
	v_add_f32_e32 v6, v8, v6
.LBB101_33:
	s_or_b64 exec, exec, s[0:1]
	v_mov_b32_e32 v8, v6
	v_mov_b32_e32 v7, v5
.LBB101_34:
	v_cmp_gt_u32_e32 vcc, 22, v0
	s_and_b64 exec, exec, vcc
	s_cbranch_execz .LBB101_39
; %bb.35:
	v_cmp_eq_f32_e32 vcc, 0, v1
	v_cmp_eq_f32_e64 s[0:1], 0, v2
	v_mul_f32_e64 v5, v8, -v4
	v_mul_f32_e32 v6, v3, v8
	s_and_b64 s[0:1], vcc, s[0:1]
	v_fmac_f32_e32 v5, v3, v7
	v_fmac_f32_e32 v6, v4, v7
	s_and_saveexec_b64 s[2:3], s[0:1]
	s_xor_b64 s[0:1], exec, s[2:3]
	s_cbranch_execz .LBB101_37
; %bb.36:
	v_mad_u64_u32 v[0:1], s[2:3], s6, 22, v[0:1]
	v_mov_b32_e32 v1, 0
	v_mov_b32_e32 v2, s13
	v_lshlrev_b64 v[0:1], 3, v[0:1]
	v_add_co_u32_e32 v0, vcc, s12, v0
	v_addc_co_u32_e32 v1, vcc, v2, v1, vcc
	global_store_dwordx2 v[0:1], v[5:6], off
                                        ; implicit-def: $vgpr0
                                        ; implicit-def: $vgpr1_vgpr2
                                        ; implicit-def: $vgpr5
.LBB101_37:
	s_andn2_saveexec_b64 s[0:1], s[0:1]
	s_cbranch_execz .LBB101_39
; %bb.38:
	v_mad_u64_u32 v[3:4], s[0:1], s6, 22, v[0:1]
	v_mov_b32_e32 v4, 0
	v_mov_b32_e32 v0, s13
	v_lshlrev_b64 v[3:4], 3, v[3:4]
	v_add_co_u32_e32 v3, vcc, s12, v3
	v_addc_co_u32_e32 v4, vcc, v0, v4, vcc
	global_load_dwordx2 v[7:8], v[3:4], off
	s_waitcnt vmcnt(0)
	v_fmac_f32_e32 v5, v1, v7
	v_fmac_f32_e32 v6, v2, v7
	v_fma_f32 v5, -v2, v8, v5
	v_fmac_f32_e32 v6, v1, v8
	global_store_dwordx2 v[3:4], v[5:6], off
.LBB101_39:
	s_endpgm
	.section	.rodata,"a",@progbits
	.p2align	6, 0x0
	.amdhsa_kernel _ZN9rocsparseL20bsrxmvn_17_32_kernelILj22E21rocsparse_complex_numIfEliS2_S2_S2_EEvT2_20rocsparse_direction_NS_24const_host_device_scalarIT0_EES3_PKS3_PKT1_SC_S9_PKT3_PKT4_S7_PT5_21rocsparse_index_base_b
		.amdhsa_group_segment_fixed_size 3872
		.amdhsa_private_segment_fixed_size 0
		.amdhsa_kernarg_size 96
		.amdhsa_user_sgpr_count 6
		.amdhsa_user_sgpr_private_segment_buffer 1
		.amdhsa_user_sgpr_dispatch_ptr 0
		.amdhsa_user_sgpr_queue_ptr 0
		.amdhsa_user_sgpr_kernarg_segment_ptr 1
		.amdhsa_user_sgpr_dispatch_id 0
		.amdhsa_user_sgpr_flat_scratch_init 0
		.amdhsa_user_sgpr_private_segment_size 0
		.amdhsa_uses_dynamic_stack 0
		.amdhsa_system_sgpr_private_segment_wavefront_offset 0
		.amdhsa_system_sgpr_workgroup_id_x 1
		.amdhsa_system_sgpr_workgroup_id_y 0
		.amdhsa_system_sgpr_workgroup_id_z 0
		.amdhsa_system_sgpr_workgroup_info 0
		.amdhsa_system_vgpr_workitem_id 0
		.amdhsa_next_free_vgpr 22
		.amdhsa_next_free_sgpr 22
		.amdhsa_reserve_vcc 1
		.amdhsa_reserve_flat_scratch 0
		.amdhsa_float_round_mode_32 0
		.amdhsa_float_round_mode_16_64 0
		.amdhsa_float_denorm_mode_32 3
		.amdhsa_float_denorm_mode_16_64 3
		.amdhsa_dx10_clamp 1
		.amdhsa_ieee_mode 1
		.amdhsa_fp16_overflow 0
		.amdhsa_exception_fp_ieee_invalid_op 0
		.amdhsa_exception_fp_denorm_src 0
		.amdhsa_exception_fp_ieee_div_zero 0
		.amdhsa_exception_fp_ieee_overflow 0
		.amdhsa_exception_fp_ieee_underflow 0
		.amdhsa_exception_fp_ieee_inexact 0
		.amdhsa_exception_int_div_zero 0
	.end_amdhsa_kernel
	.section	.text._ZN9rocsparseL20bsrxmvn_17_32_kernelILj22E21rocsparse_complex_numIfEliS2_S2_S2_EEvT2_20rocsparse_direction_NS_24const_host_device_scalarIT0_EES3_PKS3_PKT1_SC_S9_PKT3_PKT4_S7_PT5_21rocsparse_index_base_b,"axG",@progbits,_ZN9rocsparseL20bsrxmvn_17_32_kernelILj22E21rocsparse_complex_numIfEliS2_S2_S2_EEvT2_20rocsparse_direction_NS_24const_host_device_scalarIT0_EES3_PKS3_PKT1_SC_S9_PKT3_PKT4_S7_PT5_21rocsparse_index_base_b,comdat
.Lfunc_end101:
	.size	_ZN9rocsparseL20bsrxmvn_17_32_kernelILj22E21rocsparse_complex_numIfEliS2_S2_S2_EEvT2_20rocsparse_direction_NS_24const_host_device_scalarIT0_EES3_PKS3_PKT1_SC_S9_PKT3_PKT4_S7_PT5_21rocsparse_index_base_b, .Lfunc_end101-_ZN9rocsparseL20bsrxmvn_17_32_kernelILj22E21rocsparse_complex_numIfEliS2_S2_S2_EEvT2_20rocsparse_direction_NS_24const_host_device_scalarIT0_EES3_PKS3_PKT1_SC_S9_PKT3_PKT4_S7_PT5_21rocsparse_index_base_b
                                        ; -- End function
	.set _ZN9rocsparseL20bsrxmvn_17_32_kernelILj22E21rocsparse_complex_numIfEliS2_S2_S2_EEvT2_20rocsparse_direction_NS_24const_host_device_scalarIT0_EES3_PKS3_PKT1_SC_S9_PKT3_PKT4_S7_PT5_21rocsparse_index_base_b.num_vgpr, 22
	.set _ZN9rocsparseL20bsrxmvn_17_32_kernelILj22E21rocsparse_complex_numIfEliS2_S2_S2_EEvT2_20rocsparse_direction_NS_24const_host_device_scalarIT0_EES3_PKS3_PKT1_SC_S9_PKT3_PKT4_S7_PT5_21rocsparse_index_base_b.num_agpr, 0
	.set _ZN9rocsparseL20bsrxmvn_17_32_kernelILj22E21rocsparse_complex_numIfEliS2_S2_S2_EEvT2_20rocsparse_direction_NS_24const_host_device_scalarIT0_EES3_PKS3_PKT1_SC_S9_PKT3_PKT4_S7_PT5_21rocsparse_index_base_b.numbered_sgpr, 22
	.set _ZN9rocsparseL20bsrxmvn_17_32_kernelILj22E21rocsparse_complex_numIfEliS2_S2_S2_EEvT2_20rocsparse_direction_NS_24const_host_device_scalarIT0_EES3_PKS3_PKT1_SC_S9_PKT3_PKT4_S7_PT5_21rocsparse_index_base_b.num_named_barrier, 0
	.set _ZN9rocsparseL20bsrxmvn_17_32_kernelILj22E21rocsparse_complex_numIfEliS2_S2_S2_EEvT2_20rocsparse_direction_NS_24const_host_device_scalarIT0_EES3_PKS3_PKT1_SC_S9_PKT3_PKT4_S7_PT5_21rocsparse_index_base_b.private_seg_size, 0
	.set _ZN9rocsparseL20bsrxmvn_17_32_kernelILj22E21rocsparse_complex_numIfEliS2_S2_S2_EEvT2_20rocsparse_direction_NS_24const_host_device_scalarIT0_EES3_PKS3_PKT1_SC_S9_PKT3_PKT4_S7_PT5_21rocsparse_index_base_b.uses_vcc, 1
	.set _ZN9rocsparseL20bsrxmvn_17_32_kernelILj22E21rocsparse_complex_numIfEliS2_S2_S2_EEvT2_20rocsparse_direction_NS_24const_host_device_scalarIT0_EES3_PKS3_PKT1_SC_S9_PKT3_PKT4_S7_PT5_21rocsparse_index_base_b.uses_flat_scratch, 0
	.set _ZN9rocsparseL20bsrxmvn_17_32_kernelILj22E21rocsparse_complex_numIfEliS2_S2_S2_EEvT2_20rocsparse_direction_NS_24const_host_device_scalarIT0_EES3_PKS3_PKT1_SC_S9_PKT3_PKT4_S7_PT5_21rocsparse_index_base_b.has_dyn_sized_stack, 0
	.set _ZN9rocsparseL20bsrxmvn_17_32_kernelILj22E21rocsparse_complex_numIfEliS2_S2_S2_EEvT2_20rocsparse_direction_NS_24const_host_device_scalarIT0_EES3_PKS3_PKT1_SC_S9_PKT3_PKT4_S7_PT5_21rocsparse_index_base_b.has_recursion, 0
	.set _ZN9rocsparseL20bsrxmvn_17_32_kernelILj22E21rocsparse_complex_numIfEliS2_S2_S2_EEvT2_20rocsparse_direction_NS_24const_host_device_scalarIT0_EES3_PKS3_PKT1_SC_S9_PKT3_PKT4_S7_PT5_21rocsparse_index_base_b.has_indirect_call, 0
	.section	.AMDGPU.csdata,"",@progbits
; Kernel info:
; codeLenInByte = 1488
; TotalNumSgprs: 26
; NumVgprs: 22
; ScratchSize: 0
; MemoryBound: 0
; FloatMode: 240
; IeeeMode: 1
; LDSByteSize: 3872 bytes/workgroup (compile time only)
; SGPRBlocks: 3
; VGPRBlocks: 5
; NumSGPRsForWavesPerEU: 26
; NumVGPRsForWavesPerEU: 22
; Occupancy: 10
; WaveLimiterHint : 1
; COMPUTE_PGM_RSRC2:SCRATCH_EN: 0
; COMPUTE_PGM_RSRC2:USER_SGPR: 6
; COMPUTE_PGM_RSRC2:TRAP_HANDLER: 0
; COMPUTE_PGM_RSRC2:TGID_X_EN: 1
; COMPUTE_PGM_RSRC2:TGID_Y_EN: 0
; COMPUTE_PGM_RSRC2:TGID_Z_EN: 0
; COMPUTE_PGM_RSRC2:TIDIG_COMP_CNT: 0
	.section	.text._ZN9rocsparseL20bsrxmvn_17_32_kernelILj23E21rocsparse_complex_numIfEliS2_S2_S2_EEvT2_20rocsparse_direction_NS_24const_host_device_scalarIT0_EES3_PKS3_PKT1_SC_S9_PKT3_PKT4_S7_PT5_21rocsparse_index_base_b,"axG",@progbits,_ZN9rocsparseL20bsrxmvn_17_32_kernelILj23E21rocsparse_complex_numIfEliS2_S2_S2_EEvT2_20rocsparse_direction_NS_24const_host_device_scalarIT0_EES3_PKS3_PKT1_SC_S9_PKT3_PKT4_S7_PT5_21rocsparse_index_base_b,comdat
	.globl	_ZN9rocsparseL20bsrxmvn_17_32_kernelILj23E21rocsparse_complex_numIfEliS2_S2_S2_EEvT2_20rocsparse_direction_NS_24const_host_device_scalarIT0_EES3_PKS3_PKT1_SC_S9_PKT3_PKT4_S7_PT5_21rocsparse_index_base_b ; -- Begin function _ZN9rocsparseL20bsrxmvn_17_32_kernelILj23E21rocsparse_complex_numIfEliS2_S2_S2_EEvT2_20rocsparse_direction_NS_24const_host_device_scalarIT0_EES3_PKS3_PKT1_SC_S9_PKT3_PKT4_S7_PT5_21rocsparse_index_base_b
	.p2align	8
	.type	_ZN9rocsparseL20bsrxmvn_17_32_kernelILj23E21rocsparse_complex_numIfEliS2_S2_S2_EEvT2_20rocsparse_direction_NS_24const_host_device_scalarIT0_EES3_PKS3_PKT1_SC_S9_PKT3_PKT4_S7_PT5_21rocsparse_index_base_b,@function
_ZN9rocsparseL20bsrxmvn_17_32_kernelILj23E21rocsparse_complex_numIfEliS2_S2_S2_EEvT2_20rocsparse_direction_NS_24const_host_device_scalarIT0_EES3_PKS3_PKT1_SC_S9_PKT3_PKT4_S7_PT5_21rocsparse_index_base_b: ; @_ZN9rocsparseL20bsrxmvn_17_32_kernelILj23E21rocsparse_complex_numIfEliS2_S2_S2_EEvT2_20rocsparse_direction_NS_24const_host_device_scalarIT0_EES3_PKS3_PKT1_SC_S9_PKT3_PKT4_S7_PT5_21rocsparse_index_base_b
; %bb.0:
	s_load_dwordx2 s[0:1], s[4:5], 0x8
	s_load_dwordx2 s[14:15], s[4:5], 0x58
	s_add_u32 s7, s4, 8
	s_addc_u32 s8, s5, 0
	s_add_u32 s9, s4, 0x48
	s_load_dwordx2 s[2:3], s[4:5], 0x48
	s_addc_u32 s10, s5, 0
	s_waitcnt lgkmcnt(0)
	s_bitcmp1_b32 s15, 0
	s_cselect_b32 s1, s8, s1
	s_cselect_b32 s0, s7, s0
	v_mov_b32_e32 v1, s0
	v_mov_b32_e32 v2, s1
	flat_load_dwordx2 v[3:4], v[1:2]
	s_cselect_b32 s0, s10, s3
	s_cselect_b32 s1, s9, s2
	v_mov_b32_e32 v1, s1
	v_mov_b32_e32 v2, s0
	flat_load_dwordx2 v[1:2], v[1:2]
	s_waitcnt vmcnt(0) lgkmcnt(0)
	v_cmp_eq_f32_e32 vcc, 0, v3
	v_cmp_eq_f32_e64 s[0:1], 0, v4
	s_and_b64 s[8:9], vcc, s[0:1]
	s_mov_b64 s[0:1], -1
	s_and_saveexec_b64 s[2:3], s[8:9]
; %bb.1:
	v_cmp_neq_f32_e32 vcc, 1.0, v1
	v_cmp_neq_f32_e64 s[0:1], 0, v2
	s_or_b64 s[0:1], vcc, s[0:1]
	s_orn2_b64 s[0:1], s[0:1], exec
; %bb.2:
	s_or_b64 exec, exec, s[2:3]
	s_and_saveexec_b64 s[2:3], s[0:1]
	s_cbranch_execz .LBB102_39
; %bb.3:
	s_load_dwordx4 s[0:3], s[4:5], 0x18
	s_load_dwordx2 s[8:9], s[4:5], 0x28
	s_waitcnt lgkmcnt(0)
	s_cmp_eq_u64 s[0:1], 0
	s_cbranch_scc1 .LBB102_5
; %bb.4:
	s_ashr_i32 s7, s6, 31
	s_lshl_b64 s[6:7], s[6:7], 2
	s_add_u32 s0, s0, s6
	s_addc_u32 s1, s1, s7
	s_load_dword s0, s[0:1], 0x0
	s_waitcnt lgkmcnt(0)
	s_sub_i32 s6, s0, s14
.LBB102_5:
	s_load_dword s7, s[4:5], 0x4
	s_load_dwordx2 s[12:13], s[4:5], 0x50
	v_mul_u32_u24_e32 v7, 0xb22, v0
	v_mov_b32_e32 v5, 23
	v_mul_lo_u16_sdwa v5, v7, v5 dst_sel:DWORD dst_unused:UNUSED_PAD src0_sel:WORD_1 src1_sel:DWORD
	s_waitcnt lgkmcnt(0)
	s_cmp_eq_u32 s7, 1
	s_cselect_b64 s[0:1], -1, 0
	s_cmp_lg_u32 s7, 1
	s_cselect_b64 s[16:17], -1, 0
	s_ashr_i32 s7, s6, 31
	s_lshl_b64 s[10:11], s[6:7], 3
	s_add_u32 s2, s2, s10
	s_addc_u32 s3, s3, s11
	s_add_u32 s7, s2, 8
	s_addc_u32 s15, s3, 0
	;; [unrolled: 2-line block ×3, first 2 shown]
	s_cmp_eq_u64 s[8:9], 0
	s_cselect_b32 s9, s15, s11
	s_cselect_b32 s8, s7, s10
	s_load_dwordx2 s[18:19], s[8:9], 0x0
	s_load_dwordx2 s[20:21], s[2:3], 0x0
	v_sub_u16_e32 v15, v0, v5
	v_lshlrev_b32_e32 v14, 3, v0
	s_waitcnt lgkmcnt(0)
	v_mov_b32_e32 v5, s18
	v_mov_b32_e32 v6, s19
	v_cmp_ge_i64_e32 vcc, s[20:21], v[5:6]
	v_mov_b32_e32 v6, 0
	v_mov_b32_e32 v5, 0
	s_cbranch_vccnz .LBB102_10
; %bb.6:
	s_load_dwordx4 s[8:11], s[4:5], 0x30
	s_load_dwordx2 s[2:3], s[4:5], 0x40
	s_sub_u32 s4, s18, s14
	s_mov_b32 s7, 0xffff
	s_subb_u32 s5, s19, 0
	s_movk_i32 s15, 0x211
	v_and_b32_sdwa v5, s7, v7 dst_sel:DWORD dst_unused:UNUSED_PAD src0_sel:DWORD src1_sel:WORD_1
	v_subrev_u32_e32 v6, 23, v5
	v_cmp_gt_u32_e32 vcc, s15, v0
	s_sub_u32 s18, s20, s14
	v_cndmask_b32_e32 v5, v6, v5, vcc
	s_subb_u32 s19, s21, 0
	v_cndmask_b32_e64 v7, v15, v5, s[0:1]
	s_mul_i32 s0, s19, 0x1088
	s_mul_hi_u32 s1, s18, 0x1088
	s_add_i32 s1, s1, s0
	s_mul_i32 s0, s18, 0x1088
	s_waitcnt lgkmcnt(0)
	s_add_u32 s0, s10, s0
	s_addc_u32 s1, s11, s1
	v_mov_b32_e32 v5, s1
	v_add_co_u32_e32 v8, vcc, s0, v14
	v_addc_co_u32_e32 v9, vcc, 0, v5, vcc
	s_movk_i32 s0, 0x210
	v_cmp_lt_u32_e32 vcc, s0, v0
	v_cndmask_b32_e64 v16, 0, 1, vcc
	v_mov_b32_e32 v5, s21
	v_add_co_u32_e32 v10, vcc, s20, v16
	v_addc_co_u32_e32 v5, vcc, 0, v5, vcc
	v_subrev_co_u32_e32 v10, vcc, s14, v10
	v_subbrev_co_u32_e32 v11, vcc, 0, v5, vcc
	v_lshlrev_b64 v[10:11], 2, v[10:11]
	v_mov_b32_e32 v6, 0
	v_mov_b32_e32 v5, s9
	v_add_co_u32_e32 v10, vcc, s8, v10
	v_mov_b32_e32 v13, s5
	v_addc_co_u32_e32 v11, vcc, v5, v11, vcc
	v_mov_b32_e32 v12, s4
	v_mov_b32_e32 v5, v6
	s_branch .LBB102_8
.LBB102_7:                              ;   in Loop: Header=BB102_8 Depth=1
	s_or_b64 exec, exec, s[0:1]
	s_add_u32 s18, s18, 1
	s_addc_u32 s19, s19, 0
	v_cmp_lt_i64_e32 vcc, s[18:19], v[12:13]
	v_add_co_u32_e64 v10, s[0:1], 4, v10
	v_addc_co_u32_e64 v11, s[0:1], 0, v11, s[0:1]
	s_cbranch_vccz .LBB102_10
.LBB102_8:                              ; =>This Inner Loop Header: Depth=1
	v_mov_b32_e32 v18, s19
	v_add_co_u32_e32 v17, vcc, s18, v16
	v_addc_co_u32_e32 v18, vcc, 0, v18, vcc
	v_cmp_gt_i64_e32 vcc, s[4:5], v[17:18]
	s_and_saveexec_b64 s[0:1], vcc
	s_cbranch_execz .LBB102_7
; %bb.9:                                ;   in Loop: Header=BB102_8 Depth=1
	global_load_dword v17, v[10:11], off
	v_mov_b32_e32 v21, s3
	global_load_dwordx2 v[19:20], v[8:9], off
	s_waitcnt vmcnt(1)
	v_subrev_u32_e32 v17, s14, v17
	v_mad_u64_u32 v[17:18], s[8:9], v17, 23, v[7:8]
	v_ashrrev_i32_e32 v18, 31, v17
	v_lshlrev_b64 v[17:18], 3, v[17:18]
	v_add_co_u32_e32 v17, vcc, s2, v17
	v_addc_co_u32_e32 v18, vcc, v21, v18, vcc
	global_load_dwordx2 v[17:18], v[17:18], off
	v_add_co_u32_e32 v8, vcc, 0x1088, v8
	v_addc_co_u32_e32 v9, vcc, 0, v9, vcc
	s_waitcnt vmcnt(0)
	v_fmac_f32_e32 v5, v19, v17
	v_fmac_f32_e32 v6, v20, v17
	v_fma_f32 v5, -v20, v18, v5
	v_fmac_f32_e32 v6, v19, v18
	s_branch .LBB102_7
.LBB102_10:
	s_and_b64 vcc, exec, s[16:17]
	ds_write_b64 v14, v[5:6]
	s_waitcnt lgkmcnt(0)
	s_barrier
	s_cbranch_vccz .LBB102_22
; %bb.11:
	v_cmp_gt_u16_e32 vcc, 7, v15
	s_and_saveexec_b64 s[0:1], vcc
	s_cbranch_execz .LBB102_13
; %bb.12:
	ds_read2_b64 v[7:10], v14 offset1:16
	s_waitcnt lgkmcnt(0)
	v_add_f32_e32 v7, v9, v7
	v_add_f32_e32 v8, v10, v8
	ds_write_b64 v14, v[7:8]
.LBB102_13:
	s_or_b64 exec, exec, s[0:1]
	v_cmp_gt_u16_e32 vcc, 8, v15
	s_waitcnt lgkmcnt(0)
	s_barrier
	s_and_saveexec_b64 s[0:1], vcc
	s_cbranch_execz .LBB102_15
; %bb.14:
	ds_read2_b64 v[7:10], v14 offset1:8
	s_waitcnt lgkmcnt(0)
	v_add_f32_e32 v7, v9, v7
	v_add_f32_e32 v8, v10, v8
	ds_write_b64 v14, v[7:8]
.LBB102_15:
	s_or_b64 exec, exec, s[0:1]
	v_cmp_gt_u16_e32 vcc, 4, v15
	s_waitcnt lgkmcnt(0)
	s_barrier
	;; [unrolled: 13-line block ×3, first 2 shown]
	s_and_saveexec_b64 s[0:1], vcc
	s_cbranch_execz .LBB102_19
; %bb.18:
	ds_read2_b64 v[7:10], v14 offset1:2
	s_waitcnt lgkmcnt(0)
	v_add_f32_e32 v7, v9, v7
	v_add_f32_e32 v8, v10, v8
	ds_write_b64 v14, v[7:8]
.LBB102_19:
	s_or_b64 exec, exec, s[0:1]
	v_cmp_gt_u32_e32 vcc, 23, v0
	v_mov_b32_e32 v8, v6
	v_mov_b32_e32 v7, v5
	s_waitcnt lgkmcnt(0)
	s_barrier
	s_and_saveexec_b64 s[0:1], vcc
	s_cbranch_execz .LBB102_21
; %bb.20:
	s_movk_i32 s2, 0xb0
	v_mad_u32_u24 v7, v0, s2, v14
	ds_read2_b64 v[7:10], v7 offset1:1
	s_waitcnt lgkmcnt(0)
	v_add_f32_e32 v7, v9, v7
	v_add_f32_e32 v8, v10, v8
.LBB102_21:
	s_or_b64 exec, exec, s[0:1]
	s_branch .LBB102_34
.LBB102_22:
                                        ; implicit-def: $vgpr8
                                        ; implicit-def: $vgpr7
	s_cbranch_execz .LBB102_34
; %bb.23:
	s_movk_i32 s0, 0xa1
	v_cmp_gt_u32_e32 vcc, s0, v0
	s_and_saveexec_b64 s[0:1], vcc
	s_cbranch_execz .LBB102_25
; %bb.24:
	ds_read_b64 v[7:8], v14 offset:2944
	ds_read_b64 v[9:10], v14
	s_waitcnt lgkmcnt(0)
	v_add_f32_e32 v7, v7, v9
	v_add_f32_e32 v8, v8, v10
	ds_write_b64 v14, v[7:8]
.LBB102_25:
	s_or_b64 exec, exec, s[0:1]
	s_movk_i32 s0, 0xb8
	v_cmp_gt_u32_e32 vcc, s0, v0
	s_waitcnt lgkmcnt(0)
	s_barrier
	s_and_saveexec_b64 s[0:1], vcc
	s_cbranch_execz .LBB102_27
; %bb.26:
	ds_read2_b64 v[7:10], v14 offset1:184
	s_waitcnt lgkmcnt(0)
	v_add_f32_e32 v7, v9, v7
	v_add_f32_e32 v8, v10, v8
	ds_write_b64 v14, v[7:8]
.LBB102_27:
	s_or_b64 exec, exec, s[0:1]
	s_movk_i32 s0, 0x5c
	v_cmp_gt_u32_e32 vcc, s0, v0
	s_waitcnt lgkmcnt(0)
	s_barrier
	s_and_saveexec_b64 s[0:1], vcc
	s_cbranch_execz .LBB102_29
; %bb.28:
	ds_read2_b64 v[7:10], v14 offset1:92
	s_waitcnt lgkmcnt(0)
	v_add_f32_e32 v7, v9, v7
	v_add_f32_e32 v8, v10, v8
	ds_write_b64 v14, v[7:8]
.LBB102_29:
	s_or_b64 exec, exec, s[0:1]
	v_cmp_gt_u32_e32 vcc, 46, v0
	s_waitcnt lgkmcnt(0)
	s_barrier
	s_and_saveexec_b64 s[0:1], vcc
	s_cbranch_execz .LBB102_31
; %bb.30:
	ds_read2_b64 v[7:10], v14 offset1:46
	s_waitcnt lgkmcnt(0)
	v_add_f32_e32 v7, v9, v7
	v_add_f32_e32 v8, v10, v8
	ds_write_b64 v14, v[7:8]
.LBB102_31:
	s_or_b64 exec, exec, s[0:1]
	v_cmp_gt_u32_e32 vcc, 23, v0
	s_waitcnt lgkmcnt(0)
	s_and_saveexec_b64 s[0:1], vcc
	s_cbranch_execz .LBB102_33
; %bb.32:
	ds_read2_b64 v[5:8], v14 offset1:23
	s_waitcnt lgkmcnt(0)
	v_add_f32_e32 v5, v7, v5
	v_add_f32_e32 v6, v8, v6
.LBB102_33:
	s_or_b64 exec, exec, s[0:1]
	v_mov_b32_e32 v8, v6
	v_mov_b32_e32 v7, v5
.LBB102_34:
	v_cmp_gt_u32_e32 vcc, 23, v0
	s_and_b64 exec, exec, vcc
	s_cbranch_execz .LBB102_39
; %bb.35:
	v_cmp_eq_f32_e32 vcc, 0, v1
	v_cmp_eq_f32_e64 s[0:1], 0, v2
	v_mul_f32_e64 v5, v8, -v4
	v_mul_f32_e32 v6, v3, v8
	s_and_b64 s[0:1], vcc, s[0:1]
	v_fmac_f32_e32 v5, v3, v7
	v_fmac_f32_e32 v6, v4, v7
	s_and_saveexec_b64 s[2:3], s[0:1]
	s_xor_b64 s[0:1], exec, s[2:3]
	s_cbranch_execz .LBB102_37
; %bb.36:
	v_mad_u64_u32 v[0:1], s[2:3], s6, 23, v[0:1]
	v_mov_b32_e32 v1, 0
	v_mov_b32_e32 v2, s13
	v_lshlrev_b64 v[0:1], 3, v[0:1]
	v_add_co_u32_e32 v0, vcc, s12, v0
	v_addc_co_u32_e32 v1, vcc, v2, v1, vcc
	global_store_dwordx2 v[0:1], v[5:6], off
                                        ; implicit-def: $vgpr0
                                        ; implicit-def: $vgpr1_vgpr2
                                        ; implicit-def: $vgpr5
.LBB102_37:
	s_andn2_saveexec_b64 s[0:1], s[0:1]
	s_cbranch_execz .LBB102_39
; %bb.38:
	v_mad_u64_u32 v[3:4], s[0:1], s6, 23, v[0:1]
	v_mov_b32_e32 v4, 0
	v_mov_b32_e32 v0, s13
	v_lshlrev_b64 v[3:4], 3, v[3:4]
	v_add_co_u32_e32 v3, vcc, s12, v3
	v_addc_co_u32_e32 v4, vcc, v0, v4, vcc
	global_load_dwordx2 v[7:8], v[3:4], off
	s_waitcnt vmcnt(0)
	v_fmac_f32_e32 v5, v1, v7
	v_fmac_f32_e32 v6, v2, v7
	v_fma_f32 v5, -v2, v8, v5
	v_fmac_f32_e32 v6, v1, v8
	global_store_dwordx2 v[3:4], v[5:6], off
.LBB102_39:
	s_endpgm
	.section	.rodata,"a",@progbits
	.p2align	6, 0x0
	.amdhsa_kernel _ZN9rocsparseL20bsrxmvn_17_32_kernelILj23E21rocsparse_complex_numIfEliS2_S2_S2_EEvT2_20rocsparse_direction_NS_24const_host_device_scalarIT0_EES3_PKS3_PKT1_SC_S9_PKT3_PKT4_S7_PT5_21rocsparse_index_base_b
		.amdhsa_group_segment_fixed_size 4232
		.amdhsa_private_segment_fixed_size 0
		.amdhsa_kernarg_size 96
		.amdhsa_user_sgpr_count 6
		.amdhsa_user_sgpr_private_segment_buffer 1
		.amdhsa_user_sgpr_dispatch_ptr 0
		.amdhsa_user_sgpr_queue_ptr 0
		.amdhsa_user_sgpr_kernarg_segment_ptr 1
		.amdhsa_user_sgpr_dispatch_id 0
		.amdhsa_user_sgpr_flat_scratch_init 0
		.amdhsa_user_sgpr_private_segment_size 0
		.amdhsa_uses_dynamic_stack 0
		.amdhsa_system_sgpr_private_segment_wavefront_offset 0
		.amdhsa_system_sgpr_workgroup_id_x 1
		.amdhsa_system_sgpr_workgroup_id_y 0
		.amdhsa_system_sgpr_workgroup_id_z 0
		.amdhsa_system_sgpr_workgroup_info 0
		.amdhsa_system_vgpr_workitem_id 0
		.amdhsa_next_free_vgpr 25
		.amdhsa_next_free_sgpr 61
		.amdhsa_reserve_vcc 1
		.amdhsa_reserve_flat_scratch 0
		.amdhsa_float_round_mode_32 0
		.amdhsa_float_round_mode_16_64 0
		.amdhsa_float_denorm_mode_32 3
		.amdhsa_float_denorm_mode_16_64 3
		.amdhsa_dx10_clamp 1
		.amdhsa_ieee_mode 1
		.amdhsa_fp16_overflow 0
		.amdhsa_exception_fp_ieee_invalid_op 0
		.amdhsa_exception_fp_denorm_src 0
		.amdhsa_exception_fp_ieee_div_zero 0
		.amdhsa_exception_fp_ieee_overflow 0
		.amdhsa_exception_fp_ieee_underflow 0
		.amdhsa_exception_fp_ieee_inexact 0
		.amdhsa_exception_int_div_zero 0
	.end_amdhsa_kernel
	.section	.text._ZN9rocsparseL20bsrxmvn_17_32_kernelILj23E21rocsparse_complex_numIfEliS2_S2_S2_EEvT2_20rocsparse_direction_NS_24const_host_device_scalarIT0_EES3_PKS3_PKT1_SC_S9_PKT3_PKT4_S7_PT5_21rocsparse_index_base_b,"axG",@progbits,_ZN9rocsparseL20bsrxmvn_17_32_kernelILj23E21rocsparse_complex_numIfEliS2_S2_S2_EEvT2_20rocsparse_direction_NS_24const_host_device_scalarIT0_EES3_PKS3_PKT1_SC_S9_PKT3_PKT4_S7_PT5_21rocsparse_index_base_b,comdat
.Lfunc_end102:
	.size	_ZN9rocsparseL20bsrxmvn_17_32_kernelILj23E21rocsparse_complex_numIfEliS2_S2_S2_EEvT2_20rocsparse_direction_NS_24const_host_device_scalarIT0_EES3_PKS3_PKT1_SC_S9_PKT3_PKT4_S7_PT5_21rocsparse_index_base_b, .Lfunc_end102-_ZN9rocsparseL20bsrxmvn_17_32_kernelILj23E21rocsparse_complex_numIfEliS2_S2_S2_EEvT2_20rocsparse_direction_NS_24const_host_device_scalarIT0_EES3_PKS3_PKT1_SC_S9_PKT3_PKT4_S7_PT5_21rocsparse_index_base_b
                                        ; -- End function
	.set _ZN9rocsparseL20bsrxmvn_17_32_kernelILj23E21rocsparse_complex_numIfEliS2_S2_S2_EEvT2_20rocsparse_direction_NS_24const_host_device_scalarIT0_EES3_PKS3_PKT1_SC_S9_PKT3_PKT4_S7_PT5_21rocsparse_index_base_b.num_vgpr, 22
	.set _ZN9rocsparseL20bsrxmvn_17_32_kernelILj23E21rocsparse_complex_numIfEliS2_S2_S2_EEvT2_20rocsparse_direction_NS_24const_host_device_scalarIT0_EES3_PKS3_PKT1_SC_S9_PKT3_PKT4_S7_PT5_21rocsparse_index_base_b.num_agpr, 0
	.set _ZN9rocsparseL20bsrxmvn_17_32_kernelILj23E21rocsparse_complex_numIfEliS2_S2_S2_EEvT2_20rocsparse_direction_NS_24const_host_device_scalarIT0_EES3_PKS3_PKT1_SC_S9_PKT3_PKT4_S7_PT5_21rocsparse_index_base_b.numbered_sgpr, 22
	.set _ZN9rocsparseL20bsrxmvn_17_32_kernelILj23E21rocsparse_complex_numIfEliS2_S2_S2_EEvT2_20rocsparse_direction_NS_24const_host_device_scalarIT0_EES3_PKS3_PKT1_SC_S9_PKT3_PKT4_S7_PT5_21rocsparse_index_base_b.num_named_barrier, 0
	.set _ZN9rocsparseL20bsrxmvn_17_32_kernelILj23E21rocsparse_complex_numIfEliS2_S2_S2_EEvT2_20rocsparse_direction_NS_24const_host_device_scalarIT0_EES3_PKS3_PKT1_SC_S9_PKT3_PKT4_S7_PT5_21rocsparse_index_base_b.private_seg_size, 0
	.set _ZN9rocsparseL20bsrxmvn_17_32_kernelILj23E21rocsparse_complex_numIfEliS2_S2_S2_EEvT2_20rocsparse_direction_NS_24const_host_device_scalarIT0_EES3_PKS3_PKT1_SC_S9_PKT3_PKT4_S7_PT5_21rocsparse_index_base_b.uses_vcc, 1
	.set _ZN9rocsparseL20bsrxmvn_17_32_kernelILj23E21rocsparse_complex_numIfEliS2_S2_S2_EEvT2_20rocsparse_direction_NS_24const_host_device_scalarIT0_EES3_PKS3_PKT1_SC_S9_PKT3_PKT4_S7_PT5_21rocsparse_index_base_b.uses_flat_scratch, 0
	.set _ZN9rocsparseL20bsrxmvn_17_32_kernelILj23E21rocsparse_complex_numIfEliS2_S2_S2_EEvT2_20rocsparse_direction_NS_24const_host_device_scalarIT0_EES3_PKS3_PKT1_SC_S9_PKT3_PKT4_S7_PT5_21rocsparse_index_base_b.has_dyn_sized_stack, 0
	.set _ZN9rocsparseL20bsrxmvn_17_32_kernelILj23E21rocsparse_complex_numIfEliS2_S2_S2_EEvT2_20rocsparse_direction_NS_24const_host_device_scalarIT0_EES3_PKS3_PKT1_SC_S9_PKT3_PKT4_S7_PT5_21rocsparse_index_base_b.has_recursion, 0
	.set _ZN9rocsparseL20bsrxmvn_17_32_kernelILj23E21rocsparse_complex_numIfEliS2_S2_S2_EEvT2_20rocsparse_direction_NS_24const_host_device_scalarIT0_EES3_PKS3_PKT1_SC_S9_PKT3_PKT4_S7_PT5_21rocsparse_index_base_b.has_indirect_call, 0
	.section	.AMDGPU.csdata,"",@progbits
; Kernel info:
; codeLenInByte = 1484
; TotalNumSgprs: 26
; NumVgprs: 22
; ScratchSize: 0
; MemoryBound: 0
; FloatMode: 240
; IeeeMode: 1
; LDSByteSize: 4232 bytes/workgroup (compile time only)
; SGPRBlocks: 8
; VGPRBlocks: 6
; NumSGPRsForWavesPerEU: 65
; NumVGPRsForWavesPerEU: 25
; Occupancy: 9
; WaveLimiterHint : 1
; COMPUTE_PGM_RSRC2:SCRATCH_EN: 0
; COMPUTE_PGM_RSRC2:USER_SGPR: 6
; COMPUTE_PGM_RSRC2:TRAP_HANDLER: 0
; COMPUTE_PGM_RSRC2:TGID_X_EN: 1
; COMPUTE_PGM_RSRC2:TGID_Y_EN: 0
; COMPUTE_PGM_RSRC2:TGID_Z_EN: 0
; COMPUTE_PGM_RSRC2:TIDIG_COMP_CNT: 0
	.section	.text._ZN9rocsparseL20bsrxmvn_17_32_kernelILj24E21rocsparse_complex_numIfEliS2_S2_S2_EEvT2_20rocsparse_direction_NS_24const_host_device_scalarIT0_EES3_PKS3_PKT1_SC_S9_PKT3_PKT4_S7_PT5_21rocsparse_index_base_b,"axG",@progbits,_ZN9rocsparseL20bsrxmvn_17_32_kernelILj24E21rocsparse_complex_numIfEliS2_S2_S2_EEvT2_20rocsparse_direction_NS_24const_host_device_scalarIT0_EES3_PKS3_PKT1_SC_S9_PKT3_PKT4_S7_PT5_21rocsparse_index_base_b,comdat
	.globl	_ZN9rocsparseL20bsrxmvn_17_32_kernelILj24E21rocsparse_complex_numIfEliS2_S2_S2_EEvT2_20rocsparse_direction_NS_24const_host_device_scalarIT0_EES3_PKS3_PKT1_SC_S9_PKT3_PKT4_S7_PT5_21rocsparse_index_base_b ; -- Begin function _ZN9rocsparseL20bsrxmvn_17_32_kernelILj24E21rocsparse_complex_numIfEliS2_S2_S2_EEvT2_20rocsparse_direction_NS_24const_host_device_scalarIT0_EES3_PKS3_PKT1_SC_S9_PKT3_PKT4_S7_PT5_21rocsparse_index_base_b
	.p2align	8
	.type	_ZN9rocsparseL20bsrxmvn_17_32_kernelILj24E21rocsparse_complex_numIfEliS2_S2_S2_EEvT2_20rocsparse_direction_NS_24const_host_device_scalarIT0_EES3_PKS3_PKT1_SC_S9_PKT3_PKT4_S7_PT5_21rocsparse_index_base_b,@function
_ZN9rocsparseL20bsrxmvn_17_32_kernelILj24E21rocsparse_complex_numIfEliS2_S2_S2_EEvT2_20rocsparse_direction_NS_24const_host_device_scalarIT0_EES3_PKS3_PKT1_SC_S9_PKT3_PKT4_S7_PT5_21rocsparse_index_base_b: ; @_ZN9rocsparseL20bsrxmvn_17_32_kernelILj24E21rocsparse_complex_numIfEliS2_S2_S2_EEvT2_20rocsparse_direction_NS_24const_host_device_scalarIT0_EES3_PKS3_PKT1_SC_S9_PKT3_PKT4_S7_PT5_21rocsparse_index_base_b
; %bb.0:
	s_load_dwordx2 s[0:1], s[4:5], 0x8
	s_load_dwordx2 s[14:15], s[4:5], 0x58
	s_add_u32 s7, s4, 8
	s_addc_u32 s8, s5, 0
	s_add_u32 s9, s4, 0x48
	s_load_dwordx2 s[2:3], s[4:5], 0x48
	s_addc_u32 s10, s5, 0
	s_waitcnt lgkmcnt(0)
	s_bitcmp1_b32 s15, 0
	s_cselect_b32 s1, s8, s1
	s_cselect_b32 s0, s7, s0
	v_mov_b32_e32 v1, s0
	v_mov_b32_e32 v2, s1
	flat_load_dwordx2 v[3:4], v[1:2]
	s_cselect_b32 s0, s10, s3
	s_cselect_b32 s1, s9, s2
	v_mov_b32_e32 v1, s1
	v_mov_b32_e32 v2, s0
	flat_load_dwordx2 v[1:2], v[1:2]
	s_waitcnt vmcnt(0) lgkmcnt(0)
	v_cmp_eq_f32_e32 vcc, 0, v3
	v_cmp_eq_f32_e64 s[0:1], 0, v4
	s_and_b64 s[8:9], vcc, s[0:1]
	s_mov_b64 s[0:1], -1
	s_and_saveexec_b64 s[2:3], s[8:9]
; %bb.1:
	v_cmp_neq_f32_e32 vcc, 1.0, v1
	v_cmp_neq_f32_e64 s[0:1], 0, v2
	s_or_b64 s[0:1], vcc, s[0:1]
	s_orn2_b64 s[0:1], s[0:1], exec
; %bb.2:
	s_or_b64 exec, exec, s[2:3]
	s_and_saveexec_b64 s[2:3], s[0:1]
	s_cbranch_execz .LBB103_39
; %bb.3:
	s_load_dwordx4 s[0:3], s[4:5], 0x18
	s_load_dwordx2 s[8:9], s[4:5], 0x28
	s_waitcnt lgkmcnt(0)
	s_cmp_eq_u64 s[0:1], 0
	s_cbranch_scc1 .LBB103_5
; %bb.4:
	s_ashr_i32 s7, s6, 31
	s_lshl_b64 s[6:7], s[6:7], 2
	s_add_u32 s0, s0, s6
	s_addc_u32 s1, s1, s7
	s_load_dword s0, s[0:1], 0x0
	s_waitcnt lgkmcnt(0)
	s_sub_i32 s6, s0, s14
.LBB103_5:
	s_load_dword s7, s[4:5], 0x4
	s_load_dwordx2 s[12:13], s[4:5], 0x50
	v_mul_u32_u24_e32 v7, 0xaab, v0
	v_mov_b32_e32 v5, 24
	v_mul_lo_u16_sdwa v5, v7, v5 dst_sel:DWORD dst_unused:UNUSED_PAD src0_sel:WORD_1 src1_sel:DWORD
	s_waitcnt lgkmcnt(0)
	s_cmp_eq_u32 s7, 1
	s_cselect_b64 s[0:1], -1, 0
	s_cmp_lg_u32 s7, 1
	s_cselect_b64 s[16:17], -1, 0
	s_ashr_i32 s7, s6, 31
	s_lshl_b64 s[10:11], s[6:7], 3
	s_add_u32 s2, s2, s10
	s_addc_u32 s3, s3, s11
	s_add_u32 s7, s2, 8
	s_addc_u32 s15, s3, 0
	;; [unrolled: 2-line block ×3, first 2 shown]
	s_cmp_eq_u64 s[8:9], 0
	s_cselect_b32 s9, s15, s11
	s_cselect_b32 s8, s7, s10
	s_load_dwordx2 s[18:19], s[8:9], 0x0
	s_load_dwordx2 s[20:21], s[2:3], 0x0
	v_sub_u16_e32 v15, v0, v5
	v_lshlrev_b32_e32 v14, 3, v0
	s_waitcnt lgkmcnt(0)
	v_mov_b32_e32 v5, s18
	v_mov_b32_e32 v6, s19
	v_cmp_ge_i64_e32 vcc, s[20:21], v[5:6]
	v_mov_b32_e32 v6, 0
	v_mov_b32_e32 v5, 0
	s_cbranch_vccnz .LBB103_10
; %bb.6:
	s_load_dwordx4 s[8:11], s[4:5], 0x30
	s_load_dwordx2 s[2:3], s[4:5], 0x40
	s_sub_u32 s4, s18, s14
	s_mov_b32 s7, 0xffff
	s_subb_u32 s5, s19, 0
	s_movk_i32 s15, 0x240
	v_and_b32_sdwa v5, s7, v7 dst_sel:DWORD dst_unused:UNUSED_PAD src0_sel:DWORD src1_sel:WORD_1
	v_subrev_u32_e32 v6, 24, v5
	v_cmp_gt_u32_e32 vcc, s15, v0
	s_sub_u32 s18, s20, s14
	v_cndmask_b32_e32 v5, v6, v5, vcc
	s_subb_u32 s19, s21, 0
	v_cndmask_b32_e64 v7, v15, v5, s[0:1]
	s_mul_i32 s0, s19, 0x1200
	s_mul_hi_u32 s1, s18, 0x1200
	s_add_i32 s1, s1, s0
	s_mul_i32 s0, s18, 0x1200
	s_waitcnt lgkmcnt(0)
	s_add_u32 s0, s10, s0
	s_addc_u32 s1, s11, s1
	v_mov_b32_e32 v5, s1
	v_add_co_u32_e32 v8, vcc, s0, v14
	v_addc_co_u32_e32 v9, vcc, 0, v5, vcc
	s_movk_i32 s0, 0x23f
	v_cmp_lt_u32_e32 vcc, s0, v0
	v_cndmask_b32_e64 v16, 0, 1, vcc
	v_mov_b32_e32 v5, s21
	v_add_co_u32_e32 v10, vcc, s20, v16
	v_addc_co_u32_e32 v5, vcc, 0, v5, vcc
	v_subrev_co_u32_e32 v10, vcc, s14, v10
	v_subbrev_co_u32_e32 v11, vcc, 0, v5, vcc
	v_lshlrev_b64 v[10:11], 2, v[10:11]
	v_mov_b32_e32 v6, 0
	v_mov_b32_e32 v5, s9
	v_add_co_u32_e32 v10, vcc, s8, v10
	v_mov_b32_e32 v13, s5
	v_addc_co_u32_e32 v11, vcc, v5, v11, vcc
	v_mov_b32_e32 v12, s4
	v_mov_b32_e32 v5, v6
	s_branch .LBB103_8
.LBB103_7:                              ;   in Loop: Header=BB103_8 Depth=1
	s_or_b64 exec, exec, s[0:1]
	s_add_u32 s18, s18, 1
	s_addc_u32 s19, s19, 0
	v_cmp_lt_i64_e32 vcc, s[18:19], v[12:13]
	v_add_co_u32_e64 v10, s[0:1], 4, v10
	v_addc_co_u32_e64 v11, s[0:1], 0, v11, s[0:1]
	s_cbranch_vccz .LBB103_10
.LBB103_8:                              ; =>This Inner Loop Header: Depth=1
	v_mov_b32_e32 v18, s19
	v_add_co_u32_e32 v17, vcc, s18, v16
	v_addc_co_u32_e32 v18, vcc, 0, v18, vcc
	v_cmp_gt_i64_e32 vcc, s[4:5], v[17:18]
	s_and_saveexec_b64 s[0:1], vcc
	s_cbranch_execz .LBB103_7
; %bb.9:                                ;   in Loop: Header=BB103_8 Depth=1
	global_load_dword v17, v[10:11], off
	v_mov_b32_e32 v21, s3
	global_load_dwordx2 v[19:20], v[8:9], off
	s_waitcnt vmcnt(1)
	v_subrev_u32_e32 v17, s14, v17
	v_mad_u64_u32 v[17:18], s[8:9], v17, 24, v[7:8]
	v_ashrrev_i32_e32 v18, 31, v17
	v_lshlrev_b64 v[17:18], 3, v[17:18]
	v_add_co_u32_e32 v17, vcc, s2, v17
	v_addc_co_u32_e32 v18, vcc, v21, v18, vcc
	global_load_dwordx2 v[17:18], v[17:18], off
	v_add_co_u32_e32 v8, vcc, 0x1200, v8
	v_addc_co_u32_e32 v9, vcc, 0, v9, vcc
	s_waitcnt vmcnt(0)
	v_fmac_f32_e32 v5, v19, v17
	v_fmac_f32_e32 v6, v20, v17
	v_fma_f32 v5, -v20, v18, v5
	v_fmac_f32_e32 v6, v19, v18
	s_branch .LBB103_7
.LBB103_10:
	s_and_b64 vcc, exec, s[16:17]
	ds_write_b64 v14, v[5:6]
	s_waitcnt lgkmcnt(0)
	s_barrier
	s_cbranch_vccz .LBB103_22
; %bb.11:
	v_cmp_gt_u16_e32 vcc, 8, v15
	s_and_saveexec_b64 s[0:1], vcc
	s_cbranch_execz .LBB103_13
; %bb.12:
	ds_read2_b64 v[7:10], v14 offset1:16
	s_waitcnt lgkmcnt(0)
	v_add_f32_e32 v7, v9, v7
	v_add_f32_e32 v8, v10, v8
	ds_write_b64 v14, v[7:8]
.LBB103_13:
	s_or_b64 exec, exec, s[0:1]
	s_waitcnt lgkmcnt(0)
	s_barrier
	s_and_saveexec_b64 s[0:1], vcc
	s_cbranch_execz .LBB103_15
; %bb.14:
	ds_read2_b64 v[7:10], v14 offset1:8
	s_waitcnt lgkmcnt(0)
	v_add_f32_e32 v7, v9, v7
	v_add_f32_e32 v8, v10, v8
	ds_write_b64 v14, v[7:8]
.LBB103_15:
	s_or_b64 exec, exec, s[0:1]
	v_cmp_gt_u16_e32 vcc, 4, v15
	s_waitcnt lgkmcnt(0)
	s_barrier
	s_and_saveexec_b64 s[0:1], vcc
	s_cbranch_execz .LBB103_17
; %bb.16:
	ds_read2_b64 v[7:10], v14 offset1:4
	s_waitcnt lgkmcnt(0)
	v_add_f32_e32 v7, v9, v7
	v_add_f32_e32 v8, v10, v8
	ds_write_b64 v14, v[7:8]
.LBB103_17:
	s_or_b64 exec, exec, s[0:1]
	v_cmp_gt_u16_e32 vcc, 2, v15
	s_waitcnt lgkmcnt(0)
	s_barrier
	s_and_saveexec_b64 s[0:1], vcc
	s_cbranch_execz .LBB103_19
; %bb.18:
	ds_read2_b64 v[7:10], v14 offset1:2
	s_waitcnt lgkmcnt(0)
	v_add_f32_e32 v7, v9, v7
	v_add_f32_e32 v8, v10, v8
	ds_write_b64 v14, v[7:8]
.LBB103_19:
	s_or_b64 exec, exec, s[0:1]
	v_cmp_gt_u32_e32 vcc, 24, v0
	v_mov_b32_e32 v8, v6
	v_mov_b32_e32 v7, v5
	s_waitcnt lgkmcnt(0)
	s_barrier
	s_and_saveexec_b64 s[0:1], vcc
	s_cbranch_execz .LBB103_21
; %bb.20:
	s_movk_i32 s2, 0xb8
	v_mad_u32_u24 v7, v0, s2, v14
	ds_read2_b64 v[7:10], v7 offset1:1
	s_waitcnt lgkmcnt(0)
	v_add_f32_e32 v7, v9, v7
	v_add_f32_e32 v8, v10, v8
.LBB103_21:
	s_or_b64 exec, exec, s[0:1]
	s_branch .LBB103_34
.LBB103_22:
                                        ; implicit-def: $vgpr8
                                        ; implicit-def: $vgpr7
	s_cbranch_execz .LBB103_34
; %bb.23:
	s_movk_i32 s0, 0xc0
	v_cmp_gt_u32_e32 vcc, s0, v0
	s_and_saveexec_b64 s[0:1], vcc
	s_cbranch_execz .LBB103_25
; %bb.24:
	ds_read2st64_b64 v[7:10], v14 offset1:6
	s_waitcnt lgkmcnt(0)
	v_add_f32_e32 v7, v9, v7
	v_add_f32_e32 v8, v10, v8
	ds_write_b64 v14, v[7:8]
.LBB103_25:
	s_or_b64 exec, exec, s[0:1]
	s_waitcnt lgkmcnt(0)
	s_barrier
	s_and_saveexec_b64 s[0:1], vcc
	s_cbranch_execz .LBB103_27
; %bb.26:
	ds_read2st64_b64 v[7:10], v14 offset1:3
	s_waitcnt lgkmcnt(0)
	v_add_f32_e32 v7, v9, v7
	v_add_f32_e32 v8, v10, v8
	ds_write_b64 v14, v[7:8]
.LBB103_27:
	s_or_b64 exec, exec, s[0:1]
	s_movk_i32 s0, 0x60
	v_cmp_gt_u32_e32 vcc, s0, v0
	s_waitcnt lgkmcnt(0)
	s_barrier
	s_and_saveexec_b64 s[0:1], vcc
	s_cbranch_execz .LBB103_29
; %bb.28:
	ds_read2_b64 v[7:10], v14 offset1:96
	s_waitcnt lgkmcnt(0)
	v_add_f32_e32 v7, v9, v7
	v_add_f32_e32 v8, v10, v8
	ds_write_b64 v14, v[7:8]
.LBB103_29:
	s_or_b64 exec, exec, s[0:1]
	v_cmp_gt_u32_e32 vcc, 48, v0
	s_waitcnt lgkmcnt(0)
	s_barrier
	s_and_saveexec_b64 s[0:1], vcc
	s_cbranch_execz .LBB103_31
; %bb.30:
	ds_read2_b64 v[7:10], v14 offset1:48
	s_waitcnt lgkmcnt(0)
	v_add_f32_e32 v7, v9, v7
	v_add_f32_e32 v8, v10, v8
	ds_write_b64 v14, v[7:8]
.LBB103_31:
	s_or_b64 exec, exec, s[0:1]
	v_cmp_gt_u32_e32 vcc, 24, v0
	s_waitcnt lgkmcnt(0)
	s_and_saveexec_b64 s[0:1], vcc
	s_cbranch_execz .LBB103_33
; %bb.32:
	ds_read2_b64 v[5:8], v14 offset1:24
	s_waitcnt lgkmcnt(0)
	v_add_f32_e32 v5, v7, v5
	v_add_f32_e32 v6, v8, v6
.LBB103_33:
	s_or_b64 exec, exec, s[0:1]
	v_mov_b32_e32 v8, v6
	v_mov_b32_e32 v7, v5
.LBB103_34:
	v_cmp_gt_u32_e32 vcc, 24, v0
	s_and_b64 exec, exec, vcc
	s_cbranch_execz .LBB103_39
; %bb.35:
	v_cmp_eq_f32_e32 vcc, 0, v1
	v_cmp_eq_f32_e64 s[0:1], 0, v2
	v_mul_f32_e64 v5, v8, -v4
	v_mul_f32_e32 v6, v3, v8
	s_and_b64 s[0:1], vcc, s[0:1]
	v_fmac_f32_e32 v5, v3, v7
	v_fmac_f32_e32 v6, v4, v7
	s_and_saveexec_b64 s[2:3], s[0:1]
	s_xor_b64 s[0:1], exec, s[2:3]
	s_cbranch_execz .LBB103_37
; %bb.36:
	v_mad_u64_u32 v[0:1], s[2:3], s6, 24, v[0:1]
	v_mov_b32_e32 v1, 0
	v_mov_b32_e32 v2, s13
	v_lshlrev_b64 v[0:1], 3, v[0:1]
	v_add_co_u32_e32 v0, vcc, s12, v0
	v_addc_co_u32_e32 v1, vcc, v2, v1, vcc
	global_store_dwordx2 v[0:1], v[5:6], off
                                        ; implicit-def: $vgpr0
                                        ; implicit-def: $vgpr1_vgpr2
                                        ; implicit-def: $vgpr5
.LBB103_37:
	s_andn2_saveexec_b64 s[0:1], s[0:1]
	s_cbranch_execz .LBB103_39
; %bb.38:
	v_mad_u64_u32 v[3:4], s[0:1], s6, 24, v[0:1]
	v_mov_b32_e32 v4, 0
	v_mov_b32_e32 v0, s13
	v_lshlrev_b64 v[3:4], 3, v[3:4]
	v_add_co_u32_e32 v3, vcc, s12, v3
	v_addc_co_u32_e32 v4, vcc, v0, v4, vcc
	global_load_dwordx2 v[7:8], v[3:4], off
	s_waitcnt vmcnt(0)
	v_fmac_f32_e32 v5, v1, v7
	v_fmac_f32_e32 v6, v2, v7
	v_fma_f32 v5, -v2, v8, v5
	v_fmac_f32_e32 v6, v1, v8
	global_store_dwordx2 v[3:4], v[5:6], off
.LBB103_39:
	s_endpgm
	.section	.rodata,"a",@progbits
	.p2align	6, 0x0
	.amdhsa_kernel _ZN9rocsparseL20bsrxmvn_17_32_kernelILj24E21rocsparse_complex_numIfEliS2_S2_S2_EEvT2_20rocsparse_direction_NS_24const_host_device_scalarIT0_EES3_PKS3_PKT1_SC_S9_PKT3_PKT4_S7_PT5_21rocsparse_index_base_b
		.amdhsa_group_segment_fixed_size 4608
		.amdhsa_private_segment_fixed_size 0
		.amdhsa_kernarg_size 96
		.amdhsa_user_sgpr_count 6
		.amdhsa_user_sgpr_private_segment_buffer 1
		.amdhsa_user_sgpr_dispatch_ptr 0
		.amdhsa_user_sgpr_queue_ptr 0
		.amdhsa_user_sgpr_kernarg_segment_ptr 1
		.amdhsa_user_sgpr_dispatch_id 0
		.amdhsa_user_sgpr_flat_scratch_init 0
		.amdhsa_user_sgpr_private_segment_size 0
		.amdhsa_uses_dynamic_stack 0
		.amdhsa_system_sgpr_private_segment_wavefront_offset 0
		.amdhsa_system_sgpr_workgroup_id_x 1
		.amdhsa_system_sgpr_workgroup_id_y 0
		.amdhsa_system_sgpr_workgroup_id_z 0
		.amdhsa_system_sgpr_workgroup_info 0
		.amdhsa_system_vgpr_workitem_id 0
		.amdhsa_next_free_vgpr 25
		.amdhsa_next_free_sgpr 61
		.amdhsa_reserve_vcc 1
		.amdhsa_reserve_flat_scratch 0
		.amdhsa_float_round_mode_32 0
		.amdhsa_float_round_mode_16_64 0
		.amdhsa_float_denorm_mode_32 3
		.amdhsa_float_denorm_mode_16_64 3
		.amdhsa_dx10_clamp 1
		.amdhsa_ieee_mode 1
		.amdhsa_fp16_overflow 0
		.amdhsa_exception_fp_ieee_invalid_op 0
		.amdhsa_exception_fp_denorm_src 0
		.amdhsa_exception_fp_ieee_div_zero 0
		.amdhsa_exception_fp_ieee_overflow 0
		.amdhsa_exception_fp_ieee_underflow 0
		.amdhsa_exception_fp_ieee_inexact 0
		.amdhsa_exception_int_div_zero 0
	.end_amdhsa_kernel
	.section	.text._ZN9rocsparseL20bsrxmvn_17_32_kernelILj24E21rocsparse_complex_numIfEliS2_S2_S2_EEvT2_20rocsparse_direction_NS_24const_host_device_scalarIT0_EES3_PKS3_PKT1_SC_S9_PKT3_PKT4_S7_PT5_21rocsparse_index_base_b,"axG",@progbits,_ZN9rocsparseL20bsrxmvn_17_32_kernelILj24E21rocsparse_complex_numIfEliS2_S2_S2_EEvT2_20rocsparse_direction_NS_24const_host_device_scalarIT0_EES3_PKS3_PKT1_SC_S9_PKT3_PKT4_S7_PT5_21rocsparse_index_base_b,comdat
.Lfunc_end103:
	.size	_ZN9rocsparseL20bsrxmvn_17_32_kernelILj24E21rocsparse_complex_numIfEliS2_S2_S2_EEvT2_20rocsparse_direction_NS_24const_host_device_scalarIT0_EES3_PKS3_PKT1_SC_S9_PKT3_PKT4_S7_PT5_21rocsparse_index_base_b, .Lfunc_end103-_ZN9rocsparseL20bsrxmvn_17_32_kernelILj24E21rocsparse_complex_numIfEliS2_S2_S2_EEvT2_20rocsparse_direction_NS_24const_host_device_scalarIT0_EES3_PKS3_PKT1_SC_S9_PKT3_PKT4_S7_PT5_21rocsparse_index_base_b
                                        ; -- End function
	.set _ZN9rocsparseL20bsrxmvn_17_32_kernelILj24E21rocsparse_complex_numIfEliS2_S2_S2_EEvT2_20rocsparse_direction_NS_24const_host_device_scalarIT0_EES3_PKS3_PKT1_SC_S9_PKT3_PKT4_S7_PT5_21rocsparse_index_base_b.num_vgpr, 22
	.set _ZN9rocsparseL20bsrxmvn_17_32_kernelILj24E21rocsparse_complex_numIfEliS2_S2_S2_EEvT2_20rocsparse_direction_NS_24const_host_device_scalarIT0_EES3_PKS3_PKT1_SC_S9_PKT3_PKT4_S7_PT5_21rocsparse_index_base_b.num_agpr, 0
	.set _ZN9rocsparseL20bsrxmvn_17_32_kernelILj24E21rocsparse_complex_numIfEliS2_S2_S2_EEvT2_20rocsparse_direction_NS_24const_host_device_scalarIT0_EES3_PKS3_PKT1_SC_S9_PKT3_PKT4_S7_PT5_21rocsparse_index_base_b.numbered_sgpr, 22
	.set _ZN9rocsparseL20bsrxmvn_17_32_kernelILj24E21rocsparse_complex_numIfEliS2_S2_S2_EEvT2_20rocsparse_direction_NS_24const_host_device_scalarIT0_EES3_PKS3_PKT1_SC_S9_PKT3_PKT4_S7_PT5_21rocsparse_index_base_b.num_named_barrier, 0
	.set _ZN9rocsparseL20bsrxmvn_17_32_kernelILj24E21rocsparse_complex_numIfEliS2_S2_S2_EEvT2_20rocsparse_direction_NS_24const_host_device_scalarIT0_EES3_PKS3_PKT1_SC_S9_PKT3_PKT4_S7_PT5_21rocsparse_index_base_b.private_seg_size, 0
	.set _ZN9rocsparseL20bsrxmvn_17_32_kernelILj24E21rocsparse_complex_numIfEliS2_S2_S2_EEvT2_20rocsparse_direction_NS_24const_host_device_scalarIT0_EES3_PKS3_PKT1_SC_S9_PKT3_PKT4_S7_PT5_21rocsparse_index_base_b.uses_vcc, 1
	.set _ZN9rocsparseL20bsrxmvn_17_32_kernelILj24E21rocsparse_complex_numIfEliS2_S2_S2_EEvT2_20rocsparse_direction_NS_24const_host_device_scalarIT0_EES3_PKS3_PKT1_SC_S9_PKT3_PKT4_S7_PT5_21rocsparse_index_base_b.uses_flat_scratch, 0
	.set _ZN9rocsparseL20bsrxmvn_17_32_kernelILj24E21rocsparse_complex_numIfEliS2_S2_S2_EEvT2_20rocsparse_direction_NS_24const_host_device_scalarIT0_EES3_PKS3_PKT1_SC_S9_PKT3_PKT4_S7_PT5_21rocsparse_index_base_b.has_dyn_sized_stack, 0
	.set _ZN9rocsparseL20bsrxmvn_17_32_kernelILj24E21rocsparse_complex_numIfEliS2_S2_S2_EEvT2_20rocsparse_direction_NS_24const_host_device_scalarIT0_EES3_PKS3_PKT1_SC_S9_PKT3_PKT4_S7_PT5_21rocsparse_index_base_b.has_recursion, 0
	.set _ZN9rocsparseL20bsrxmvn_17_32_kernelILj24E21rocsparse_complex_numIfEliS2_S2_S2_EEvT2_20rocsparse_direction_NS_24const_host_device_scalarIT0_EES3_PKS3_PKT1_SC_S9_PKT3_PKT4_S7_PT5_21rocsparse_index_base_b.has_indirect_call, 0
	.section	.AMDGPU.csdata,"",@progbits
; Kernel info:
; codeLenInByte = 1464
; TotalNumSgprs: 26
; NumVgprs: 22
; ScratchSize: 0
; MemoryBound: 0
; FloatMode: 240
; IeeeMode: 1
; LDSByteSize: 4608 bytes/workgroup (compile time only)
; SGPRBlocks: 8
; VGPRBlocks: 6
; NumSGPRsForWavesPerEU: 65
; NumVGPRsForWavesPerEU: 25
; Occupancy: 9
; WaveLimiterHint : 1
; COMPUTE_PGM_RSRC2:SCRATCH_EN: 0
; COMPUTE_PGM_RSRC2:USER_SGPR: 6
; COMPUTE_PGM_RSRC2:TRAP_HANDLER: 0
; COMPUTE_PGM_RSRC2:TGID_X_EN: 1
; COMPUTE_PGM_RSRC2:TGID_Y_EN: 0
; COMPUTE_PGM_RSRC2:TGID_Z_EN: 0
; COMPUTE_PGM_RSRC2:TIDIG_COMP_CNT: 0
	.section	.text._ZN9rocsparseL20bsrxmvn_17_32_kernelILj25E21rocsparse_complex_numIfEliS2_S2_S2_EEvT2_20rocsparse_direction_NS_24const_host_device_scalarIT0_EES3_PKS3_PKT1_SC_S9_PKT3_PKT4_S7_PT5_21rocsparse_index_base_b,"axG",@progbits,_ZN9rocsparseL20bsrxmvn_17_32_kernelILj25E21rocsparse_complex_numIfEliS2_S2_S2_EEvT2_20rocsparse_direction_NS_24const_host_device_scalarIT0_EES3_PKS3_PKT1_SC_S9_PKT3_PKT4_S7_PT5_21rocsparse_index_base_b,comdat
	.globl	_ZN9rocsparseL20bsrxmvn_17_32_kernelILj25E21rocsparse_complex_numIfEliS2_S2_S2_EEvT2_20rocsparse_direction_NS_24const_host_device_scalarIT0_EES3_PKS3_PKT1_SC_S9_PKT3_PKT4_S7_PT5_21rocsparse_index_base_b ; -- Begin function _ZN9rocsparseL20bsrxmvn_17_32_kernelILj25E21rocsparse_complex_numIfEliS2_S2_S2_EEvT2_20rocsparse_direction_NS_24const_host_device_scalarIT0_EES3_PKS3_PKT1_SC_S9_PKT3_PKT4_S7_PT5_21rocsparse_index_base_b
	.p2align	8
	.type	_ZN9rocsparseL20bsrxmvn_17_32_kernelILj25E21rocsparse_complex_numIfEliS2_S2_S2_EEvT2_20rocsparse_direction_NS_24const_host_device_scalarIT0_EES3_PKS3_PKT1_SC_S9_PKT3_PKT4_S7_PT5_21rocsparse_index_base_b,@function
_ZN9rocsparseL20bsrxmvn_17_32_kernelILj25E21rocsparse_complex_numIfEliS2_S2_S2_EEvT2_20rocsparse_direction_NS_24const_host_device_scalarIT0_EES3_PKS3_PKT1_SC_S9_PKT3_PKT4_S7_PT5_21rocsparse_index_base_b: ; @_ZN9rocsparseL20bsrxmvn_17_32_kernelILj25E21rocsparse_complex_numIfEliS2_S2_S2_EEvT2_20rocsparse_direction_NS_24const_host_device_scalarIT0_EES3_PKS3_PKT1_SC_S9_PKT3_PKT4_S7_PT5_21rocsparse_index_base_b
; %bb.0:
	s_load_dwordx2 s[0:1], s[4:5], 0x8
	s_load_dwordx2 s[14:15], s[4:5], 0x58
	s_add_u32 s7, s4, 8
	s_addc_u32 s8, s5, 0
	s_add_u32 s9, s4, 0x48
	s_load_dwordx2 s[2:3], s[4:5], 0x48
	s_addc_u32 s10, s5, 0
	s_waitcnt lgkmcnt(0)
	s_bitcmp1_b32 s15, 0
	s_cselect_b32 s1, s8, s1
	s_cselect_b32 s0, s7, s0
	v_mov_b32_e32 v1, s0
	v_mov_b32_e32 v2, s1
	flat_load_dwordx2 v[3:4], v[1:2]
	s_cselect_b32 s0, s10, s3
	s_cselect_b32 s1, s9, s2
	v_mov_b32_e32 v1, s1
	v_mov_b32_e32 v2, s0
	flat_load_dwordx2 v[1:2], v[1:2]
	s_waitcnt vmcnt(0) lgkmcnt(0)
	v_cmp_eq_f32_e32 vcc, 0, v3
	v_cmp_eq_f32_e64 s[0:1], 0, v4
	s_and_b64 s[8:9], vcc, s[0:1]
	s_mov_b64 s[0:1], -1
	s_and_saveexec_b64 s[2:3], s[8:9]
; %bb.1:
	v_cmp_neq_f32_e32 vcc, 1.0, v1
	v_cmp_neq_f32_e64 s[0:1], 0, v2
	s_or_b64 s[0:1], vcc, s[0:1]
	s_orn2_b64 s[0:1], s[0:1], exec
; %bb.2:
	s_or_b64 exec, exec, s[2:3]
	s_and_saveexec_b64 s[2:3], s[0:1]
	s_cbranch_execz .LBB104_39
; %bb.3:
	s_load_dwordx4 s[0:3], s[4:5], 0x18
	s_load_dwordx2 s[8:9], s[4:5], 0x28
	s_waitcnt lgkmcnt(0)
	s_cmp_eq_u64 s[0:1], 0
	s_cbranch_scc1 .LBB104_5
; %bb.4:
	s_ashr_i32 s7, s6, 31
	s_lshl_b64 s[6:7], s[6:7], 2
	s_add_u32 s0, s0, s6
	s_addc_u32 s1, s1, s7
	s_load_dword s0, s[0:1], 0x0
	s_waitcnt lgkmcnt(0)
	s_sub_i32 s6, s0, s14
.LBB104_5:
	s_load_dword s7, s[4:5], 0x4
	s_load_dwordx2 s[12:13], s[4:5], 0x50
	v_mul_u32_u24_e32 v7, 0xa3e, v0
	v_mov_b32_e32 v5, 25
	v_mul_lo_u16_sdwa v5, v7, v5 dst_sel:DWORD dst_unused:UNUSED_PAD src0_sel:WORD_1 src1_sel:DWORD
	s_waitcnt lgkmcnt(0)
	s_cmp_eq_u32 s7, 1
	s_cselect_b64 s[0:1], -1, 0
	s_cmp_lg_u32 s7, 1
	s_cselect_b64 s[16:17], -1, 0
	s_ashr_i32 s7, s6, 31
	s_lshl_b64 s[10:11], s[6:7], 3
	s_add_u32 s2, s2, s10
	s_addc_u32 s3, s3, s11
	s_add_u32 s7, s2, 8
	s_addc_u32 s15, s3, 0
	;; [unrolled: 2-line block ×3, first 2 shown]
	s_cmp_eq_u64 s[8:9], 0
	s_cselect_b32 s9, s15, s11
	s_cselect_b32 s8, s7, s10
	s_load_dwordx2 s[18:19], s[8:9], 0x0
	s_load_dwordx2 s[20:21], s[2:3], 0x0
	v_sub_u16_e32 v15, v0, v5
	v_lshlrev_b32_e32 v14, 3, v0
	s_waitcnt lgkmcnt(0)
	v_mov_b32_e32 v5, s18
	v_mov_b32_e32 v6, s19
	v_cmp_ge_i64_e32 vcc, s[20:21], v[5:6]
	v_mov_b32_e32 v6, 0
	v_mov_b32_e32 v5, 0
	s_cbranch_vccnz .LBB104_10
; %bb.6:
	s_load_dwordx4 s[8:11], s[4:5], 0x30
	s_load_dwordx2 s[2:3], s[4:5], 0x40
	s_sub_u32 s4, s18, s14
	s_mov_b32 s7, 0xffff
	s_subb_u32 s5, s19, 0
	s_movk_i32 s15, 0x271
	v_and_b32_sdwa v5, s7, v7 dst_sel:DWORD dst_unused:UNUSED_PAD src0_sel:DWORD src1_sel:WORD_1
	v_subrev_u32_e32 v6, 25, v5
	v_cmp_gt_u32_e32 vcc, s15, v0
	s_sub_u32 s18, s20, s14
	v_cndmask_b32_e32 v5, v6, v5, vcc
	s_subb_u32 s19, s21, 0
	v_cndmask_b32_e64 v7, v15, v5, s[0:1]
	s_mul_i32 s0, s19, 0x1388
	s_mul_hi_u32 s1, s18, 0x1388
	s_add_i32 s1, s1, s0
	s_mul_i32 s0, s18, 0x1388
	s_waitcnt lgkmcnt(0)
	s_add_u32 s0, s10, s0
	s_addc_u32 s1, s11, s1
	v_mov_b32_e32 v5, s1
	v_add_co_u32_e32 v8, vcc, s0, v14
	v_addc_co_u32_e32 v9, vcc, 0, v5, vcc
	s_movk_i32 s0, 0x270
	v_cmp_lt_u32_e32 vcc, s0, v0
	v_cndmask_b32_e64 v16, 0, 1, vcc
	v_mov_b32_e32 v5, s21
	v_add_co_u32_e32 v10, vcc, s20, v16
	v_addc_co_u32_e32 v5, vcc, 0, v5, vcc
	v_subrev_co_u32_e32 v10, vcc, s14, v10
	v_subbrev_co_u32_e32 v11, vcc, 0, v5, vcc
	v_lshlrev_b64 v[10:11], 2, v[10:11]
	v_mov_b32_e32 v6, 0
	v_mov_b32_e32 v5, s9
	v_add_co_u32_e32 v10, vcc, s8, v10
	v_mov_b32_e32 v13, s5
	v_addc_co_u32_e32 v11, vcc, v5, v11, vcc
	v_mov_b32_e32 v12, s4
	v_mov_b32_e32 v5, v6
	s_branch .LBB104_8
.LBB104_7:                              ;   in Loop: Header=BB104_8 Depth=1
	s_or_b64 exec, exec, s[0:1]
	s_add_u32 s18, s18, 1
	s_addc_u32 s19, s19, 0
	v_cmp_lt_i64_e32 vcc, s[18:19], v[12:13]
	v_add_co_u32_e64 v10, s[0:1], 4, v10
	v_addc_co_u32_e64 v11, s[0:1], 0, v11, s[0:1]
	s_cbranch_vccz .LBB104_10
.LBB104_8:                              ; =>This Inner Loop Header: Depth=1
	v_mov_b32_e32 v18, s19
	v_add_co_u32_e32 v17, vcc, s18, v16
	v_addc_co_u32_e32 v18, vcc, 0, v18, vcc
	v_cmp_gt_i64_e32 vcc, s[4:5], v[17:18]
	s_and_saveexec_b64 s[0:1], vcc
	s_cbranch_execz .LBB104_7
; %bb.9:                                ;   in Loop: Header=BB104_8 Depth=1
	global_load_dword v17, v[10:11], off
	v_mov_b32_e32 v21, s3
	global_load_dwordx2 v[19:20], v[8:9], off
	s_waitcnt vmcnt(1)
	v_subrev_u32_e32 v17, s14, v17
	v_mad_u64_u32 v[17:18], s[8:9], v17, 25, v[7:8]
	v_ashrrev_i32_e32 v18, 31, v17
	v_lshlrev_b64 v[17:18], 3, v[17:18]
	v_add_co_u32_e32 v17, vcc, s2, v17
	v_addc_co_u32_e32 v18, vcc, v21, v18, vcc
	global_load_dwordx2 v[17:18], v[17:18], off
	v_add_co_u32_e32 v8, vcc, 0x1388, v8
	v_addc_co_u32_e32 v9, vcc, 0, v9, vcc
	s_waitcnt vmcnt(0)
	v_fmac_f32_e32 v5, v19, v17
	v_fmac_f32_e32 v6, v20, v17
	v_fma_f32 v5, -v20, v18, v5
	v_fmac_f32_e32 v6, v19, v18
	s_branch .LBB104_7
.LBB104_10:
	s_and_b64 vcc, exec, s[16:17]
	ds_write_b64 v14, v[5:6]
	s_waitcnt lgkmcnt(0)
	s_barrier
	s_cbranch_vccz .LBB104_22
; %bb.11:
	v_cmp_gt_u16_e32 vcc, 9, v15
	s_and_saveexec_b64 s[0:1], vcc
	s_cbranch_execz .LBB104_13
; %bb.12:
	ds_read2_b64 v[7:10], v14 offset1:16
	s_waitcnt lgkmcnt(0)
	v_add_f32_e32 v7, v9, v7
	v_add_f32_e32 v8, v10, v8
	ds_write_b64 v14, v[7:8]
.LBB104_13:
	s_or_b64 exec, exec, s[0:1]
	v_cmp_gt_u16_e32 vcc, 8, v15
	s_waitcnt lgkmcnt(0)
	s_barrier
	s_and_saveexec_b64 s[0:1], vcc
	s_cbranch_execz .LBB104_15
; %bb.14:
	ds_read2_b64 v[7:10], v14 offset1:8
	s_waitcnt lgkmcnt(0)
	v_add_f32_e32 v7, v9, v7
	v_add_f32_e32 v8, v10, v8
	ds_write_b64 v14, v[7:8]
.LBB104_15:
	s_or_b64 exec, exec, s[0:1]
	v_cmp_gt_u16_e32 vcc, 4, v15
	s_waitcnt lgkmcnt(0)
	s_barrier
	;; [unrolled: 13-line block ×3, first 2 shown]
	s_and_saveexec_b64 s[0:1], vcc
	s_cbranch_execz .LBB104_19
; %bb.18:
	ds_read2_b64 v[7:10], v14 offset1:2
	s_waitcnt lgkmcnt(0)
	v_add_f32_e32 v7, v9, v7
	v_add_f32_e32 v8, v10, v8
	ds_write_b64 v14, v[7:8]
.LBB104_19:
	s_or_b64 exec, exec, s[0:1]
	v_cmp_gt_u32_e32 vcc, 25, v0
	v_mov_b32_e32 v8, v6
	v_mov_b32_e32 v7, v5
	s_waitcnt lgkmcnt(0)
	s_barrier
	s_and_saveexec_b64 s[0:1], vcc
	s_cbranch_execz .LBB104_21
; %bb.20:
	s_movk_i32 s2, 0xc0
	v_mad_u32_u24 v7, v0, s2, v14
	ds_read2_b64 v[7:10], v7 offset1:1
	s_waitcnt lgkmcnt(0)
	v_add_f32_e32 v7, v9, v7
	v_add_f32_e32 v8, v10, v8
.LBB104_21:
	s_or_b64 exec, exec, s[0:1]
	s_branch .LBB104_34
.LBB104_22:
                                        ; implicit-def: $vgpr8
                                        ; implicit-def: $vgpr7
	s_cbranch_execz .LBB104_34
; %bb.23:
	s_movk_i32 s0, 0xe1
	v_cmp_gt_u32_e32 vcc, s0, v0
	s_and_saveexec_b64 s[0:1], vcc
	s_cbranch_execz .LBB104_25
; %bb.24:
	ds_read_b64 v[7:8], v14 offset:3200
	ds_read_b64 v[9:10], v14
	s_waitcnt lgkmcnt(0)
	v_add_f32_e32 v7, v7, v9
	v_add_f32_e32 v8, v8, v10
	ds_write_b64 v14, v[7:8]
.LBB104_25:
	s_or_b64 exec, exec, s[0:1]
	s_movk_i32 s0, 0xc8
	v_cmp_gt_u32_e32 vcc, s0, v0
	s_waitcnt lgkmcnt(0)
	s_barrier
	s_and_saveexec_b64 s[0:1], vcc
	s_cbranch_execz .LBB104_27
; %bb.26:
	ds_read2_b64 v[7:10], v14 offset1:200
	s_waitcnt lgkmcnt(0)
	v_add_f32_e32 v7, v9, v7
	v_add_f32_e32 v8, v10, v8
	ds_write_b64 v14, v[7:8]
.LBB104_27:
	s_or_b64 exec, exec, s[0:1]
	s_movk_i32 s0, 0x64
	v_cmp_gt_u32_e32 vcc, s0, v0
	s_waitcnt lgkmcnt(0)
	s_barrier
	s_and_saveexec_b64 s[0:1], vcc
	s_cbranch_execz .LBB104_29
; %bb.28:
	ds_read2_b64 v[7:10], v14 offset1:100
	s_waitcnt lgkmcnt(0)
	v_add_f32_e32 v7, v9, v7
	v_add_f32_e32 v8, v10, v8
	ds_write_b64 v14, v[7:8]
.LBB104_29:
	s_or_b64 exec, exec, s[0:1]
	v_cmp_gt_u32_e32 vcc, 50, v0
	s_waitcnt lgkmcnt(0)
	s_barrier
	s_and_saveexec_b64 s[0:1], vcc
	s_cbranch_execz .LBB104_31
; %bb.30:
	ds_read2_b64 v[7:10], v14 offset1:50
	s_waitcnt lgkmcnt(0)
	v_add_f32_e32 v7, v9, v7
	v_add_f32_e32 v8, v10, v8
	ds_write_b64 v14, v[7:8]
.LBB104_31:
	s_or_b64 exec, exec, s[0:1]
	v_cmp_gt_u32_e32 vcc, 25, v0
	s_waitcnt lgkmcnt(0)
	s_and_saveexec_b64 s[0:1], vcc
	s_cbranch_execz .LBB104_33
; %bb.32:
	ds_read2_b64 v[5:8], v14 offset1:25
	s_waitcnt lgkmcnt(0)
	v_add_f32_e32 v5, v7, v5
	v_add_f32_e32 v6, v8, v6
.LBB104_33:
	s_or_b64 exec, exec, s[0:1]
	v_mov_b32_e32 v8, v6
	v_mov_b32_e32 v7, v5
.LBB104_34:
	v_cmp_gt_u32_e32 vcc, 25, v0
	s_and_b64 exec, exec, vcc
	s_cbranch_execz .LBB104_39
; %bb.35:
	v_cmp_eq_f32_e32 vcc, 0, v1
	v_cmp_eq_f32_e64 s[0:1], 0, v2
	v_mul_f32_e64 v5, v8, -v4
	v_mul_f32_e32 v6, v3, v8
	s_and_b64 s[0:1], vcc, s[0:1]
	v_fmac_f32_e32 v5, v3, v7
	v_fmac_f32_e32 v6, v4, v7
	s_and_saveexec_b64 s[2:3], s[0:1]
	s_xor_b64 s[0:1], exec, s[2:3]
	s_cbranch_execz .LBB104_37
; %bb.36:
	v_mad_u64_u32 v[0:1], s[2:3], s6, 25, v[0:1]
	v_mov_b32_e32 v1, 0
	v_mov_b32_e32 v2, s13
	v_lshlrev_b64 v[0:1], 3, v[0:1]
	v_add_co_u32_e32 v0, vcc, s12, v0
	v_addc_co_u32_e32 v1, vcc, v2, v1, vcc
	global_store_dwordx2 v[0:1], v[5:6], off
                                        ; implicit-def: $vgpr0
                                        ; implicit-def: $vgpr1_vgpr2
                                        ; implicit-def: $vgpr5
.LBB104_37:
	s_andn2_saveexec_b64 s[0:1], s[0:1]
	s_cbranch_execz .LBB104_39
; %bb.38:
	v_mad_u64_u32 v[3:4], s[0:1], s6, 25, v[0:1]
	v_mov_b32_e32 v4, 0
	v_mov_b32_e32 v0, s13
	v_lshlrev_b64 v[3:4], 3, v[3:4]
	v_add_co_u32_e32 v3, vcc, s12, v3
	v_addc_co_u32_e32 v4, vcc, v0, v4, vcc
	global_load_dwordx2 v[7:8], v[3:4], off
	s_waitcnt vmcnt(0)
	v_fmac_f32_e32 v5, v1, v7
	v_fmac_f32_e32 v6, v2, v7
	v_fma_f32 v5, -v2, v8, v5
	v_fmac_f32_e32 v6, v1, v8
	global_store_dwordx2 v[3:4], v[5:6], off
.LBB104_39:
	s_endpgm
	.section	.rodata,"a",@progbits
	.p2align	6, 0x0
	.amdhsa_kernel _ZN9rocsparseL20bsrxmvn_17_32_kernelILj25E21rocsparse_complex_numIfEliS2_S2_S2_EEvT2_20rocsparse_direction_NS_24const_host_device_scalarIT0_EES3_PKS3_PKT1_SC_S9_PKT3_PKT4_S7_PT5_21rocsparse_index_base_b
		.amdhsa_group_segment_fixed_size 5000
		.amdhsa_private_segment_fixed_size 0
		.amdhsa_kernarg_size 96
		.amdhsa_user_sgpr_count 6
		.amdhsa_user_sgpr_private_segment_buffer 1
		.amdhsa_user_sgpr_dispatch_ptr 0
		.amdhsa_user_sgpr_queue_ptr 0
		.amdhsa_user_sgpr_kernarg_segment_ptr 1
		.amdhsa_user_sgpr_dispatch_id 0
		.amdhsa_user_sgpr_flat_scratch_init 0
		.amdhsa_user_sgpr_private_segment_size 0
		.amdhsa_uses_dynamic_stack 0
		.amdhsa_system_sgpr_private_segment_wavefront_offset 0
		.amdhsa_system_sgpr_workgroup_id_x 1
		.amdhsa_system_sgpr_workgroup_id_y 0
		.amdhsa_system_sgpr_workgroup_id_z 0
		.amdhsa_system_sgpr_workgroup_info 0
		.amdhsa_system_vgpr_workitem_id 0
		.amdhsa_next_free_vgpr 22
		.amdhsa_next_free_sgpr 22
		.amdhsa_reserve_vcc 1
		.amdhsa_reserve_flat_scratch 0
		.amdhsa_float_round_mode_32 0
		.amdhsa_float_round_mode_16_64 0
		.amdhsa_float_denorm_mode_32 3
		.amdhsa_float_denorm_mode_16_64 3
		.amdhsa_dx10_clamp 1
		.amdhsa_ieee_mode 1
		.amdhsa_fp16_overflow 0
		.amdhsa_exception_fp_ieee_invalid_op 0
		.amdhsa_exception_fp_denorm_src 0
		.amdhsa_exception_fp_ieee_div_zero 0
		.amdhsa_exception_fp_ieee_overflow 0
		.amdhsa_exception_fp_ieee_underflow 0
		.amdhsa_exception_fp_ieee_inexact 0
		.amdhsa_exception_int_div_zero 0
	.end_amdhsa_kernel
	.section	.text._ZN9rocsparseL20bsrxmvn_17_32_kernelILj25E21rocsparse_complex_numIfEliS2_S2_S2_EEvT2_20rocsparse_direction_NS_24const_host_device_scalarIT0_EES3_PKS3_PKT1_SC_S9_PKT3_PKT4_S7_PT5_21rocsparse_index_base_b,"axG",@progbits,_ZN9rocsparseL20bsrxmvn_17_32_kernelILj25E21rocsparse_complex_numIfEliS2_S2_S2_EEvT2_20rocsparse_direction_NS_24const_host_device_scalarIT0_EES3_PKS3_PKT1_SC_S9_PKT3_PKT4_S7_PT5_21rocsparse_index_base_b,comdat
.Lfunc_end104:
	.size	_ZN9rocsparseL20bsrxmvn_17_32_kernelILj25E21rocsparse_complex_numIfEliS2_S2_S2_EEvT2_20rocsparse_direction_NS_24const_host_device_scalarIT0_EES3_PKS3_PKT1_SC_S9_PKT3_PKT4_S7_PT5_21rocsparse_index_base_b, .Lfunc_end104-_ZN9rocsparseL20bsrxmvn_17_32_kernelILj25E21rocsparse_complex_numIfEliS2_S2_S2_EEvT2_20rocsparse_direction_NS_24const_host_device_scalarIT0_EES3_PKS3_PKT1_SC_S9_PKT3_PKT4_S7_PT5_21rocsparse_index_base_b
                                        ; -- End function
	.set _ZN9rocsparseL20bsrxmvn_17_32_kernelILj25E21rocsparse_complex_numIfEliS2_S2_S2_EEvT2_20rocsparse_direction_NS_24const_host_device_scalarIT0_EES3_PKS3_PKT1_SC_S9_PKT3_PKT4_S7_PT5_21rocsparse_index_base_b.num_vgpr, 22
	.set _ZN9rocsparseL20bsrxmvn_17_32_kernelILj25E21rocsparse_complex_numIfEliS2_S2_S2_EEvT2_20rocsparse_direction_NS_24const_host_device_scalarIT0_EES3_PKS3_PKT1_SC_S9_PKT3_PKT4_S7_PT5_21rocsparse_index_base_b.num_agpr, 0
	.set _ZN9rocsparseL20bsrxmvn_17_32_kernelILj25E21rocsparse_complex_numIfEliS2_S2_S2_EEvT2_20rocsparse_direction_NS_24const_host_device_scalarIT0_EES3_PKS3_PKT1_SC_S9_PKT3_PKT4_S7_PT5_21rocsparse_index_base_b.numbered_sgpr, 22
	.set _ZN9rocsparseL20bsrxmvn_17_32_kernelILj25E21rocsparse_complex_numIfEliS2_S2_S2_EEvT2_20rocsparse_direction_NS_24const_host_device_scalarIT0_EES3_PKS3_PKT1_SC_S9_PKT3_PKT4_S7_PT5_21rocsparse_index_base_b.num_named_barrier, 0
	.set _ZN9rocsparseL20bsrxmvn_17_32_kernelILj25E21rocsparse_complex_numIfEliS2_S2_S2_EEvT2_20rocsparse_direction_NS_24const_host_device_scalarIT0_EES3_PKS3_PKT1_SC_S9_PKT3_PKT4_S7_PT5_21rocsparse_index_base_b.private_seg_size, 0
	.set _ZN9rocsparseL20bsrxmvn_17_32_kernelILj25E21rocsparse_complex_numIfEliS2_S2_S2_EEvT2_20rocsparse_direction_NS_24const_host_device_scalarIT0_EES3_PKS3_PKT1_SC_S9_PKT3_PKT4_S7_PT5_21rocsparse_index_base_b.uses_vcc, 1
	.set _ZN9rocsparseL20bsrxmvn_17_32_kernelILj25E21rocsparse_complex_numIfEliS2_S2_S2_EEvT2_20rocsparse_direction_NS_24const_host_device_scalarIT0_EES3_PKS3_PKT1_SC_S9_PKT3_PKT4_S7_PT5_21rocsparse_index_base_b.uses_flat_scratch, 0
	.set _ZN9rocsparseL20bsrxmvn_17_32_kernelILj25E21rocsparse_complex_numIfEliS2_S2_S2_EEvT2_20rocsparse_direction_NS_24const_host_device_scalarIT0_EES3_PKS3_PKT1_SC_S9_PKT3_PKT4_S7_PT5_21rocsparse_index_base_b.has_dyn_sized_stack, 0
	.set _ZN9rocsparseL20bsrxmvn_17_32_kernelILj25E21rocsparse_complex_numIfEliS2_S2_S2_EEvT2_20rocsparse_direction_NS_24const_host_device_scalarIT0_EES3_PKS3_PKT1_SC_S9_PKT3_PKT4_S7_PT5_21rocsparse_index_base_b.has_recursion, 0
	.set _ZN9rocsparseL20bsrxmvn_17_32_kernelILj25E21rocsparse_complex_numIfEliS2_S2_S2_EEvT2_20rocsparse_direction_NS_24const_host_device_scalarIT0_EES3_PKS3_PKT1_SC_S9_PKT3_PKT4_S7_PT5_21rocsparse_index_base_b.has_indirect_call, 0
	.section	.AMDGPU.csdata,"",@progbits
; Kernel info:
; codeLenInByte = 1484
; TotalNumSgprs: 26
; NumVgprs: 22
; ScratchSize: 0
; MemoryBound: 0
; FloatMode: 240
; IeeeMode: 1
; LDSByteSize: 5000 bytes/workgroup (compile time only)
; SGPRBlocks: 3
; VGPRBlocks: 5
; NumSGPRsForWavesPerEU: 26
; NumVGPRsForWavesPerEU: 22
; Occupancy: 10
; WaveLimiterHint : 1
; COMPUTE_PGM_RSRC2:SCRATCH_EN: 0
; COMPUTE_PGM_RSRC2:USER_SGPR: 6
; COMPUTE_PGM_RSRC2:TRAP_HANDLER: 0
; COMPUTE_PGM_RSRC2:TGID_X_EN: 1
; COMPUTE_PGM_RSRC2:TGID_Y_EN: 0
; COMPUTE_PGM_RSRC2:TGID_Z_EN: 0
; COMPUTE_PGM_RSRC2:TIDIG_COMP_CNT: 0
	.section	.text._ZN9rocsparseL20bsrxmvn_17_32_kernelILj26E21rocsparse_complex_numIfEliS2_S2_S2_EEvT2_20rocsparse_direction_NS_24const_host_device_scalarIT0_EES3_PKS3_PKT1_SC_S9_PKT3_PKT4_S7_PT5_21rocsparse_index_base_b,"axG",@progbits,_ZN9rocsparseL20bsrxmvn_17_32_kernelILj26E21rocsparse_complex_numIfEliS2_S2_S2_EEvT2_20rocsparse_direction_NS_24const_host_device_scalarIT0_EES3_PKS3_PKT1_SC_S9_PKT3_PKT4_S7_PT5_21rocsparse_index_base_b,comdat
	.globl	_ZN9rocsparseL20bsrxmvn_17_32_kernelILj26E21rocsparse_complex_numIfEliS2_S2_S2_EEvT2_20rocsparse_direction_NS_24const_host_device_scalarIT0_EES3_PKS3_PKT1_SC_S9_PKT3_PKT4_S7_PT5_21rocsparse_index_base_b ; -- Begin function _ZN9rocsparseL20bsrxmvn_17_32_kernelILj26E21rocsparse_complex_numIfEliS2_S2_S2_EEvT2_20rocsparse_direction_NS_24const_host_device_scalarIT0_EES3_PKS3_PKT1_SC_S9_PKT3_PKT4_S7_PT5_21rocsparse_index_base_b
	.p2align	8
	.type	_ZN9rocsparseL20bsrxmvn_17_32_kernelILj26E21rocsparse_complex_numIfEliS2_S2_S2_EEvT2_20rocsparse_direction_NS_24const_host_device_scalarIT0_EES3_PKS3_PKT1_SC_S9_PKT3_PKT4_S7_PT5_21rocsparse_index_base_b,@function
_ZN9rocsparseL20bsrxmvn_17_32_kernelILj26E21rocsparse_complex_numIfEliS2_S2_S2_EEvT2_20rocsparse_direction_NS_24const_host_device_scalarIT0_EES3_PKS3_PKT1_SC_S9_PKT3_PKT4_S7_PT5_21rocsparse_index_base_b: ; @_ZN9rocsparseL20bsrxmvn_17_32_kernelILj26E21rocsparse_complex_numIfEliS2_S2_S2_EEvT2_20rocsparse_direction_NS_24const_host_device_scalarIT0_EES3_PKS3_PKT1_SC_S9_PKT3_PKT4_S7_PT5_21rocsparse_index_base_b
; %bb.0:
	s_load_dwordx2 s[0:1], s[4:5], 0x8
	s_load_dwordx2 s[14:15], s[4:5], 0x58
	s_add_u32 s7, s4, 8
	s_addc_u32 s8, s5, 0
	s_add_u32 s9, s4, 0x48
	s_load_dwordx2 s[2:3], s[4:5], 0x48
	s_addc_u32 s10, s5, 0
	s_waitcnt lgkmcnt(0)
	s_bitcmp1_b32 s15, 0
	s_cselect_b32 s1, s8, s1
	s_cselect_b32 s0, s7, s0
	v_mov_b32_e32 v1, s0
	v_mov_b32_e32 v2, s1
	flat_load_dwordx2 v[3:4], v[1:2]
	s_cselect_b32 s0, s10, s3
	s_cselect_b32 s1, s9, s2
	v_mov_b32_e32 v1, s1
	v_mov_b32_e32 v2, s0
	flat_load_dwordx2 v[1:2], v[1:2]
	s_waitcnt vmcnt(0) lgkmcnt(0)
	v_cmp_eq_f32_e32 vcc, 0, v3
	v_cmp_eq_f32_e64 s[0:1], 0, v4
	s_and_b64 s[8:9], vcc, s[0:1]
	s_mov_b64 s[0:1], -1
	s_and_saveexec_b64 s[2:3], s[8:9]
; %bb.1:
	v_cmp_neq_f32_e32 vcc, 1.0, v1
	v_cmp_neq_f32_e64 s[0:1], 0, v2
	s_or_b64 s[0:1], vcc, s[0:1]
	s_orn2_b64 s[0:1], s[0:1], exec
; %bb.2:
	s_or_b64 exec, exec, s[2:3]
	s_and_saveexec_b64 s[2:3], s[0:1]
	s_cbranch_execz .LBB105_39
; %bb.3:
	s_load_dwordx4 s[0:3], s[4:5], 0x18
	s_load_dwordx2 s[8:9], s[4:5], 0x28
	s_waitcnt lgkmcnt(0)
	s_cmp_eq_u64 s[0:1], 0
	s_cbranch_scc1 .LBB105_5
; %bb.4:
	s_ashr_i32 s7, s6, 31
	s_lshl_b64 s[6:7], s[6:7], 2
	s_add_u32 s0, s0, s6
	s_addc_u32 s1, s1, s7
	s_load_dword s0, s[0:1], 0x0
	s_waitcnt lgkmcnt(0)
	s_sub_i32 s6, s0, s14
.LBB105_5:
	s_load_dword s7, s[4:5], 0x4
	s_load_dwordx2 s[12:13], s[4:5], 0x50
	v_mul_u32_u24_e32 v7, 0x9d9, v0
	v_mov_b32_e32 v5, 26
	v_mul_lo_u16_sdwa v5, v7, v5 dst_sel:DWORD dst_unused:UNUSED_PAD src0_sel:WORD_1 src1_sel:DWORD
	s_waitcnt lgkmcnt(0)
	s_cmp_eq_u32 s7, 1
	s_cselect_b64 s[0:1], -1, 0
	s_cmp_lg_u32 s7, 1
	s_cselect_b64 s[16:17], -1, 0
	s_ashr_i32 s7, s6, 31
	s_lshl_b64 s[10:11], s[6:7], 3
	s_add_u32 s2, s2, s10
	s_addc_u32 s3, s3, s11
	s_add_u32 s7, s2, 8
	s_addc_u32 s15, s3, 0
	;; [unrolled: 2-line block ×3, first 2 shown]
	s_cmp_eq_u64 s[8:9], 0
	s_cselect_b32 s9, s15, s11
	s_cselect_b32 s8, s7, s10
	s_load_dwordx2 s[18:19], s[8:9], 0x0
	s_load_dwordx2 s[20:21], s[2:3], 0x0
	v_sub_u16_e32 v15, v0, v5
	v_lshlrev_b32_e32 v14, 3, v0
	s_waitcnt lgkmcnt(0)
	v_mov_b32_e32 v5, s18
	v_mov_b32_e32 v6, s19
	v_cmp_ge_i64_e32 vcc, s[20:21], v[5:6]
	v_mov_b32_e32 v6, 0
	v_mov_b32_e32 v5, 0
	s_cbranch_vccnz .LBB105_10
; %bb.6:
	s_load_dwordx4 s[8:11], s[4:5], 0x30
	s_load_dwordx2 s[2:3], s[4:5], 0x40
	s_sub_u32 s4, s18, s14
	s_mov_b32 s7, 0xffff
	s_subb_u32 s5, s19, 0
	s_movk_i32 s15, 0x2a4
	v_and_b32_sdwa v5, s7, v7 dst_sel:DWORD dst_unused:UNUSED_PAD src0_sel:DWORD src1_sel:WORD_1
	v_subrev_u32_e32 v6, 26, v5
	v_cmp_gt_u32_e32 vcc, s15, v0
	s_sub_u32 s18, s20, s14
	v_cndmask_b32_e32 v5, v6, v5, vcc
	s_subb_u32 s19, s21, 0
	v_cndmask_b32_e64 v7, v15, v5, s[0:1]
	s_mul_i32 s0, s19, 0x1520
	s_mul_hi_u32 s1, s18, 0x1520
	s_add_i32 s1, s1, s0
	s_mul_i32 s0, s18, 0x1520
	s_waitcnt lgkmcnt(0)
	s_add_u32 s0, s10, s0
	s_addc_u32 s1, s11, s1
	v_mov_b32_e32 v5, s1
	v_add_co_u32_e32 v8, vcc, s0, v14
	v_addc_co_u32_e32 v9, vcc, 0, v5, vcc
	s_movk_i32 s0, 0x2a3
	v_cmp_lt_u32_e32 vcc, s0, v0
	v_cndmask_b32_e64 v16, 0, 1, vcc
	v_mov_b32_e32 v5, s21
	v_add_co_u32_e32 v10, vcc, s20, v16
	v_addc_co_u32_e32 v5, vcc, 0, v5, vcc
	v_subrev_co_u32_e32 v10, vcc, s14, v10
	v_subbrev_co_u32_e32 v11, vcc, 0, v5, vcc
	v_lshlrev_b64 v[10:11], 2, v[10:11]
	v_mov_b32_e32 v6, 0
	v_mov_b32_e32 v5, s9
	v_add_co_u32_e32 v10, vcc, s8, v10
	v_mov_b32_e32 v13, s5
	v_addc_co_u32_e32 v11, vcc, v5, v11, vcc
	v_mov_b32_e32 v12, s4
	v_mov_b32_e32 v5, v6
	s_branch .LBB105_8
.LBB105_7:                              ;   in Loop: Header=BB105_8 Depth=1
	s_or_b64 exec, exec, s[0:1]
	s_add_u32 s18, s18, 1
	s_addc_u32 s19, s19, 0
	v_cmp_lt_i64_e32 vcc, s[18:19], v[12:13]
	v_add_co_u32_e64 v10, s[0:1], 4, v10
	v_addc_co_u32_e64 v11, s[0:1], 0, v11, s[0:1]
	s_cbranch_vccz .LBB105_10
.LBB105_8:                              ; =>This Inner Loop Header: Depth=1
	v_mov_b32_e32 v18, s19
	v_add_co_u32_e32 v17, vcc, s18, v16
	v_addc_co_u32_e32 v18, vcc, 0, v18, vcc
	v_cmp_gt_i64_e32 vcc, s[4:5], v[17:18]
	s_and_saveexec_b64 s[0:1], vcc
	s_cbranch_execz .LBB105_7
; %bb.9:                                ;   in Loop: Header=BB105_8 Depth=1
	global_load_dword v17, v[10:11], off
	v_mov_b32_e32 v21, s3
	global_load_dwordx2 v[19:20], v[8:9], off
	s_waitcnt vmcnt(1)
	v_subrev_u32_e32 v17, s14, v17
	v_mad_u64_u32 v[17:18], s[8:9], v17, 26, v[7:8]
	v_ashrrev_i32_e32 v18, 31, v17
	v_lshlrev_b64 v[17:18], 3, v[17:18]
	v_add_co_u32_e32 v17, vcc, s2, v17
	v_addc_co_u32_e32 v18, vcc, v21, v18, vcc
	global_load_dwordx2 v[17:18], v[17:18], off
	v_add_co_u32_e32 v8, vcc, 0x1520, v8
	v_addc_co_u32_e32 v9, vcc, 0, v9, vcc
	s_waitcnt vmcnt(0)
	v_fmac_f32_e32 v5, v19, v17
	v_fmac_f32_e32 v6, v20, v17
	v_fma_f32 v5, -v20, v18, v5
	v_fmac_f32_e32 v6, v19, v18
	s_branch .LBB105_7
.LBB105_10:
	s_and_b64 vcc, exec, s[16:17]
	ds_write_b64 v14, v[5:6]
	s_waitcnt lgkmcnt(0)
	s_barrier
	s_cbranch_vccz .LBB105_22
; %bb.11:
	v_cmp_gt_u16_e32 vcc, 10, v15
	s_and_saveexec_b64 s[0:1], vcc
	s_cbranch_execz .LBB105_13
; %bb.12:
	ds_read2_b64 v[7:10], v14 offset1:16
	s_waitcnt lgkmcnt(0)
	v_add_f32_e32 v7, v9, v7
	v_add_f32_e32 v8, v10, v8
	ds_write_b64 v14, v[7:8]
.LBB105_13:
	s_or_b64 exec, exec, s[0:1]
	v_cmp_gt_u16_e32 vcc, 8, v15
	s_waitcnt lgkmcnt(0)
	s_barrier
	s_and_saveexec_b64 s[0:1], vcc
	s_cbranch_execz .LBB105_15
; %bb.14:
	ds_read2_b64 v[7:10], v14 offset1:8
	s_waitcnt lgkmcnt(0)
	v_add_f32_e32 v7, v9, v7
	v_add_f32_e32 v8, v10, v8
	ds_write_b64 v14, v[7:8]
.LBB105_15:
	s_or_b64 exec, exec, s[0:1]
	v_cmp_gt_u16_e32 vcc, 4, v15
	s_waitcnt lgkmcnt(0)
	s_barrier
	s_and_saveexec_b64 s[0:1], vcc
	s_cbranch_execz .LBB105_17
; %bb.16:
	ds_read2_b64 v[7:10], v14 offset1:4
	s_waitcnt lgkmcnt(0)
	v_add_f32_e32 v7, v9, v7
	v_add_f32_e32 v8, v10, v8
	ds_write_b64 v14, v[7:8]
.LBB105_17:
	s_or_b64 exec, exec, s[0:1]
	v_cmp_gt_u16_e32 vcc, 2, v15
	s_waitcnt lgkmcnt(0)
	s_barrier
	s_and_saveexec_b64 s[0:1], vcc
	s_cbranch_execz .LBB105_19
; %bb.18:
	ds_read2_b64 v[7:10], v14 offset1:2
	s_waitcnt lgkmcnt(0)
	v_add_f32_e32 v7, v9, v7
	v_add_f32_e32 v8, v10, v8
	ds_write_b64 v14, v[7:8]
.LBB105_19:
	s_or_b64 exec, exec, s[0:1]
	v_cmp_gt_u32_e32 vcc, 26, v0
	v_mov_b32_e32 v8, v6
	v_mov_b32_e32 v7, v5
	s_waitcnt lgkmcnt(0)
	s_barrier
	s_and_saveexec_b64 s[0:1], vcc
	s_cbranch_execz .LBB105_21
; %bb.20:
	s_movk_i32 s2, 0xc8
	v_mad_u32_u24 v7, v0, s2, v14
	ds_read2_b64 v[7:10], v7 offset1:1
	s_waitcnt lgkmcnt(0)
	v_add_f32_e32 v7, v9, v7
	v_add_f32_e32 v8, v10, v8
.LBB105_21:
	s_or_b64 exec, exec, s[0:1]
	s_branch .LBB105_34
.LBB105_22:
                                        ; implicit-def: $vgpr8
                                        ; implicit-def: $vgpr7
	s_cbranch_execz .LBB105_34
; %bb.23:
	s_movk_i32 s0, 0x104
	v_cmp_gt_u32_e32 vcc, s0, v0
	s_and_saveexec_b64 s[0:1], vcc
	s_cbranch_execz .LBB105_25
; %bb.24:
	ds_read_b64 v[7:8], v14 offset:3328
	ds_read_b64 v[9:10], v14
	s_waitcnt lgkmcnt(0)
	v_add_f32_e32 v7, v7, v9
	v_add_f32_e32 v8, v8, v10
	ds_write_b64 v14, v[7:8]
.LBB105_25:
	s_or_b64 exec, exec, s[0:1]
	s_movk_i32 s0, 0xd0
	v_cmp_gt_u32_e32 vcc, s0, v0
	s_waitcnt lgkmcnt(0)
	s_barrier
	s_and_saveexec_b64 s[0:1], vcc
	s_cbranch_execz .LBB105_27
; %bb.26:
	ds_read2_b64 v[7:10], v14 offset1:208
	s_waitcnt lgkmcnt(0)
	v_add_f32_e32 v7, v9, v7
	v_add_f32_e32 v8, v10, v8
	ds_write_b64 v14, v[7:8]
.LBB105_27:
	s_or_b64 exec, exec, s[0:1]
	s_movk_i32 s0, 0x68
	v_cmp_gt_u32_e32 vcc, s0, v0
	s_waitcnt lgkmcnt(0)
	s_barrier
	s_and_saveexec_b64 s[0:1], vcc
	s_cbranch_execz .LBB105_29
; %bb.28:
	ds_read2_b64 v[7:10], v14 offset1:104
	s_waitcnt lgkmcnt(0)
	v_add_f32_e32 v7, v9, v7
	v_add_f32_e32 v8, v10, v8
	ds_write_b64 v14, v[7:8]
.LBB105_29:
	s_or_b64 exec, exec, s[0:1]
	v_cmp_gt_u32_e32 vcc, 52, v0
	s_waitcnt lgkmcnt(0)
	s_barrier
	s_and_saveexec_b64 s[0:1], vcc
	s_cbranch_execz .LBB105_31
; %bb.30:
	ds_read2_b64 v[7:10], v14 offset1:52
	s_waitcnt lgkmcnt(0)
	v_add_f32_e32 v7, v9, v7
	v_add_f32_e32 v8, v10, v8
	ds_write_b64 v14, v[7:8]
.LBB105_31:
	s_or_b64 exec, exec, s[0:1]
	v_cmp_gt_u32_e32 vcc, 26, v0
	s_waitcnt lgkmcnt(0)
	s_and_saveexec_b64 s[0:1], vcc
	s_cbranch_execz .LBB105_33
; %bb.32:
	ds_read2_b64 v[5:8], v14 offset1:26
	s_waitcnt lgkmcnt(0)
	v_add_f32_e32 v5, v7, v5
	v_add_f32_e32 v6, v8, v6
.LBB105_33:
	s_or_b64 exec, exec, s[0:1]
	v_mov_b32_e32 v8, v6
	v_mov_b32_e32 v7, v5
.LBB105_34:
	v_cmp_gt_u32_e32 vcc, 26, v0
	s_and_b64 exec, exec, vcc
	s_cbranch_execz .LBB105_39
; %bb.35:
	v_cmp_eq_f32_e32 vcc, 0, v1
	v_cmp_eq_f32_e64 s[0:1], 0, v2
	v_mul_f32_e64 v5, v8, -v4
	v_mul_f32_e32 v6, v3, v8
	s_and_b64 s[0:1], vcc, s[0:1]
	v_fmac_f32_e32 v5, v3, v7
	v_fmac_f32_e32 v6, v4, v7
	s_and_saveexec_b64 s[2:3], s[0:1]
	s_xor_b64 s[0:1], exec, s[2:3]
	s_cbranch_execz .LBB105_37
; %bb.36:
	v_mad_u64_u32 v[0:1], s[2:3], s6, 26, v[0:1]
	v_mov_b32_e32 v1, 0
	v_mov_b32_e32 v2, s13
	v_lshlrev_b64 v[0:1], 3, v[0:1]
	v_add_co_u32_e32 v0, vcc, s12, v0
	v_addc_co_u32_e32 v1, vcc, v2, v1, vcc
	global_store_dwordx2 v[0:1], v[5:6], off
                                        ; implicit-def: $vgpr0
                                        ; implicit-def: $vgpr1_vgpr2
                                        ; implicit-def: $vgpr5
.LBB105_37:
	s_andn2_saveexec_b64 s[0:1], s[0:1]
	s_cbranch_execz .LBB105_39
; %bb.38:
	v_mad_u64_u32 v[3:4], s[0:1], s6, 26, v[0:1]
	v_mov_b32_e32 v4, 0
	v_mov_b32_e32 v0, s13
	v_lshlrev_b64 v[3:4], 3, v[3:4]
	v_add_co_u32_e32 v3, vcc, s12, v3
	v_addc_co_u32_e32 v4, vcc, v0, v4, vcc
	global_load_dwordx2 v[7:8], v[3:4], off
	s_waitcnt vmcnt(0)
	v_fmac_f32_e32 v5, v1, v7
	v_fmac_f32_e32 v6, v2, v7
	v_fma_f32 v5, -v2, v8, v5
	v_fmac_f32_e32 v6, v1, v8
	global_store_dwordx2 v[3:4], v[5:6], off
.LBB105_39:
	s_endpgm
	.section	.rodata,"a",@progbits
	.p2align	6, 0x0
	.amdhsa_kernel _ZN9rocsparseL20bsrxmvn_17_32_kernelILj26E21rocsparse_complex_numIfEliS2_S2_S2_EEvT2_20rocsparse_direction_NS_24const_host_device_scalarIT0_EES3_PKS3_PKT1_SC_S9_PKT3_PKT4_S7_PT5_21rocsparse_index_base_b
		.amdhsa_group_segment_fixed_size 5408
		.amdhsa_private_segment_fixed_size 0
		.amdhsa_kernarg_size 96
		.amdhsa_user_sgpr_count 6
		.amdhsa_user_sgpr_private_segment_buffer 1
		.amdhsa_user_sgpr_dispatch_ptr 0
		.amdhsa_user_sgpr_queue_ptr 0
		.amdhsa_user_sgpr_kernarg_segment_ptr 1
		.amdhsa_user_sgpr_dispatch_id 0
		.amdhsa_user_sgpr_flat_scratch_init 0
		.amdhsa_user_sgpr_private_segment_size 0
		.amdhsa_uses_dynamic_stack 0
		.amdhsa_system_sgpr_private_segment_wavefront_offset 0
		.amdhsa_system_sgpr_workgroup_id_x 1
		.amdhsa_system_sgpr_workgroup_id_y 0
		.amdhsa_system_sgpr_workgroup_id_z 0
		.amdhsa_system_sgpr_workgroup_info 0
		.amdhsa_system_vgpr_workitem_id 0
		.amdhsa_next_free_vgpr 25
		.amdhsa_next_free_sgpr 61
		.amdhsa_reserve_vcc 1
		.amdhsa_reserve_flat_scratch 0
		.amdhsa_float_round_mode_32 0
		.amdhsa_float_round_mode_16_64 0
		.amdhsa_float_denorm_mode_32 3
		.amdhsa_float_denorm_mode_16_64 3
		.amdhsa_dx10_clamp 1
		.amdhsa_ieee_mode 1
		.amdhsa_fp16_overflow 0
		.amdhsa_exception_fp_ieee_invalid_op 0
		.amdhsa_exception_fp_denorm_src 0
		.amdhsa_exception_fp_ieee_div_zero 0
		.amdhsa_exception_fp_ieee_overflow 0
		.amdhsa_exception_fp_ieee_underflow 0
		.amdhsa_exception_fp_ieee_inexact 0
		.amdhsa_exception_int_div_zero 0
	.end_amdhsa_kernel
	.section	.text._ZN9rocsparseL20bsrxmvn_17_32_kernelILj26E21rocsparse_complex_numIfEliS2_S2_S2_EEvT2_20rocsparse_direction_NS_24const_host_device_scalarIT0_EES3_PKS3_PKT1_SC_S9_PKT3_PKT4_S7_PT5_21rocsparse_index_base_b,"axG",@progbits,_ZN9rocsparseL20bsrxmvn_17_32_kernelILj26E21rocsparse_complex_numIfEliS2_S2_S2_EEvT2_20rocsparse_direction_NS_24const_host_device_scalarIT0_EES3_PKS3_PKT1_SC_S9_PKT3_PKT4_S7_PT5_21rocsparse_index_base_b,comdat
.Lfunc_end105:
	.size	_ZN9rocsparseL20bsrxmvn_17_32_kernelILj26E21rocsparse_complex_numIfEliS2_S2_S2_EEvT2_20rocsparse_direction_NS_24const_host_device_scalarIT0_EES3_PKS3_PKT1_SC_S9_PKT3_PKT4_S7_PT5_21rocsparse_index_base_b, .Lfunc_end105-_ZN9rocsparseL20bsrxmvn_17_32_kernelILj26E21rocsparse_complex_numIfEliS2_S2_S2_EEvT2_20rocsparse_direction_NS_24const_host_device_scalarIT0_EES3_PKS3_PKT1_SC_S9_PKT3_PKT4_S7_PT5_21rocsparse_index_base_b
                                        ; -- End function
	.set _ZN9rocsparseL20bsrxmvn_17_32_kernelILj26E21rocsparse_complex_numIfEliS2_S2_S2_EEvT2_20rocsparse_direction_NS_24const_host_device_scalarIT0_EES3_PKS3_PKT1_SC_S9_PKT3_PKT4_S7_PT5_21rocsparse_index_base_b.num_vgpr, 22
	.set _ZN9rocsparseL20bsrxmvn_17_32_kernelILj26E21rocsparse_complex_numIfEliS2_S2_S2_EEvT2_20rocsparse_direction_NS_24const_host_device_scalarIT0_EES3_PKS3_PKT1_SC_S9_PKT3_PKT4_S7_PT5_21rocsparse_index_base_b.num_agpr, 0
	.set _ZN9rocsparseL20bsrxmvn_17_32_kernelILj26E21rocsparse_complex_numIfEliS2_S2_S2_EEvT2_20rocsparse_direction_NS_24const_host_device_scalarIT0_EES3_PKS3_PKT1_SC_S9_PKT3_PKT4_S7_PT5_21rocsparse_index_base_b.numbered_sgpr, 22
	.set _ZN9rocsparseL20bsrxmvn_17_32_kernelILj26E21rocsparse_complex_numIfEliS2_S2_S2_EEvT2_20rocsparse_direction_NS_24const_host_device_scalarIT0_EES3_PKS3_PKT1_SC_S9_PKT3_PKT4_S7_PT5_21rocsparse_index_base_b.num_named_barrier, 0
	.set _ZN9rocsparseL20bsrxmvn_17_32_kernelILj26E21rocsparse_complex_numIfEliS2_S2_S2_EEvT2_20rocsparse_direction_NS_24const_host_device_scalarIT0_EES3_PKS3_PKT1_SC_S9_PKT3_PKT4_S7_PT5_21rocsparse_index_base_b.private_seg_size, 0
	.set _ZN9rocsparseL20bsrxmvn_17_32_kernelILj26E21rocsparse_complex_numIfEliS2_S2_S2_EEvT2_20rocsparse_direction_NS_24const_host_device_scalarIT0_EES3_PKS3_PKT1_SC_S9_PKT3_PKT4_S7_PT5_21rocsparse_index_base_b.uses_vcc, 1
	.set _ZN9rocsparseL20bsrxmvn_17_32_kernelILj26E21rocsparse_complex_numIfEliS2_S2_S2_EEvT2_20rocsparse_direction_NS_24const_host_device_scalarIT0_EES3_PKS3_PKT1_SC_S9_PKT3_PKT4_S7_PT5_21rocsparse_index_base_b.uses_flat_scratch, 0
	.set _ZN9rocsparseL20bsrxmvn_17_32_kernelILj26E21rocsparse_complex_numIfEliS2_S2_S2_EEvT2_20rocsparse_direction_NS_24const_host_device_scalarIT0_EES3_PKS3_PKT1_SC_S9_PKT3_PKT4_S7_PT5_21rocsparse_index_base_b.has_dyn_sized_stack, 0
	.set _ZN9rocsparseL20bsrxmvn_17_32_kernelILj26E21rocsparse_complex_numIfEliS2_S2_S2_EEvT2_20rocsparse_direction_NS_24const_host_device_scalarIT0_EES3_PKS3_PKT1_SC_S9_PKT3_PKT4_S7_PT5_21rocsparse_index_base_b.has_recursion, 0
	.set _ZN9rocsparseL20bsrxmvn_17_32_kernelILj26E21rocsparse_complex_numIfEliS2_S2_S2_EEvT2_20rocsparse_direction_NS_24const_host_device_scalarIT0_EES3_PKS3_PKT1_SC_S9_PKT3_PKT4_S7_PT5_21rocsparse_index_base_b.has_indirect_call, 0
	.section	.AMDGPU.csdata,"",@progbits
; Kernel info:
; codeLenInByte = 1484
; TotalNumSgprs: 26
; NumVgprs: 22
; ScratchSize: 0
; MemoryBound: 0
; FloatMode: 240
; IeeeMode: 1
; LDSByteSize: 5408 bytes/workgroup (compile time only)
; SGPRBlocks: 8
; VGPRBlocks: 6
; NumSGPRsForWavesPerEU: 65
; NumVGPRsForWavesPerEU: 25
; Occupancy: 9
; WaveLimiterHint : 1
; COMPUTE_PGM_RSRC2:SCRATCH_EN: 0
; COMPUTE_PGM_RSRC2:USER_SGPR: 6
; COMPUTE_PGM_RSRC2:TRAP_HANDLER: 0
; COMPUTE_PGM_RSRC2:TGID_X_EN: 1
; COMPUTE_PGM_RSRC2:TGID_Y_EN: 0
; COMPUTE_PGM_RSRC2:TGID_Z_EN: 0
; COMPUTE_PGM_RSRC2:TIDIG_COMP_CNT: 0
	.section	.text._ZN9rocsparseL20bsrxmvn_17_32_kernelILj27E21rocsparse_complex_numIfEliS2_S2_S2_EEvT2_20rocsparse_direction_NS_24const_host_device_scalarIT0_EES3_PKS3_PKT1_SC_S9_PKT3_PKT4_S7_PT5_21rocsparse_index_base_b,"axG",@progbits,_ZN9rocsparseL20bsrxmvn_17_32_kernelILj27E21rocsparse_complex_numIfEliS2_S2_S2_EEvT2_20rocsparse_direction_NS_24const_host_device_scalarIT0_EES3_PKS3_PKT1_SC_S9_PKT3_PKT4_S7_PT5_21rocsparse_index_base_b,comdat
	.globl	_ZN9rocsparseL20bsrxmvn_17_32_kernelILj27E21rocsparse_complex_numIfEliS2_S2_S2_EEvT2_20rocsparse_direction_NS_24const_host_device_scalarIT0_EES3_PKS3_PKT1_SC_S9_PKT3_PKT4_S7_PT5_21rocsparse_index_base_b ; -- Begin function _ZN9rocsparseL20bsrxmvn_17_32_kernelILj27E21rocsparse_complex_numIfEliS2_S2_S2_EEvT2_20rocsparse_direction_NS_24const_host_device_scalarIT0_EES3_PKS3_PKT1_SC_S9_PKT3_PKT4_S7_PT5_21rocsparse_index_base_b
	.p2align	8
	.type	_ZN9rocsparseL20bsrxmvn_17_32_kernelILj27E21rocsparse_complex_numIfEliS2_S2_S2_EEvT2_20rocsparse_direction_NS_24const_host_device_scalarIT0_EES3_PKS3_PKT1_SC_S9_PKT3_PKT4_S7_PT5_21rocsparse_index_base_b,@function
_ZN9rocsparseL20bsrxmvn_17_32_kernelILj27E21rocsparse_complex_numIfEliS2_S2_S2_EEvT2_20rocsparse_direction_NS_24const_host_device_scalarIT0_EES3_PKS3_PKT1_SC_S9_PKT3_PKT4_S7_PT5_21rocsparse_index_base_b: ; @_ZN9rocsparseL20bsrxmvn_17_32_kernelILj27E21rocsparse_complex_numIfEliS2_S2_S2_EEvT2_20rocsparse_direction_NS_24const_host_device_scalarIT0_EES3_PKS3_PKT1_SC_S9_PKT3_PKT4_S7_PT5_21rocsparse_index_base_b
; %bb.0:
	s_load_dwordx2 s[0:1], s[4:5], 0x8
	s_load_dwordx2 s[14:15], s[4:5], 0x58
	s_add_u32 s7, s4, 8
	s_addc_u32 s8, s5, 0
	s_add_u32 s9, s4, 0x48
	s_load_dwordx2 s[2:3], s[4:5], 0x48
	s_addc_u32 s10, s5, 0
	s_waitcnt lgkmcnt(0)
	s_bitcmp1_b32 s15, 0
	s_cselect_b32 s1, s8, s1
	s_cselect_b32 s0, s7, s0
	v_mov_b32_e32 v1, s0
	v_mov_b32_e32 v2, s1
	flat_load_dwordx2 v[3:4], v[1:2]
	s_cselect_b32 s0, s10, s3
	s_cselect_b32 s1, s9, s2
	v_mov_b32_e32 v1, s1
	v_mov_b32_e32 v2, s0
	flat_load_dwordx2 v[1:2], v[1:2]
	s_waitcnt vmcnt(0) lgkmcnt(0)
	v_cmp_eq_f32_e32 vcc, 0, v3
	v_cmp_eq_f32_e64 s[0:1], 0, v4
	s_and_b64 s[8:9], vcc, s[0:1]
	s_mov_b64 s[0:1], -1
	s_and_saveexec_b64 s[2:3], s[8:9]
; %bb.1:
	v_cmp_neq_f32_e32 vcc, 1.0, v1
	v_cmp_neq_f32_e64 s[0:1], 0, v2
	s_or_b64 s[0:1], vcc, s[0:1]
	s_orn2_b64 s[0:1], s[0:1], exec
; %bb.2:
	s_or_b64 exec, exec, s[2:3]
	s_and_saveexec_b64 s[2:3], s[0:1]
	s_cbranch_execz .LBB106_39
; %bb.3:
	s_load_dwordx4 s[0:3], s[4:5], 0x18
	s_load_dwordx2 s[8:9], s[4:5], 0x28
	s_waitcnt lgkmcnt(0)
	s_cmp_eq_u64 s[0:1], 0
	s_cbranch_scc1 .LBB106_5
; %bb.4:
	s_ashr_i32 s7, s6, 31
	s_lshl_b64 s[6:7], s[6:7], 2
	s_add_u32 s0, s0, s6
	s_addc_u32 s1, s1, s7
	s_load_dword s0, s[0:1], 0x0
	s_waitcnt lgkmcnt(0)
	s_sub_i32 s6, s0, s14
.LBB106_5:
	s_load_dword s7, s[4:5], 0x4
	s_load_dwordx2 s[12:13], s[4:5], 0x50
	v_mul_u32_u24_e32 v7, 0x97c, v0
	v_mov_b32_e32 v5, 27
	v_mul_lo_u16_sdwa v5, v7, v5 dst_sel:DWORD dst_unused:UNUSED_PAD src0_sel:WORD_1 src1_sel:DWORD
	s_waitcnt lgkmcnt(0)
	s_cmp_eq_u32 s7, 1
	s_cselect_b64 s[0:1], -1, 0
	s_cmp_lg_u32 s7, 1
	s_cselect_b64 s[16:17], -1, 0
	s_ashr_i32 s7, s6, 31
	s_lshl_b64 s[10:11], s[6:7], 3
	s_add_u32 s2, s2, s10
	s_addc_u32 s3, s3, s11
	s_add_u32 s7, s2, 8
	s_addc_u32 s15, s3, 0
	s_add_u32 s10, s8, s10
	s_addc_u32 s11, s9, s11
	s_cmp_eq_u64 s[8:9], 0
	s_cselect_b32 s9, s15, s11
	s_cselect_b32 s8, s7, s10
	s_load_dwordx2 s[18:19], s[8:9], 0x0
	s_load_dwordx2 s[20:21], s[2:3], 0x0
	v_sub_u16_e32 v15, v0, v5
	v_lshlrev_b32_e32 v14, 3, v0
	s_waitcnt lgkmcnt(0)
	v_mov_b32_e32 v5, s18
	v_mov_b32_e32 v6, s19
	v_cmp_ge_i64_e32 vcc, s[20:21], v[5:6]
	v_mov_b32_e32 v6, 0
	v_mov_b32_e32 v5, 0
	s_cbranch_vccnz .LBB106_10
; %bb.6:
	s_load_dwordx4 s[8:11], s[4:5], 0x30
	s_load_dwordx2 s[2:3], s[4:5], 0x40
	s_sub_u32 s4, s18, s14
	s_mov_b32 s7, 0xffff
	s_subb_u32 s5, s19, 0
	s_movk_i32 s15, 0x2d9
	v_and_b32_sdwa v5, s7, v7 dst_sel:DWORD dst_unused:UNUSED_PAD src0_sel:DWORD src1_sel:WORD_1
	v_subrev_u32_e32 v6, 27, v5
	v_cmp_gt_u32_e32 vcc, s15, v0
	s_sub_u32 s18, s20, s14
	v_cndmask_b32_e32 v5, v6, v5, vcc
	s_subb_u32 s19, s21, 0
	v_cndmask_b32_e64 v7, v15, v5, s[0:1]
	s_mul_i32 s0, s19, 0x16c8
	s_mul_hi_u32 s1, s18, 0x16c8
	s_add_i32 s1, s1, s0
	s_mul_i32 s0, s18, 0x16c8
	s_waitcnt lgkmcnt(0)
	s_add_u32 s0, s10, s0
	s_addc_u32 s1, s11, s1
	v_mov_b32_e32 v5, s1
	v_add_co_u32_e32 v8, vcc, s0, v14
	v_addc_co_u32_e32 v9, vcc, 0, v5, vcc
	s_movk_i32 s0, 0x2d8
	v_cmp_lt_u32_e32 vcc, s0, v0
	v_cndmask_b32_e64 v16, 0, 1, vcc
	v_mov_b32_e32 v5, s21
	v_add_co_u32_e32 v10, vcc, s20, v16
	v_addc_co_u32_e32 v5, vcc, 0, v5, vcc
	v_subrev_co_u32_e32 v10, vcc, s14, v10
	v_subbrev_co_u32_e32 v11, vcc, 0, v5, vcc
	v_lshlrev_b64 v[10:11], 2, v[10:11]
	v_mov_b32_e32 v6, 0
	v_mov_b32_e32 v5, s9
	v_add_co_u32_e32 v10, vcc, s8, v10
	v_mov_b32_e32 v13, s5
	v_addc_co_u32_e32 v11, vcc, v5, v11, vcc
	v_mov_b32_e32 v12, s4
	v_mov_b32_e32 v5, v6
	s_branch .LBB106_8
.LBB106_7:                              ;   in Loop: Header=BB106_8 Depth=1
	s_or_b64 exec, exec, s[0:1]
	s_add_u32 s18, s18, 1
	s_addc_u32 s19, s19, 0
	v_cmp_lt_i64_e32 vcc, s[18:19], v[12:13]
	v_add_co_u32_e64 v10, s[0:1], 4, v10
	v_addc_co_u32_e64 v11, s[0:1], 0, v11, s[0:1]
	s_cbranch_vccz .LBB106_10
.LBB106_8:                              ; =>This Inner Loop Header: Depth=1
	v_mov_b32_e32 v18, s19
	v_add_co_u32_e32 v17, vcc, s18, v16
	v_addc_co_u32_e32 v18, vcc, 0, v18, vcc
	v_cmp_gt_i64_e32 vcc, s[4:5], v[17:18]
	s_and_saveexec_b64 s[0:1], vcc
	s_cbranch_execz .LBB106_7
; %bb.9:                                ;   in Loop: Header=BB106_8 Depth=1
	global_load_dword v17, v[10:11], off
	v_mov_b32_e32 v21, s3
	global_load_dwordx2 v[19:20], v[8:9], off
	s_waitcnt vmcnt(1)
	v_subrev_u32_e32 v17, s14, v17
	v_mad_u64_u32 v[17:18], s[8:9], v17, 27, v[7:8]
	v_ashrrev_i32_e32 v18, 31, v17
	v_lshlrev_b64 v[17:18], 3, v[17:18]
	v_add_co_u32_e32 v17, vcc, s2, v17
	v_addc_co_u32_e32 v18, vcc, v21, v18, vcc
	global_load_dwordx2 v[17:18], v[17:18], off
	v_add_co_u32_e32 v8, vcc, 0x16c8, v8
	v_addc_co_u32_e32 v9, vcc, 0, v9, vcc
	s_waitcnt vmcnt(0)
	v_fmac_f32_e32 v5, v19, v17
	v_fmac_f32_e32 v6, v20, v17
	v_fma_f32 v5, -v20, v18, v5
	v_fmac_f32_e32 v6, v19, v18
	s_branch .LBB106_7
.LBB106_10:
	s_and_b64 vcc, exec, s[16:17]
	ds_write_b64 v14, v[5:6]
	s_waitcnt lgkmcnt(0)
	s_barrier
	s_cbranch_vccz .LBB106_22
; %bb.11:
	v_cmp_gt_u16_e32 vcc, 11, v15
	s_and_saveexec_b64 s[0:1], vcc
	s_cbranch_execz .LBB106_13
; %bb.12:
	ds_read2_b64 v[7:10], v14 offset1:16
	s_waitcnt lgkmcnt(0)
	v_add_f32_e32 v7, v9, v7
	v_add_f32_e32 v8, v10, v8
	ds_write_b64 v14, v[7:8]
.LBB106_13:
	s_or_b64 exec, exec, s[0:1]
	v_cmp_gt_u16_e32 vcc, 8, v15
	s_waitcnt lgkmcnt(0)
	s_barrier
	s_and_saveexec_b64 s[0:1], vcc
	s_cbranch_execz .LBB106_15
; %bb.14:
	ds_read2_b64 v[7:10], v14 offset1:8
	s_waitcnt lgkmcnt(0)
	v_add_f32_e32 v7, v9, v7
	v_add_f32_e32 v8, v10, v8
	ds_write_b64 v14, v[7:8]
.LBB106_15:
	s_or_b64 exec, exec, s[0:1]
	v_cmp_gt_u16_e32 vcc, 4, v15
	s_waitcnt lgkmcnt(0)
	s_barrier
	;; [unrolled: 13-line block ×3, first 2 shown]
	s_and_saveexec_b64 s[0:1], vcc
	s_cbranch_execz .LBB106_19
; %bb.18:
	ds_read2_b64 v[7:10], v14 offset1:2
	s_waitcnt lgkmcnt(0)
	v_add_f32_e32 v7, v9, v7
	v_add_f32_e32 v8, v10, v8
	ds_write_b64 v14, v[7:8]
.LBB106_19:
	s_or_b64 exec, exec, s[0:1]
	v_cmp_gt_u32_e32 vcc, 27, v0
	v_mov_b32_e32 v8, v6
	v_mov_b32_e32 v7, v5
	s_waitcnt lgkmcnt(0)
	s_barrier
	s_and_saveexec_b64 s[0:1], vcc
	s_cbranch_execz .LBB106_21
; %bb.20:
	s_movk_i32 s2, 0xd0
	v_mad_u32_u24 v7, v0, s2, v14
	ds_read2_b64 v[7:10], v7 offset1:1
	s_waitcnt lgkmcnt(0)
	v_add_f32_e32 v7, v9, v7
	v_add_f32_e32 v8, v10, v8
.LBB106_21:
	s_or_b64 exec, exec, s[0:1]
	s_branch .LBB106_34
.LBB106_22:
                                        ; implicit-def: $vgpr8
                                        ; implicit-def: $vgpr7
	s_cbranch_execz .LBB106_34
; %bb.23:
	s_movk_i32 s0, 0x129
	v_cmp_gt_u32_e32 vcc, s0, v0
	s_and_saveexec_b64 s[0:1], vcc
	s_cbranch_execz .LBB106_25
; %bb.24:
	ds_read_b64 v[7:8], v14 offset:3456
	ds_read_b64 v[9:10], v14
	s_waitcnt lgkmcnt(0)
	v_add_f32_e32 v7, v7, v9
	v_add_f32_e32 v8, v8, v10
	ds_write_b64 v14, v[7:8]
.LBB106_25:
	s_or_b64 exec, exec, s[0:1]
	s_movk_i32 s0, 0xd8
	v_cmp_gt_u32_e32 vcc, s0, v0
	s_waitcnt lgkmcnt(0)
	s_barrier
	s_and_saveexec_b64 s[0:1], vcc
	s_cbranch_execz .LBB106_27
; %bb.26:
	ds_read2_b64 v[7:10], v14 offset1:216
	s_waitcnt lgkmcnt(0)
	v_add_f32_e32 v7, v9, v7
	v_add_f32_e32 v8, v10, v8
	ds_write_b64 v14, v[7:8]
.LBB106_27:
	s_or_b64 exec, exec, s[0:1]
	s_movk_i32 s0, 0x6c
	v_cmp_gt_u32_e32 vcc, s0, v0
	s_waitcnt lgkmcnt(0)
	s_barrier
	s_and_saveexec_b64 s[0:1], vcc
	s_cbranch_execz .LBB106_29
; %bb.28:
	ds_read2_b64 v[7:10], v14 offset1:108
	s_waitcnt lgkmcnt(0)
	v_add_f32_e32 v7, v9, v7
	v_add_f32_e32 v8, v10, v8
	ds_write_b64 v14, v[7:8]
.LBB106_29:
	s_or_b64 exec, exec, s[0:1]
	v_cmp_gt_u32_e32 vcc, 54, v0
	s_waitcnt lgkmcnt(0)
	s_barrier
	s_and_saveexec_b64 s[0:1], vcc
	s_cbranch_execz .LBB106_31
; %bb.30:
	ds_read2_b64 v[7:10], v14 offset1:54
	s_waitcnt lgkmcnt(0)
	v_add_f32_e32 v7, v9, v7
	v_add_f32_e32 v8, v10, v8
	ds_write_b64 v14, v[7:8]
.LBB106_31:
	s_or_b64 exec, exec, s[0:1]
	v_cmp_gt_u32_e32 vcc, 27, v0
	s_waitcnt lgkmcnt(0)
	s_and_saveexec_b64 s[0:1], vcc
	s_cbranch_execz .LBB106_33
; %bb.32:
	ds_read2_b64 v[5:8], v14 offset1:27
	s_waitcnt lgkmcnt(0)
	v_add_f32_e32 v5, v7, v5
	v_add_f32_e32 v6, v8, v6
.LBB106_33:
	s_or_b64 exec, exec, s[0:1]
	v_mov_b32_e32 v8, v6
	v_mov_b32_e32 v7, v5
.LBB106_34:
	v_cmp_gt_u32_e32 vcc, 27, v0
	s_and_b64 exec, exec, vcc
	s_cbranch_execz .LBB106_39
; %bb.35:
	v_cmp_eq_f32_e32 vcc, 0, v1
	v_cmp_eq_f32_e64 s[0:1], 0, v2
	v_mul_f32_e64 v5, v8, -v4
	v_mul_f32_e32 v6, v3, v8
	s_and_b64 s[0:1], vcc, s[0:1]
	v_fmac_f32_e32 v5, v3, v7
	v_fmac_f32_e32 v6, v4, v7
	s_and_saveexec_b64 s[2:3], s[0:1]
	s_xor_b64 s[0:1], exec, s[2:3]
	s_cbranch_execz .LBB106_37
; %bb.36:
	v_mad_u64_u32 v[0:1], s[2:3], s6, 27, v[0:1]
	v_mov_b32_e32 v1, 0
	v_mov_b32_e32 v2, s13
	v_lshlrev_b64 v[0:1], 3, v[0:1]
	v_add_co_u32_e32 v0, vcc, s12, v0
	v_addc_co_u32_e32 v1, vcc, v2, v1, vcc
	global_store_dwordx2 v[0:1], v[5:6], off
                                        ; implicit-def: $vgpr0
                                        ; implicit-def: $vgpr1_vgpr2
                                        ; implicit-def: $vgpr5
.LBB106_37:
	s_andn2_saveexec_b64 s[0:1], s[0:1]
	s_cbranch_execz .LBB106_39
; %bb.38:
	v_mad_u64_u32 v[3:4], s[0:1], s6, 27, v[0:1]
	v_mov_b32_e32 v4, 0
	v_mov_b32_e32 v0, s13
	v_lshlrev_b64 v[3:4], 3, v[3:4]
	v_add_co_u32_e32 v3, vcc, s12, v3
	v_addc_co_u32_e32 v4, vcc, v0, v4, vcc
	global_load_dwordx2 v[7:8], v[3:4], off
	s_waitcnt vmcnt(0)
	v_fmac_f32_e32 v5, v1, v7
	v_fmac_f32_e32 v6, v2, v7
	v_fma_f32 v5, -v2, v8, v5
	v_fmac_f32_e32 v6, v1, v8
	global_store_dwordx2 v[3:4], v[5:6], off
.LBB106_39:
	s_endpgm
	.section	.rodata,"a",@progbits
	.p2align	6, 0x0
	.amdhsa_kernel _ZN9rocsparseL20bsrxmvn_17_32_kernelILj27E21rocsparse_complex_numIfEliS2_S2_S2_EEvT2_20rocsparse_direction_NS_24const_host_device_scalarIT0_EES3_PKS3_PKT1_SC_S9_PKT3_PKT4_S7_PT5_21rocsparse_index_base_b
		.amdhsa_group_segment_fixed_size 5832
		.amdhsa_private_segment_fixed_size 0
		.amdhsa_kernarg_size 96
		.amdhsa_user_sgpr_count 6
		.amdhsa_user_sgpr_private_segment_buffer 1
		.amdhsa_user_sgpr_dispatch_ptr 0
		.amdhsa_user_sgpr_queue_ptr 0
		.amdhsa_user_sgpr_kernarg_segment_ptr 1
		.amdhsa_user_sgpr_dispatch_id 0
		.amdhsa_user_sgpr_flat_scratch_init 0
		.amdhsa_user_sgpr_private_segment_size 0
		.amdhsa_uses_dynamic_stack 0
		.amdhsa_system_sgpr_private_segment_wavefront_offset 0
		.amdhsa_system_sgpr_workgroup_id_x 1
		.amdhsa_system_sgpr_workgroup_id_y 0
		.amdhsa_system_sgpr_workgroup_id_z 0
		.amdhsa_system_sgpr_workgroup_info 0
		.amdhsa_system_vgpr_workitem_id 0
		.amdhsa_next_free_vgpr 25
		.amdhsa_next_free_sgpr 61
		.amdhsa_reserve_vcc 1
		.amdhsa_reserve_flat_scratch 0
		.amdhsa_float_round_mode_32 0
		.amdhsa_float_round_mode_16_64 0
		.amdhsa_float_denorm_mode_32 3
		.amdhsa_float_denorm_mode_16_64 3
		.amdhsa_dx10_clamp 1
		.amdhsa_ieee_mode 1
		.amdhsa_fp16_overflow 0
		.amdhsa_exception_fp_ieee_invalid_op 0
		.amdhsa_exception_fp_denorm_src 0
		.amdhsa_exception_fp_ieee_div_zero 0
		.amdhsa_exception_fp_ieee_overflow 0
		.amdhsa_exception_fp_ieee_underflow 0
		.amdhsa_exception_fp_ieee_inexact 0
		.amdhsa_exception_int_div_zero 0
	.end_amdhsa_kernel
	.section	.text._ZN9rocsparseL20bsrxmvn_17_32_kernelILj27E21rocsparse_complex_numIfEliS2_S2_S2_EEvT2_20rocsparse_direction_NS_24const_host_device_scalarIT0_EES3_PKS3_PKT1_SC_S9_PKT3_PKT4_S7_PT5_21rocsparse_index_base_b,"axG",@progbits,_ZN9rocsparseL20bsrxmvn_17_32_kernelILj27E21rocsparse_complex_numIfEliS2_S2_S2_EEvT2_20rocsparse_direction_NS_24const_host_device_scalarIT0_EES3_PKS3_PKT1_SC_S9_PKT3_PKT4_S7_PT5_21rocsparse_index_base_b,comdat
.Lfunc_end106:
	.size	_ZN9rocsparseL20bsrxmvn_17_32_kernelILj27E21rocsparse_complex_numIfEliS2_S2_S2_EEvT2_20rocsparse_direction_NS_24const_host_device_scalarIT0_EES3_PKS3_PKT1_SC_S9_PKT3_PKT4_S7_PT5_21rocsparse_index_base_b, .Lfunc_end106-_ZN9rocsparseL20bsrxmvn_17_32_kernelILj27E21rocsparse_complex_numIfEliS2_S2_S2_EEvT2_20rocsparse_direction_NS_24const_host_device_scalarIT0_EES3_PKS3_PKT1_SC_S9_PKT3_PKT4_S7_PT5_21rocsparse_index_base_b
                                        ; -- End function
	.set _ZN9rocsparseL20bsrxmvn_17_32_kernelILj27E21rocsparse_complex_numIfEliS2_S2_S2_EEvT2_20rocsparse_direction_NS_24const_host_device_scalarIT0_EES3_PKS3_PKT1_SC_S9_PKT3_PKT4_S7_PT5_21rocsparse_index_base_b.num_vgpr, 22
	.set _ZN9rocsparseL20bsrxmvn_17_32_kernelILj27E21rocsparse_complex_numIfEliS2_S2_S2_EEvT2_20rocsparse_direction_NS_24const_host_device_scalarIT0_EES3_PKS3_PKT1_SC_S9_PKT3_PKT4_S7_PT5_21rocsparse_index_base_b.num_agpr, 0
	.set _ZN9rocsparseL20bsrxmvn_17_32_kernelILj27E21rocsparse_complex_numIfEliS2_S2_S2_EEvT2_20rocsparse_direction_NS_24const_host_device_scalarIT0_EES3_PKS3_PKT1_SC_S9_PKT3_PKT4_S7_PT5_21rocsparse_index_base_b.numbered_sgpr, 22
	.set _ZN9rocsparseL20bsrxmvn_17_32_kernelILj27E21rocsparse_complex_numIfEliS2_S2_S2_EEvT2_20rocsparse_direction_NS_24const_host_device_scalarIT0_EES3_PKS3_PKT1_SC_S9_PKT3_PKT4_S7_PT5_21rocsparse_index_base_b.num_named_barrier, 0
	.set _ZN9rocsparseL20bsrxmvn_17_32_kernelILj27E21rocsparse_complex_numIfEliS2_S2_S2_EEvT2_20rocsparse_direction_NS_24const_host_device_scalarIT0_EES3_PKS3_PKT1_SC_S9_PKT3_PKT4_S7_PT5_21rocsparse_index_base_b.private_seg_size, 0
	.set _ZN9rocsparseL20bsrxmvn_17_32_kernelILj27E21rocsparse_complex_numIfEliS2_S2_S2_EEvT2_20rocsparse_direction_NS_24const_host_device_scalarIT0_EES3_PKS3_PKT1_SC_S9_PKT3_PKT4_S7_PT5_21rocsparse_index_base_b.uses_vcc, 1
	.set _ZN9rocsparseL20bsrxmvn_17_32_kernelILj27E21rocsparse_complex_numIfEliS2_S2_S2_EEvT2_20rocsparse_direction_NS_24const_host_device_scalarIT0_EES3_PKS3_PKT1_SC_S9_PKT3_PKT4_S7_PT5_21rocsparse_index_base_b.uses_flat_scratch, 0
	.set _ZN9rocsparseL20bsrxmvn_17_32_kernelILj27E21rocsparse_complex_numIfEliS2_S2_S2_EEvT2_20rocsparse_direction_NS_24const_host_device_scalarIT0_EES3_PKS3_PKT1_SC_S9_PKT3_PKT4_S7_PT5_21rocsparse_index_base_b.has_dyn_sized_stack, 0
	.set _ZN9rocsparseL20bsrxmvn_17_32_kernelILj27E21rocsparse_complex_numIfEliS2_S2_S2_EEvT2_20rocsparse_direction_NS_24const_host_device_scalarIT0_EES3_PKS3_PKT1_SC_S9_PKT3_PKT4_S7_PT5_21rocsparse_index_base_b.has_recursion, 0
	.set _ZN9rocsparseL20bsrxmvn_17_32_kernelILj27E21rocsparse_complex_numIfEliS2_S2_S2_EEvT2_20rocsparse_direction_NS_24const_host_device_scalarIT0_EES3_PKS3_PKT1_SC_S9_PKT3_PKT4_S7_PT5_21rocsparse_index_base_b.has_indirect_call, 0
	.section	.AMDGPU.csdata,"",@progbits
; Kernel info:
; codeLenInByte = 1484
; TotalNumSgprs: 26
; NumVgprs: 22
; ScratchSize: 0
; MemoryBound: 0
; FloatMode: 240
; IeeeMode: 1
; LDSByteSize: 5832 bytes/workgroup (compile time only)
; SGPRBlocks: 8
; VGPRBlocks: 6
; NumSGPRsForWavesPerEU: 65
; NumVGPRsForWavesPerEU: 25
; Occupancy: 9
; WaveLimiterHint : 1
; COMPUTE_PGM_RSRC2:SCRATCH_EN: 0
; COMPUTE_PGM_RSRC2:USER_SGPR: 6
; COMPUTE_PGM_RSRC2:TRAP_HANDLER: 0
; COMPUTE_PGM_RSRC2:TGID_X_EN: 1
; COMPUTE_PGM_RSRC2:TGID_Y_EN: 0
; COMPUTE_PGM_RSRC2:TGID_Z_EN: 0
; COMPUTE_PGM_RSRC2:TIDIG_COMP_CNT: 0
	.section	.text._ZN9rocsparseL20bsrxmvn_17_32_kernelILj28E21rocsparse_complex_numIfEliS2_S2_S2_EEvT2_20rocsparse_direction_NS_24const_host_device_scalarIT0_EES3_PKS3_PKT1_SC_S9_PKT3_PKT4_S7_PT5_21rocsparse_index_base_b,"axG",@progbits,_ZN9rocsparseL20bsrxmvn_17_32_kernelILj28E21rocsparse_complex_numIfEliS2_S2_S2_EEvT2_20rocsparse_direction_NS_24const_host_device_scalarIT0_EES3_PKS3_PKT1_SC_S9_PKT3_PKT4_S7_PT5_21rocsparse_index_base_b,comdat
	.globl	_ZN9rocsparseL20bsrxmvn_17_32_kernelILj28E21rocsparse_complex_numIfEliS2_S2_S2_EEvT2_20rocsparse_direction_NS_24const_host_device_scalarIT0_EES3_PKS3_PKT1_SC_S9_PKT3_PKT4_S7_PT5_21rocsparse_index_base_b ; -- Begin function _ZN9rocsparseL20bsrxmvn_17_32_kernelILj28E21rocsparse_complex_numIfEliS2_S2_S2_EEvT2_20rocsparse_direction_NS_24const_host_device_scalarIT0_EES3_PKS3_PKT1_SC_S9_PKT3_PKT4_S7_PT5_21rocsparse_index_base_b
	.p2align	8
	.type	_ZN9rocsparseL20bsrxmvn_17_32_kernelILj28E21rocsparse_complex_numIfEliS2_S2_S2_EEvT2_20rocsparse_direction_NS_24const_host_device_scalarIT0_EES3_PKS3_PKT1_SC_S9_PKT3_PKT4_S7_PT5_21rocsparse_index_base_b,@function
_ZN9rocsparseL20bsrxmvn_17_32_kernelILj28E21rocsparse_complex_numIfEliS2_S2_S2_EEvT2_20rocsparse_direction_NS_24const_host_device_scalarIT0_EES3_PKS3_PKT1_SC_S9_PKT3_PKT4_S7_PT5_21rocsparse_index_base_b: ; @_ZN9rocsparseL20bsrxmvn_17_32_kernelILj28E21rocsparse_complex_numIfEliS2_S2_S2_EEvT2_20rocsparse_direction_NS_24const_host_device_scalarIT0_EES3_PKS3_PKT1_SC_S9_PKT3_PKT4_S7_PT5_21rocsparse_index_base_b
; %bb.0:
	s_load_dwordx2 s[0:1], s[4:5], 0x8
	s_load_dwordx2 s[14:15], s[4:5], 0x58
	s_add_u32 s7, s4, 8
	s_addc_u32 s8, s5, 0
	s_add_u32 s9, s4, 0x48
	s_load_dwordx2 s[2:3], s[4:5], 0x48
	s_addc_u32 s10, s5, 0
	s_waitcnt lgkmcnt(0)
	s_bitcmp1_b32 s15, 0
	s_cselect_b32 s1, s8, s1
	s_cselect_b32 s0, s7, s0
	v_mov_b32_e32 v1, s0
	v_mov_b32_e32 v2, s1
	flat_load_dwordx2 v[3:4], v[1:2]
	s_cselect_b32 s0, s10, s3
	s_cselect_b32 s1, s9, s2
	v_mov_b32_e32 v1, s1
	v_mov_b32_e32 v2, s0
	flat_load_dwordx2 v[1:2], v[1:2]
	s_waitcnt vmcnt(0) lgkmcnt(0)
	v_cmp_eq_f32_e32 vcc, 0, v3
	v_cmp_eq_f32_e64 s[0:1], 0, v4
	s_and_b64 s[8:9], vcc, s[0:1]
	s_mov_b64 s[0:1], -1
	s_and_saveexec_b64 s[2:3], s[8:9]
; %bb.1:
	v_cmp_neq_f32_e32 vcc, 1.0, v1
	v_cmp_neq_f32_e64 s[0:1], 0, v2
	s_or_b64 s[0:1], vcc, s[0:1]
	s_orn2_b64 s[0:1], s[0:1], exec
; %bb.2:
	s_or_b64 exec, exec, s[2:3]
	s_and_saveexec_b64 s[2:3], s[0:1]
	s_cbranch_execz .LBB107_39
; %bb.3:
	s_load_dwordx4 s[0:3], s[4:5], 0x18
	s_load_dwordx2 s[8:9], s[4:5], 0x28
	s_waitcnt lgkmcnt(0)
	s_cmp_eq_u64 s[0:1], 0
	s_cbranch_scc1 .LBB107_5
; %bb.4:
	s_ashr_i32 s7, s6, 31
	s_lshl_b64 s[6:7], s[6:7], 2
	s_add_u32 s0, s0, s6
	s_addc_u32 s1, s1, s7
	s_load_dword s0, s[0:1], 0x0
	s_waitcnt lgkmcnt(0)
	s_sub_i32 s6, s0, s14
.LBB107_5:
	s_load_dword s7, s[4:5], 0x4
	s_load_dwordx2 s[12:13], s[4:5], 0x50
	v_mul_u32_u24_e32 v7, 0x925, v0
	v_mov_b32_e32 v5, 28
	v_mul_lo_u16_sdwa v5, v7, v5 dst_sel:DWORD dst_unused:UNUSED_PAD src0_sel:WORD_1 src1_sel:DWORD
	s_waitcnt lgkmcnt(0)
	s_cmp_eq_u32 s7, 1
	s_cselect_b64 s[0:1], -1, 0
	s_cmp_lg_u32 s7, 1
	s_cselect_b64 s[16:17], -1, 0
	s_ashr_i32 s7, s6, 31
	s_lshl_b64 s[10:11], s[6:7], 3
	s_add_u32 s2, s2, s10
	s_addc_u32 s3, s3, s11
	s_add_u32 s7, s2, 8
	s_addc_u32 s15, s3, 0
	;; [unrolled: 2-line block ×3, first 2 shown]
	s_cmp_eq_u64 s[8:9], 0
	s_cselect_b32 s9, s15, s11
	s_cselect_b32 s8, s7, s10
	s_load_dwordx2 s[18:19], s[8:9], 0x0
	s_load_dwordx2 s[20:21], s[2:3], 0x0
	v_sub_u16_e32 v15, v0, v5
	v_lshlrev_b32_e32 v14, 3, v0
	s_waitcnt lgkmcnt(0)
	v_mov_b32_e32 v5, s18
	v_mov_b32_e32 v6, s19
	v_cmp_ge_i64_e32 vcc, s[20:21], v[5:6]
	v_mov_b32_e32 v6, 0
	v_mov_b32_e32 v5, 0
	s_cbranch_vccnz .LBB107_10
; %bb.6:
	s_load_dwordx4 s[8:11], s[4:5], 0x30
	s_load_dwordx2 s[2:3], s[4:5], 0x40
	s_sub_u32 s4, s18, s14
	s_mov_b32 s7, 0xffff
	s_subb_u32 s5, s19, 0
	s_movk_i32 s15, 0x310
	v_and_b32_sdwa v5, s7, v7 dst_sel:DWORD dst_unused:UNUSED_PAD src0_sel:DWORD src1_sel:WORD_1
	v_subrev_u32_e32 v6, 28, v5
	v_cmp_gt_u32_e32 vcc, s15, v0
	s_sub_u32 s18, s20, s14
	v_cndmask_b32_e32 v5, v6, v5, vcc
	s_subb_u32 s19, s21, 0
	v_cndmask_b32_e64 v7, v15, v5, s[0:1]
	s_mul_i32 s0, s19, 0x1880
	s_mul_hi_u32 s1, s18, 0x1880
	s_add_i32 s1, s1, s0
	s_mul_i32 s0, s18, 0x1880
	s_waitcnt lgkmcnt(0)
	s_add_u32 s0, s10, s0
	s_addc_u32 s1, s11, s1
	v_mov_b32_e32 v5, s1
	v_add_co_u32_e32 v8, vcc, s0, v14
	v_addc_co_u32_e32 v9, vcc, 0, v5, vcc
	s_movk_i32 s0, 0x30f
	v_cmp_lt_u32_e32 vcc, s0, v0
	v_cndmask_b32_e64 v16, 0, 1, vcc
	v_mov_b32_e32 v5, s21
	v_add_co_u32_e32 v10, vcc, s20, v16
	v_addc_co_u32_e32 v5, vcc, 0, v5, vcc
	v_subrev_co_u32_e32 v10, vcc, s14, v10
	v_subbrev_co_u32_e32 v11, vcc, 0, v5, vcc
	v_lshlrev_b64 v[10:11], 2, v[10:11]
	v_mov_b32_e32 v6, 0
	v_mov_b32_e32 v5, s9
	v_add_co_u32_e32 v10, vcc, s8, v10
	v_mov_b32_e32 v13, s5
	v_addc_co_u32_e32 v11, vcc, v5, v11, vcc
	v_mov_b32_e32 v12, s4
	v_mov_b32_e32 v5, v6
	s_branch .LBB107_8
.LBB107_7:                              ;   in Loop: Header=BB107_8 Depth=1
	s_or_b64 exec, exec, s[0:1]
	s_add_u32 s18, s18, 1
	s_addc_u32 s19, s19, 0
	v_cmp_lt_i64_e32 vcc, s[18:19], v[12:13]
	v_add_co_u32_e64 v10, s[0:1], 4, v10
	v_addc_co_u32_e64 v11, s[0:1], 0, v11, s[0:1]
	s_cbranch_vccz .LBB107_10
.LBB107_8:                              ; =>This Inner Loop Header: Depth=1
	v_mov_b32_e32 v18, s19
	v_add_co_u32_e32 v17, vcc, s18, v16
	v_addc_co_u32_e32 v18, vcc, 0, v18, vcc
	v_cmp_gt_i64_e32 vcc, s[4:5], v[17:18]
	s_and_saveexec_b64 s[0:1], vcc
	s_cbranch_execz .LBB107_7
; %bb.9:                                ;   in Loop: Header=BB107_8 Depth=1
	global_load_dword v17, v[10:11], off
	v_mov_b32_e32 v21, s3
	global_load_dwordx2 v[19:20], v[8:9], off
	s_waitcnt vmcnt(1)
	v_subrev_u32_e32 v17, s14, v17
	v_mad_u64_u32 v[17:18], s[8:9], v17, 28, v[7:8]
	v_ashrrev_i32_e32 v18, 31, v17
	v_lshlrev_b64 v[17:18], 3, v[17:18]
	v_add_co_u32_e32 v17, vcc, s2, v17
	v_addc_co_u32_e32 v18, vcc, v21, v18, vcc
	global_load_dwordx2 v[17:18], v[17:18], off
	v_add_co_u32_e32 v8, vcc, 0x1880, v8
	v_addc_co_u32_e32 v9, vcc, 0, v9, vcc
	s_waitcnt vmcnt(0)
	v_fmac_f32_e32 v5, v19, v17
	v_fmac_f32_e32 v6, v20, v17
	v_fma_f32 v5, -v20, v18, v5
	v_fmac_f32_e32 v6, v19, v18
	s_branch .LBB107_7
.LBB107_10:
	s_and_b64 vcc, exec, s[16:17]
	ds_write_b64 v14, v[5:6]
	s_waitcnt lgkmcnt(0)
	s_barrier
	s_cbranch_vccz .LBB107_22
; %bb.11:
	v_cmp_gt_u16_e32 vcc, 12, v15
	s_and_saveexec_b64 s[0:1], vcc
	s_cbranch_execz .LBB107_13
; %bb.12:
	ds_read2_b64 v[7:10], v14 offset1:16
	s_waitcnt lgkmcnt(0)
	v_add_f32_e32 v7, v9, v7
	v_add_f32_e32 v8, v10, v8
	ds_write_b64 v14, v[7:8]
.LBB107_13:
	s_or_b64 exec, exec, s[0:1]
	v_cmp_gt_u16_e32 vcc, 8, v15
	s_waitcnt lgkmcnt(0)
	s_barrier
	s_and_saveexec_b64 s[0:1], vcc
	s_cbranch_execz .LBB107_15
; %bb.14:
	ds_read2_b64 v[7:10], v14 offset1:8
	s_waitcnt lgkmcnt(0)
	v_add_f32_e32 v7, v9, v7
	v_add_f32_e32 v8, v10, v8
	ds_write_b64 v14, v[7:8]
.LBB107_15:
	s_or_b64 exec, exec, s[0:1]
	v_cmp_gt_u16_e32 vcc, 4, v15
	s_waitcnt lgkmcnt(0)
	s_barrier
	;; [unrolled: 13-line block ×3, first 2 shown]
	s_and_saveexec_b64 s[0:1], vcc
	s_cbranch_execz .LBB107_19
; %bb.18:
	ds_read2_b64 v[7:10], v14 offset1:2
	s_waitcnt lgkmcnt(0)
	v_add_f32_e32 v7, v9, v7
	v_add_f32_e32 v8, v10, v8
	ds_write_b64 v14, v[7:8]
.LBB107_19:
	s_or_b64 exec, exec, s[0:1]
	v_cmp_gt_u32_e32 vcc, 28, v0
	v_mov_b32_e32 v8, v6
	v_mov_b32_e32 v7, v5
	s_waitcnt lgkmcnt(0)
	s_barrier
	s_and_saveexec_b64 s[0:1], vcc
	s_cbranch_execz .LBB107_21
; %bb.20:
	s_movk_i32 s2, 0xd8
	v_mad_u32_u24 v7, v0, s2, v14
	ds_read2_b64 v[7:10], v7 offset1:1
	s_waitcnt lgkmcnt(0)
	v_add_f32_e32 v7, v9, v7
	v_add_f32_e32 v8, v10, v8
.LBB107_21:
	s_or_b64 exec, exec, s[0:1]
	s_branch .LBB107_34
.LBB107_22:
                                        ; implicit-def: $vgpr8
                                        ; implicit-def: $vgpr7
	s_cbranch_execz .LBB107_34
; %bb.23:
	s_movk_i32 s0, 0x150
	v_cmp_gt_u32_e32 vcc, s0, v0
	s_and_saveexec_b64 s[0:1], vcc
	s_cbranch_execz .LBB107_25
; %bb.24:
	ds_read2st64_b64 v[7:10], v14 offset1:7
	s_waitcnt lgkmcnt(0)
	v_add_f32_e32 v7, v9, v7
	v_add_f32_e32 v8, v10, v8
	ds_write_b64 v14, v[7:8]
.LBB107_25:
	s_or_b64 exec, exec, s[0:1]
	s_movk_i32 s0, 0xe0
	v_cmp_gt_u32_e32 vcc, s0, v0
	s_waitcnt lgkmcnt(0)
	s_barrier
	s_and_saveexec_b64 s[0:1], vcc
	s_cbranch_execz .LBB107_27
; %bb.26:
	ds_read2_b64 v[7:10], v14 offset1:224
	s_waitcnt lgkmcnt(0)
	v_add_f32_e32 v7, v9, v7
	v_add_f32_e32 v8, v10, v8
	ds_write_b64 v14, v[7:8]
.LBB107_27:
	s_or_b64 exec, exec, s[0:1]
	s_movk_i32 s0, 0x70
	v_cmp_gt_u32_e32 vcc, s0, v0
	s_waitcnt lgkmcnt(0)
	s_barrier
	s_and_saveexec_b64 s[0:1], vcc
	s_cbranch_execz .LBB107_29
; %bb.28:
	ds_read2_b64 v[7:10], v14 offset1:112
	s_waitcnt lgkmcnt(0)
	v_add_f32_e32 v7, v9, v7
	v_add_f32_e32 v8, v10, v8
	ds_write_b64 v14, v[7:8]
.LBB107_29:
	s_or_b64 exec, exec, s[0:1]
	v_cmp_gt_u32_e32 vcc, 56, v0
	s_waitcnt lgkmcnt(0)
	s_barrier
	s_and_saveexec_b64 s[0:1], vcc
	s_cbranch_execz .LBB107_31
; %bb.30:
	ds_read2_b64 v[7:10], v14 offset1:56
	s_waitcnt lgkmcnt(0)
	v_add_f32_e32 v7, v9, v7
	v_add_f32_e32 v8, v10, v8
	ds_write_b64 v14, v[7:8]
.LBB107_31:
	s_or_b64 exec, exec, s[0:1]
	v_cmp_gt_u32_e32 vcc, 28, v0
	s_waitcnt lgkmcnt(0)
	s_and_saveexec_b64 s[0:1], vcc
	s_cbranch_execz .LBB107_33
; %bb.32:
	ds_read2_b64 v[5:8], v14 offset1:28
	s_waitcnt lgkmcnt(0)
	v_add_f32_e32 v5, v7, v5
	v_add_f32_e32 v6, v8, v6
.LBB107_33:
	s_or_b64 exec, exec, s[0:1]
	v_mov_b32_e32 v8, v6
	v_mov_b32_e32 v7, v5
.LBB107_34:
	v_cmp_gt_u32_e32 vcc, 28, v0
	s_and_b64 exec, exec, vcc
	s_cbranch_execz .LBB107_39
; %bb.35:
	v_cmp_eq_f32_e32 vcc, 0, v1
	v_cmp_eq_f32_e64 s[0:1], 0, v2
	v_mul_f32_e64 v5, v8, -v4
	v_mul_f32_e32 v6, v3, v8
	s_and_b64 s[0:1], vcc, s[0:1]
	v_fmac_f32_e32 v5, v3, v7
	v_fmac_f32_e32 v6, v4, v7
	s_and_saveexec_b64 s[2:3], s[0:1]
	s_xor_b64 s[0:1], exec, s[2:3]
	s_cbranch_execz .LBB107_37
; %bb.36:
	v_mad_u64_u32 v[0:1], s[2:3], s6, 28, v[0:1]
	v_mov_b32_e32 v1, 0
	v_mov_b32_e32 v2, s13
	v_lshlrev_b64 v[0:1], 3, v[0:1]
	v_add_co_u32_e32 v0, vcc, s12, v0
	v_addc_co_u32_e32 v1, vcc, v2, v1, vcc
	global_store_dwordx2 v[0:1], v[5:6], off
                                        ; implicit-def: $vgpr0
                                        ; implicit-def: $vgpr1_vgpr2
                                        ; implicit-def: $vgpr5
.LBB107_37:
	s_andn2_saveexec_b64 s[0:1], s[0:1]
	s_cbranch_execz .LBB107_39
; %bb.38:
	v_mad_u64_u32 v[3:4], s[0:1], s6, 28, v[0:1]
	v_mov_b32_e32 v4, 0
	v_mov_b32_e32 v0, s13
	v_lshlrev_b64 v[3:4], 3, v[3:4]
	v_add_co_u32_e32 v3, vcc, s12, v3
	v_addc_co_u32_e32 v4, vcc, v0, v4, vcc
	global_load_dwordx2 v[7:8], v[3:4], off
	s_waitcnt vmcnt(0)
	v_fmac_f32_e32 v5, v1, v7
	v_fmac_f32_e32 v6, v2, v7
	v_fma_f32 v5, -v2, v8, v5
	v_fmac_f32_e32 v6, v1, v8
	global_store_dwordx2 v[3:4], v[5:6], off
.LBB107_39:
	s_endpgm
	.section	.rodata,"a",@progbits
	.p2align	6, 0x0
	.amdhsa_kernel _ZN9rocsparseL20bsrxmvn_17_32_kernelILj28E21rocsparse_complex_numIfEliS2_S2_S2_EEvT2_20rocsparse_direction_NS_24const_host_device_scalarIT0_EES3_PKS3_PKT1_SC_S9_PKT3_PKT4_S7_PT5_21rocsparse_index_base_b
		.amdhsa_group_segment_fixed_size 6272
		.amdhsa_private_segment_fixed_size 0
		.amdhsa_kernarg_size 96
		.amdhsa_user_sgpr_count 6
		.amdhsa_user_sgpr_private_segment_buffer 1
		.amdhsa_user_sgpr_dispatch_ptr 0
		.amdhsa_user_sgpr_queue_ptr 0
		.amdhsa_user_sgpr_kernarg_segment_ptr 1
		.amdhsa_user_sgpr_dispatch_id 0
		.amdhsa_user_sgpr_flat_scratch_init 0
		.amdhsa_user_sgpr_private_segment_size 0
		.amdhsa_uses_dynamic_stack 0
		.amdhsa_system_sgpr_private_segment_wavefront_offset 0
		.amdhsa_system_sgpr_workgroup_id_x 1
		.amdhsa_system_sgpr_workgroup_id_y 0
		.amdhsa_system_sgpr_workgroup_id_z 0
		.amdhsa_system_sgpr_workgroup_info 0
		.amdhsa_system_vgpr_workitem_id 0
		.amdhsa_next_free_vgpr 22
		.amdhsa_next_free_sgpr 22
		.amdhsa_reserve_vcc 1
		.amdhsa_reserve_flat_scratch 0
		.amdhsa_float_round_mode_32 0
		.amdhsa_float_round_mode_16_64 0
		.amdhsa_float_denorm_mode_32 3
		.amdhsa_float_denorm_mode_16_64 3
		.amdhsa_dx10_clamp 1
		.amdhsa_ieee_mode 1
		.amdhsa_fp16_overflow 0
		.amdhsa_exception_fp_ieee_invalid_op 0
		.amdhsa_exception_fp_denorm_src 0
		.amdhsa_exception_fp_ieee_div_zero 0
		.amdhsa_exception_fp_ieee_overflow 0
		.amdhsa_exception_fp_ieee_underflow 0
		.amdhsa_exception_fp_ieee_inexact 0
		.amdhsa_exception_int_div_zero 0
	.end_amdhsa_kernel
	.section	.text._ZN9rocsparseL20bsrxmvn_17_32_kernelILj28E21rocsparse_complex_numIfEliS2_S2_S2_EEvT2_20rocsparse_direction_NS_24const_host_device_scalarIT0_EES3_PKS3_PKT1_SC_S9_PKT3_PKT4_S7_PT5_21rocsparse_index_base_b,"axG",@progbits,_ZN9rocsparseL20bsrxmvn_17_32_kernelILj28E21rocsparse_complex_numIfEliS2_S2_S2_EEvT2_20rocsparse_direction_NS_24const_host_device_scalarIT0_EES3_PKS3_PKT1_SC_S9_PKT3_PKT4_S7_PT5_21rocsparse_index_base_b,comdat
.Lfunc_end107:
	.size	_ZN9rocsparseL20bsrxmvn_17_32_kernelILj28E21rocsparse_complex_numIfEliS2_S2_S2_EEvT2_20rocsparse_direction_NS_24const_host_device_scalarIT0_EES3_PKS3_PKT1_SC_S9_PKT3_PKT4_S7_PT5_21rocsparse_index_base_b, .Lfunc_end107-_ZN9rocsparseL20bsrxmvn_17_32_kernelILj28E21rocsparse_complex_numIfEliS2_S2_S2_EEvT2_20rocsparse_direction_NS_24const_host_device_scalarIT0_EES3_PKS3_PKT1_SC_S9_PKT3_PKT4_S7_PT5_21rocsparse_index_base_b
                                        ; -- End function
	.set _ZN9rocsparseL20bsrxmvn_17_32_kernelILj28E21rocsparse_complex_numIfEliS2_S2_S2_EEvT2_20rocsparse_direction_NS_24const_host_device_scalarIT0_EES3_PKS3_PKT1_SC_S9_PKT3_PKT4_S7_PT5_21rocsparse_index_base_b.num_vgpr, 22
	.set _ZN9rocsparseL20bsrxmvn_17_32_kernelILj28E21rocsparse_complex_numIfEliS2_S2_S2_EEvT2_20rocsparse_direction_NS_24const_host_device_scalarIT0_EES3_PKS3_PKT1_SC_S9_PKT3_PKT4_S7_PT5_21rocsparse_index_base_b.num_agpr, 0
	.set _ZN9rocsparseL20bsrxmvn_17_32_kernelILj28E21rocsparse_complex_numIfEliS2_S2_S2_EEvT2_20rocsparse_direction_NS_24const_host_device_scalarIT0_EES3_PKS3_PKT1_SC_S9_PKT3_PKT4_S7_PT5_21rocsparse_index_base_b.numbered_sgpr, 22
	.set _ZN9rocsparseL20bsrxmvn_17_32_kernelILj28E21rocsparse_complex_numIfEliS2_S2_S2_EEvT2_20rocsparse_direction_NS_24const_host_device_scalarIT0_EES3_PKS3_PKT1_SC_S9_PKT3_PKT4_S7_PT5_21rocsparse_index_base_b.num_named_barrier, 0
	.set _ZN9rocsparseL20bsrxmvn_17_32_kernelILj28E21rocsparse_complex_numIfEliS2_S2_S2_EEvT2_20rocsparse_direction_NS_24const_host_device_scalarIT0_EES3_PKS3_PKT1_SC_S9_PKT3_PKT4_S7_PT5_21rocsparse_index_base_b.private_seg_size, 0
	.set _ZN9rocsparseL20bsrxmvn_17_32_kernelILj28E21rocsparse_complex_numIfEliS2_S2_S2_EEvT2_20rocsparse_direction_NS_24const_host_device_scalarIT0_EES3_PKS3_PKT1_SC_S9_PKT3_PKT4_S7_PT5_21rocsparse_index_base_b.uses_vcc, 1
	.set _ZN9rocsparseL20bsrxmvn_17_32_kernelILj28E21rocsparse_complex_numIfEliS2_S2_S2_EEvT2_20rocsparse_direction_NS_24const_host_device_scalarIT0_EES3_PKS3_PKT1_SC_S9_PKT3_PKT4_S7_PT5_21rocsparse_index_base_b.uses_flat_scratch, 0
	.set _ZN9rocsparseL20bsrxmvn_17_32_kernelILj28E21rocsparse_complex_numIfEliS2_S2_S2_EEvT2_20rocsparse_direction_NS_24const_host_device_scalarIT0_EES3_PKS3_PKT1_SC_S9_PKT3_PKT4_S7_PT5_21rocsparse_index_base_b.has_dyn_sized_stack, 0
	.set _ZN9rocsparseL20bsrxmvn_17_32_kernelILj28E21rocsparse_complex_numIfEliS2_S2_S2_EEvT2_20rocsparse_direction_NS_24const_host_device_scalarIT0_EES3_PKS3_PKT1_SC_S9_PKT3_PKT4_S7_PT5_21rocsparse_index_base_b.has_recursion, 0
	.set _ZN9rocsparseL20bsrxmvn_17_32_kernelILj28E21rocsparse_complex_numIfEliS2_S2_S2_EEvT2_20rocsparse_direction_NS_24const_host_device_scalarIT0_EES3_PKS3_PKT1_SC_S9_PKT3_PKT4_S7_PT5_21rocsparse_index_base_b.has_indirect_call, 0
	.section	.AMDGPU.csdata,"",@progbits
; Kernel info:
; codeLenInByte = 1476
; TotalNumSgprs: 26
; NumVgprs: 22
; ScratchSize: 0
; MemoryBound: 0
; FloatMode: 240
; IeeeMode: 1
; LDSByteSize: 6272 bytes/workgroup (compile time only)
; SGPRBlocks: 3
; VGPRBlocks: 5
; NumSGPRsForWavesPerEU: 26
; NumVGPRsForWavesPerEU: 22
; Occupancy: 10
; WaveLimiterHint : 1
; COMPUTE_PGM_RSRC2:SCRATCH_EN: 0
; COMPUTE_PGM_RSRC2:USER_SGPR: 6
; COMPUTE_PGM_RSRC2:TRAP_HANDLER: 0
; COMPUTE_PGM_RSRC2:TGID_X_EN: 1
; COMPUTE_PGM_RSRC2:TGID_Y_EN: 0
; COMPUTE_PGM_RSRC2:TGID_Z_EN: 0
; COMPUTE_PGM_RSRC2:TIDIG_COMP_CNT: 0
	.section	.text._ZN9rocsparseL20bsrxmvn_17_32_kernelILj29E21rocsparse_complex_numIfEliS2_S2_S2_EEvT2_20rocsparse_direction_NS_24const_host_device_scalarIT0_EES3_PKS3_PKT1_SC_S9_PKT3_PKT4_S7_PT5_21rocsparse_index_base_b,"axG",@progbits,_ZN9rocsparseL20bsrxmvn_17_32_kernelILj29E21rocsparse_complex_numIfEliS2_S2_S2_EEvT2_20rocsparse_direction_NS_24const_host_device_scalarIT0_EES3_PKS3_PKT1_SC_S9_PKT3_PKT4_S7_PT5_21rocsparse_index_base_b,comdat
	.globl	_ZN9rocsparseL20bsrxmvn_17_32_kernelILj29E21rocsparse_complex_numIfEliS2_S2_S2_EEvT2_20rocsparse_direction_NS_24const_host_device_scalarIT0_EES3_PKS3_PKT1_SC_S9_PKT3_PKT4_S7_PT5_21rocsparse_index_base_b ; -- Begin function _ZN9rocsparseL20bsrxmvn_17_32_kernelILj29E21rocsparse_complex_numIfEliS2_S2_S2_EEvT2_20rocsparse_direction_NS_24const_host_device_scalarIT0_EES3_PKS3_PKT1_SC_S9_PKT3_PKT4_S7_PT5_21rocsparse_index_base_b
	.p2align	8
	.type	_ZN9rocsparseL20bsrxmvn_17_32_kernelILj29E21rocsparse_complex_numIfEliS2_S2_S2_EEvT2_20rocsparse_direction_NS_24const_host_device_scalarIT0_EES3_PKS3_PKT1_SC_S9_PKT3_PKT4_S7_PT5_21rocsparse_index_base_b,@function
_ZN9rocsparseL20bsrxmvn_17_32_kernelILj29E21rocsparse_complex_numIfEliS2_S2_S2_EEvT2_20rocsparse_direction_NS_24const_host_device_scalarIT0_EES3_PKS3_PKT1_SC_S9_PKT3_PKT4_S7_PT5_21rocsparse_index_base_b: ; @_ZN9rocsparseL20bsrxmvn_17_32_kernelILj29E21rocsparse_complex_numIfEliS2_S2_S2_EEvT2_20rocsparse_direction_NS_24const_host_device_scalarIT0_EES3_PKS3_PKT1_SC_S9_PKT3_PKT4_S7_PT5_21rocsparse_index_base_b
; %bb.0:
	s_load_dwordx2 s[0:1], s[4:5], 0x8
	s_load_dwordx2 s[14:15], s[4:5], 0x58
	s_add_u32 s7, s4, 8
	s_addc_u32 s8, s5, 0
	s_add_u32 s9, s4, 0x48
	s_load_dwordx2 s[2:3], s[4:5], 0x48
	s_addc_u32 s10, s5, 0
	s_waitcnt lgkmcnt(0)
	s_bitcmp1_b32 s15, 0
	s_cselect_b32 s1, s8, s1
	s_cselect_b32 s0, s7, s0
	v_mov_b32_e32 v1, s0
	v_mov_b32_e32 v2, s1
	flat_load_dwordx2 v[3:4], v[1:2]
	s_cselect_b32 s0, s10, s3
	s_cselect_b32 s1, s9, s2
	v_mov_b32_e32 v1, s1
	v_mov_b32_e32 v2, s0
	flat_load_dwordx2 v[1:2], v[1:2]
	s_waitcnt vmcnt(0) lgkmcnt(0)
	v_cmp_eq_f32_e32 vcc, 0, v3
	v_cmp_eq_f32_e64 s[0:1], 0, v4
	s_and_b64 s[8:9], vcc, s[0:1]
	s_mov_b64 s[0:1], -1
	s_and_saveexec_b64 s[2:3], s[8:9]
; %bb.1:
	v_cmp_neq_f32_e32 vcc, 1.0, v1
	v_cmp_neq_f32_e64 s[0:1], 0, v2
	s_or_b64 s[0:1], vcc, s[0:1]
	s_orn2_b64 s[0:1], s[0:1], exec
; %bb.2:
	s_or_b64 exec, exec, s[2:3]
	s_and_saveexec_b64 s[2:3], s[0:1]
	s_cbranch_execz .LBB108_39
; %bb.3:
	s_load_dwordx4 s[0:3], s[4:5], 0x18
	s_load_dwordx2 s[8:9], s[4:5], 0x28
	s_waitcnt lgkmcnt(0)
	s_cmp_eq_u64 s[0:1], 0
	s_cbranch_scc1 .LBB108_5
; %bb.4:
	s_ashr_i32 s7, s6, 31
	s_lshl_b64 s[6:7], s[6:7], 2
	s_add_u32 s0, s0, s6
	s_addc_u32 s1, s1, s7
	s_load_dword s0, s[0:1], 0x0
	s_waitcnt lgkmcnt(0)
	s_sub_i32 s6, s0, s14
.LBB108_5:
	s_load_dword s7, s[4:5], 0x4
	s_load_dwordx2 s[12:13], s[4:5], 0x50
	v_mul_u32_u24_e32 v7, 0x8d4, v0
	v_mov_b32_e32 v5, 29
	v_mul_lo_u16_sdwa v5, v7, v5 dst_sel:DWORD dst_unused:UNUSED_PAD src0_sel:WORD_1 src1_sel:DWORD
	s_waitcnt lgkmcnt(0)
	s_cmp_eq_u32 s7, 1
	s_cselect_b64 s[0:1], -1, 0
	s_cmp_lg_u32 s7, 1
	s_cselect_b64 s[16:17], -1, 0
	s_ashr_i32 s7, s6, 31
	s_lshl_b64 s[10:11], s[6:7], 3
	s_add_u32 s2, s2, s10
	s_addc_u32 s3, s3, s11
	s_add_u32 s7, s2, 8
	s_addc_u32 s15, s3, 0
	;; [unrolled: 2-line block ×3, first 2 shown]
	s_cmp_eq_u64 s[8:9], 0
	s_cselect_b32 s9, s15, s11
	s_cselect_b32 s8, s7, s10
	s_load_dwordx2 s[18:19], s[8:9], 0x0
	s_load_dwordx2 s[20:21], s[2:3], 0x0
	v_sub_u16_e32 v15, v0, v5
	v_lshlrev_b32_e32 v14, 3, v0
	s_waitcnt lgkmcnt(0)
	v_mov_b32_e32 v5, s18
	v_mov_b32_e32 v6, s19
	v_cmp_ge_i64_e32 vcc, s[20:21], v[5:6]
	v_mov_b32_e32 v6, 0
	v_mov_b32_e32 v5, 0
	s_cbranch_vccnz .LBB108_10
; %bb.6:
	s_load_dwordx4 s[8:11], s[4:5], 0x30
	s_load_dwordx2 s[2:3], s[4:5], 0x40
	s_sub_u32 s4, s18, s14
	s_mov_b32 s7, 0xffff
	s_subb_u32 s5, s19, 0
	s_movk_i32 s15, 0x349
	v_and_b32_sdwa v5, s7, v7 dst_sel:DWORD dst_unused:UNUSED_PAD src0_sel:DWORD src1_sel:WORD_1
	v_subrev_u32_e32 v6, 29, v5
	v_cmp_gt_u32_e32 vcc, s15, v0
	s_sub_u32 s18, s20, s14
	v_cndmask_b32_e32 v5, v6, v5, vcc
	s_subb_u32 s19, s21, 0
	v_cndmask_b32_e64 v7, v15, v5, s[0:1]
	s_mul_i32 s0, s19, 0x1a48
	s_mul_hi_u32 s1, s18, 0x1a48
	s_add_i32 s1, s1, s0
	s_mul_i32 s0, s18, 0x1a48
	s_waitcnt lgkmcnt(0)
	s_add_u32 s0, s10, s0
	s_addc_u32 s1, s11, s1
	v_mov_b32_e32 v5, s1
	v_add_co_u32_e32 v8, vcc, s0, v14
	v_addc_co_u32_e32 v9, vcc, 0, v5, vcc
	s_movk_i32 s0, 0x348
	v_cmp_lt_u32_e32 vcc, s0, v0
	v_cndmask_b32_e64 v16, 0, 1, vcc
	v_mov_b32_e32 v5, s21
	v_add_co_u32_e32 v10, vcc, s20, v16
	v_addc_co_u32_e32 v5, vcc, 0, v5, vcc
	v_subrev_co_u32_e32 v10, vcc, s14, v10
	v_subbrev_co_u32_e32 v11, vcc, 0, v5, vcc
	v_lshlrev_b64 v[10:11], 2, v[10:11]
	v_mov_b32_e32 v6, 0
	v_mov_b32_e32 v5, s9
	v_add_co_u32_e32 v10, vcc, s8, v10
	v_mov_b32_e32 v13, s5
	v_addc_co_u32_e32 v11, vcc, v5, v11, vcc
	v_mov_b32_e32 v12, s4
	v_mov_b32_e32 v5, v6
	s_branch .LBB108_8
.LBB108_7:                              ;   in Loop: Header=BB108_8 Depth=1
	s_or_b64 exec, exec, s[0:1]
	s_add_u32 s18, s18, 1
	s_addc_u32 s19, s19, 0
	v_cmp_lt_i64_e32 vcc, s[18:19], v[12:13]
	v_add_co_u32_e64 v10, s[0:1], 4, v10
	v_addc_co_u32_e64 v11, s[0:1], 0, v11, s[0:1]
	s_cbranch_vccz .LBB108_10
.LBB108_8:                              ; =>This Inner Loop Header: Depth=1
	v_mov_b32_e32 v18, s19
	v_add_co_u32_e32 v17, vcc, s18, v16
	v_addc_co_u32_e32 v18, vcc, 0, v18, vcc
	v_cmp_gt_i64_e32 vcc, s[4:5], v[17:18]
	s_and_saveexec_b64 s[0:1], vcc
	s_cbranch_execz .LBB108_7
; %bb.9:                                ;   in Loop: Header=BB108_8 Depth=1
	global_load_dword v17, v[10:11], off
	v_mov_b32_e32 v21, s3
	global_load_dwordx2 v[19:20], v[8:9], off
	s_waitcnt vmcnt(1)
	v_subrev_u32_e32 v17, s14, v17
	v_mad_u64_u32 v[17:18], s[8:9], v17, 29, v[7:8]
	v_ashrrev_i32_e32 v18, 31, v17
	v_lshlrev_b64 v[17:18], 3, v[17:18]
	v_add_co_u32_e32 v17, vcc, s2, v17
	v_addc_co_u32_e32 v18, vcc, v21, v18, vcc
	global_load_dwordx2 v[17:18], v[17:18], off
	v_add_co_u32_e32 v8, vcc, 0x1a48, v8
	v_addc_co_u32_e32 v9, vcc, 0, v9, vcc
	s_waitcnt vmcnt(0)
	v_fmac_f32_e32 v5, v19, v17
	v_fmac_f32_e32 v6, v20, v17
	v_fma_f32 v5, -v20, v18, v5
	v_fmac_f32_e32 v6, v19, v18
	s_branch .LBB108_7
.LBB108_10:
	s_and_b64 vcc, exec, s[16:17]
	ds_write_b64 v14, v[5:6]
	s_waitcnt lgkmcnt(0)
	s_barrier
	s_cbranch_vccz .LBB108_22
; %bb.11:
	v_cmp_gt_u16_e32 vcc, 13, v15
	s_and_saveexec_b64 s[0:1], vcc
	s_cbranch_execz .LBB108_13
; %bb.12:
	ds_read2_b64 v[7:10], v14 offset1:16
	s_waitcnt lgkmcnt(0)
	v_add_f32_e32 v7, v9, v7
	v_add_f32_e32 v8, v10, v8
	ds_write_b64 v14, v[7:8]
.LBB108_13:
	s_or_b64 exec, exec, s[0:1]
	v_cmp_gt_u16_e32 vcc, 8, v15
	s_waitcnt lgkmcnt(0)
	s_barrier
	s_and_saveexec_b64 s[0:1], vcc
	s_cbranch_execz .LBB108_15
; %bb.14:
	ds_read2_b64 v[7:10], v14 offset1:8
	s_waitcnt lgkmcnt(0)
	v_add_f32_e32 v7, v9, v7
	v_add_f32_e32 v8, v10, v8
	ds_write_b64 v14, v[7:8]
.LBB108_15:
	s_or_b64 exec, exec, s[0:1]
	v_cmp_gt_u16_e32 vcc, 4, v15
	s_waitcnt lgkmcnt(0)
	s_barrier
	;; [unrolled: 13-line block ×3, first 2 shown]
	s_and_saveexec_b64 s[0:1], vcc
	s_cbranch_execz .LBB108_19
; %bb.18:
	ds_read2_b64 v[7:10], v14 offset1:2
	s_waitcnt lgkmcnt(0)
	v_add_f32_e32 v7, v9, v7
	v_add_f32_e32 v8, v10, v8
	ds_write_b64 v14, v[7:8]
.LBB108_19:
	s_or_b64 exec, exec, s[0:1]
	v_cmp_gt_u32_e32 vcc, 29, v0
	v_mov_b32_e32 v8, v6
	v_mov_b32_e32 v7, v5
	s_waitcnt lgkmcnt(0)
	s_barrier
	s_and_saveexec_b64 s[0:1], vcc
	s_cbranch_execz .LBB108_21
; %bb.20:
	s_movk_i32 s2, 0xe0
	v_mad_u32_u24 v7, v0, s2, v14
	ds_read2_b64 v[7:10], v7 offset1:1
	s_waitcnt lgkmcnt(0)
	v_add_f32_e32 v7, v9, v7
	v_add_f32_e32 v8, v10, v8
.LBB108_21:
	s_or_b64 exec, exec, s[0:1]
	s_branch .LBB108_34
.LBB108_22:
                                        ; implicit-def: $vgpr8
                                        ; implicit-def: $vgpr7
	s_cbranch_execz .LBB108_34
; %bb.23:
	s_movk_i32 s0, 0x179
	v_cmp_gt_u32_e32 vcc, s0, v0
	s_and_saveexec_b64 s[0:1], vcc
	s_cbranch_execz .LBB108_25
; %bb.24:
	ds_read_b64 v[7:8], v14 offset:3712
	ds_read_b64 v[9:10], v14
	s_waitcnt lgkmcnt(0)
	v_add_f32_e32 v7, v7, v9
	v_add_f32_e32 v8, v8, v10
	ds_write_b64 v14, v[7:8]
.LBB108_25:
	s_or_b64 exec, exec, s[0:1]
	s_movk_i32 s0, 0xe8
	v_cmp_gt_u32_e32 vcc, s0, v0
	s_waitcnt lgkmcnt(0)
	s_barrier
	s_and_saveexec_b64 s[0:1], vcc
	s_cbranch_execz .LBB108_27
; %bb.26:
	ds_read2_b64 v[7:10], v14 offset1:232
	s_waitcnt lgkmcnt(0)
	v_add_f32_e32 v7, v9, v7
	v_add_f32_e32 v8, v10, v8
	ds_write_b64 v14, v[7:8]
.LBB108_27:
	s_or_b64 exec, exec, s[0:1]
	s_movk_i32 s0, 0x74
	v_cmp_gt_u32_e32 vcc, s0, v0
	s_waitcnt lgkmcnt(0)
	s_barrier
	s_and_saveexec_b64 s[0:1], vcc
	s_cbranch_execz .LBB108_29
; %bb.28:
	ds_read2_b64 v[7:10], v14 offset1:116
	s_waitcnt lgkmcnt(0)
	v_add_f32_e32 v7, v9, v7
	v_add_f32_e32 v8, v10, v8
	ds_write_b64 v14, v[7:8]
.LBB108_29:
	s_or_b64 exec, exec, s[0:1]
	v_cmp_gt_u32_e32 vcc, 58, v0
	s_waitcnt lgkmcnt(0)
	s_barrier
	s_and_saveexec_b64 s[0:1], vcc
	s_cbranch_execz .LBB108_31
; %bb.30:
	ds_read2_b64 v[7:10], v14 offset1:58
	s_waitcnt lgkmcnt(0)
	v_add_f32_e32 v7, v9, v7
	v_add_f32_e32 v8, v10, v8
	ds_write_b64 v14, v[7:8]
.LBB108_31:
	s_or_b64 exec, exec, s[0:1]
	v_cmp_gt_u32_e32 vcc, 29, v0
	s_waitcnt lgkmcnt(0)
	s_and_saveexec_b64 s[0:1], vcc
	s_cbranch_execz .LBB108_33
; %bb.32:
	ds_read2_b64 v[5:8], v14 offset1:29
	s_waitcnt lgkmcnt(0)
	v_add_f32_e32 v5, v7, v5
	v_add_f32_e32 v6, v8, v6
.LBB108_33:
	s_or_b64 exec, exec, s[0:1]
	v_mov_b32_e32 v8, v6
	v_mov_b32_e32 v7, v5
.LBB108_34:
	v_cmp_gt_u32_e32 vcc, 29, v0
	s_and_b64 exec, exec, vcc
	s_cbranch_execz .LBB108_39
; %bb.35:
	v_cmp_eq_f32_e32 vcc, 0, v1
	v_cmp_eq_f32_e64 s[0:1], 0, v2
	v_mul_f32_e64 v5, v8, -v4
	v_mul_f32_e32 v6, v3, v8
	s_and_b64 s[0:1], vcc, s[0:1]
	v_fmac_f32_e32 v5, v3, v7
	v_fmac_f32_e32 v6, v4, v7
	s_and_saveexec_b64 s[2:3], s[0:1]
	s_xor_b64 s[0:1], exec, s[2:3]
	s_cbranch_execz .LBB108_37
; %bb.36:
	v_mad_u64_u32 v[0:1], s[2:3], s6, 29, v[0:1]
	v_mov_b32_e32 v1, 0
	v_mov_b32_e32 v2, s13
	v_lshlrev_b64 v[0:1], 3, v[0:1]
	v_add_co_u32_e32 v0, vcc, s12, v0
	v_addc_co_u32_e32 v1, vcc, v2, v1, vcc
	global_store_dwordx2 v[0:1], v[5:6], off
                                        ; implicit-def: $vgpr0
                                        ; implicit-def: $vgpr1_vgpr2
                                        ; implicit-def: $vgpr5
.LBB108_37:
	s_andn2_saveexec_b64 s[0:1], s[0:1]
	s_cbranch_execz .LBB108_39
; %bb.38:
	v_mad_u64_u32 v[3:4], s[0:1], s6, 29, v[0:1]
	v_mov_b32_e32 v4, 0
	v_mov_b32_e32 v0, s13
	v_lshlrev_b64 v[3:4], 3, v[3:4]
	v_add_co_u32_e32 v3, vcc, s12, v3
	v_addc_co_u32_e32 v4, vcc, v0, v4, vcc
	global_load_dwordx2 v[7:8], v[3:4], off
	s_waitcnt vmcnt(0)
	v_fmac_f32_e32 v5, v1, v7
	v_fmac_f32_e32 v6, v2, v7
	v_fma_f32 v5, -v2, v8, v5
	v_fmac_f32_e32 v6, v1, v8
	global_store_dwordx2 v[3:4], v[5:6], off
.LBB108_39:
	s_endpgm
	.section	.rodata,"a",@progbits
	.p2align	6, 0x0
	.amdhsa_kernel _ZN9rocsparseL20bsrxmvn_17_32_kernelILj29E21rocsparse_complex_numIfEliS2_S2_S2_EEvT2_20rocsparse_direction_NS_24const_host_device_scalarIT0_EES3_PKS3_PKT1_SC_S9_PKT3_PKT4_S7_PT5_21rocsparse_index_base_b
		.amdhsa_group_segment_fixed_size 6728
		.amdhsa_private_segment_fixed_size 0
		.amdhsa_kernarg_size 96
		.amdhsa_user_sgpr_count 6
		.amdhsa_user_sgpr_private_segment_buffer 1
		.amdhsa_user_sgpr_dispatch_ptr 0
		.amdhsa_user_sgpr_queue_ptr 0
		.amdhsa_user_sgpr_kernarg_segment_ptr 1
		.amdhsa_user_sgpr_dispatch_id 0
		.amdhsa_user_sgpr_flat_scratch_init 0
		.amdhsa_user_sgpr_private_segment_size 0
		.amdhsa_uses_dynamic_stack 0
		.amdhsa_system_sgpr_private_segment_wavefront_offset 0
		.amdhsa_system_sgpr_workgroup_id_x 1
		.amdhsa_system_sgpr_workgroup_id_y 0
		.amdhsa_system_sgpr_workgroup_id_z 0
		.amdhsa_system_sgpr_workgroup_info 0
		.amdhsa_system_vgpr_workitem_id 0
		.amdhsa_next_free_vgpr 33
		.amdhsa_next_free_sgpr 77
		.amdhsa_reserve_vcc 1
		.amdhsa_reserve_flat_scratch 0
		.amdhsa_float_round_mode_32 0
		.amdhsa_float_round_mode_16_64 0
		.amdhsa_float_denorm_mode_32 3
		.amdhsa_float_denorm_mode_16_64 3
		.amdhsa_dx10_clamp 1
		.amdhsa_ieee_mode 1
		.amdhsa_fp16_overflow 0
		.amdhsa_exception_fp_ieee_invalid_op 0
		.amdhsa_exception_fp_denorm_src 0
		.amdhsa_exception_fp_ieee_div_zero 0
		.amdhsa_exception_fp_ieee_overflow 0
		.amdhsa_exception_fp_ieee_underflow 0
		.amdhsa_exception_fp_ieee_inexact 0
		.amdhsa_exception_int_div_zero 0
	.end_amdhsa_kernel
	.section	.text._ZN9rocsparseL20bsrxmvn_17_32_kernelILj29E21rocsparse_complex_numIfEliS2_S2_S2_EEvT2_20rocsparse_direction_NS_24const_host_device_scalarIT0_EES3_PKS3_PKT1_SC_S9_PKT3_PKT4_S7_PT5_21rocsparse_index_base_b,"axG",@progbits,_ZN9rocsparseL20bsrxmvn_17_32_kernelILj29E21rocsparse_complex_numIfEliS2_S2_S2_EEvT2_20rocsparse_direction_NS_24const_host_device_scalarIT0_EES3_PKS3_PKT1_SC_S9_PKT3_PKT4_S7_PT5_21rocsparse_index_base_b,comdat
.Lfunc_end108:
	.size	_ZN9rocsparseL20bsrxmvn_17_32_kernelILj29E21rocsparse_complex_numIfEliS2_S2_S2_EEvT2_20rocsparse_direction_NS_24const_host_device_scalarIT0_EES3_PKS3_PKT1_SC_S9_PKT3_PKT4_S7_PT5_21rocsparse_index_base_b, .Lfunc_end108-_ZN9rocsparseL20bsrxmvn_17_32_kernelILj29E21rocsparse_complex_numIfEliS2_S2_S2_EEvT2_20rocsparse_direction_NS_24const_host_device_scalarIT0_EES3_PKS3_PKT1_SC_S9_PKT3_PKT4_S7_PT5_21rocsparse_index_base_b
                                        ; -- End function
	.set _ZN9rocsparseL20bsrxmvn_17_32_kernelILj29E21rocsparse_complex_numIfEliS2_S2_S2_EEvT2_20rocsparse_direction_NS_24const_host_device_scalarIT0_EES3_PKS3_PKT1_SC_S9_PKT3_PKT4_S7_PT5_21rocsparse_index_base_b.num_vgpr, 22
	.set _ZN9rocsparseL20bsrxmvn_17_32_kernelILj29E21rocsparse_complex_numIfEliS2_S2_S2_EEvT2_20rocsparse_direction_NS_24const_host_device_scalarIT0_EES3_PKS3_PKT1_SC_S9_PKT3_PKT4_S7_PT5_21rocsparse_index_base_b.num_agpr, 0
	.set _ZN9rocsparseL20bsrxmvn_17_32_kernelILj29E21rocsparse_complex_numIfEliS2_S2_S2_EEvT2_20rocsparse_direction_NS_24const_host_device_scalarIT0_EES3_PKS3_PKT1_SC_S9_PKT3_PKT4_S7_PT5_21rocsparse_index_base_b.numbered_sgpr, 22
	.set _ZN9rocsparseL20bsrxmvn_17_32_kernelILj29E21rocsparse_complex_numIfEliS2_S2_S2_EEvT2_20rocsparse_direction_NS_24const_host_device_scalarIT0_EES3_PKS3_PKT1_SC_S9_PKT3_PKT4_S7_PT5_21rocsparse_index_base_b.num_named_barrier, 0
	.set _ZN9rocsparseL20bsrxmvn_17_32_kernelILj29E21rocsparse_complex_numIfEliS2_S2_S2_EEvT2_20rocsparse_direction_NS_24const_host_device_scalarIT0_EES3_PKS3_PKT1_SC_S9_PKT3_PKT4_S7_PT5_21rocsparse_index_base_b.private_seg_size, 0
	.set _ZN9rocsparseL20bsrxmvn_17_32_kernelILj29E21rocsparse_complex_numIfEliS2_S2_S2_EEvT2_20rocsparse_direction_NS_24const_host_device_scalarIT0_EES3_PKS3_PKT1_SC_S9_PKT3_PKT4_S7_PT5_21rocsparse_index_base_b.uses_vcc, 1
	.set _ZN9rocsparseL20bsrxmvn_17_32_kernelILj29E21rocsparse_complex_numIfEliS2_S2_S2_EEvT2_20rocsparse_direction_NS_24const_host_device_scalarIT0_EES3_PKS3_PKT1_SC_S9_PKT3_PKT4_S7_PT5_21rocsparse_index_base_b.uses_flat_scratch, 0
	.set _ZN9rocsparseL20bsrxmvn_17_32_kernelILj29E21rocsparse_complex_numIfEliS2_S2_S2_EEvT2_20rocsparse_direction_NS_24const_host_device_scalarIT0_EES3_PKS3_PKT1_SC_S9_PKT3_PKT4_S7_PT5_21rocsparse_index_base_b.has_dyn_sized_stack, 0
	.set _ZN9rocsparseL20bsrxmvn_17_32_kernelILj29E21rocsparse_complex_numIfEliS2_S2_S2_EEvT2_20rocsparse_direction_NS_24const_host_device_scalarIT0_EES3_PKS3_PKT1_SC_S9_PKT3_PKT4_S7_PT5_21rocsparse_index_base_b.has_recursion, 0
	.set _ZN9rocsparseL20bsrxmvn_17_32_kernelILj29E21rocsparse_complex_numIfEliS2_S2_S2_EEvT2_20rocsparse_direction_NS_24const_host_device_scalarIT0_EES3_PKS3_PKT1_SC_S9_PKT3_PKT4_S7_PT5_21rocsparse_index_base_b.has_indirect_call, 0
	.section	.AMDGPU.csdata,"",@progbits
; Kernel info:
; codeLenInByte = 1484
; TotalNumSgprs: 26
; NumVgprs: 22
; ScratchSize: 0
; MemoryBound: 0
; FloatMode: 240
; IeeeMode: 1
; LDSByteSize: 6728 bytes/workgroup (compile time only)
; SGPRBlocks: 10
; VGPRBlocks: 8
; NumSGPRsForWavesPerEU: 81
; NumVGPRsForWavesPerEU: 33
; Occupancy: 7
; WaveLimiterHint : 1
; COMPUTE_PGM_RSRC2:SCRATCH_EN: 0
; COMPUTE_PGM_RSRC2:USER_SGPR: 6
; COMPUTE_PGM_RSRC2:TRAP_HANDLER: 0
; COMPUTE_PGM_RSRC2:TGID_X_EN: 1
; COMPUTE_PGM_RSRC2:TGID_Y_EN: 0
; COMPUTE_PGM_RSRC2:TGID_Z_EN: 0
; COMPUTE_PGM_RSRC2:TIDIG_COMP_CNT: 0
	.section	.text._ZN9rocsparseL20bsrxmvn_17_32_kernelILj30E21rocsparse_complex_numIfEliS2_S2_S2_EEvT2_20rocsparse_direction_NS_24const_host_device_scalarIT0_EES3_PKS3_PKT1_SC_S9_PKT3_PKT4_S7_PT5_21rocsparse_index_base_b,"axG",@progbits,_ZN9rocsparseL20bsrxmvn_17_32_kernelILj30E21rocsparse_complex_numIfEliS2_S2_S2_EEvT2_20rocsparse_direction_NS_24const_host_device_scalarIT0_EES3_PKS3_PKT1_SC_S9_PKT3_PKT4_S7_PT5_21rocsparse_index_base_b,comdat
	.globl	_ZN9rocsparseL20bsrxmvn_17_32_kernelILj30E21rocsparse_complex_numIfEliS2_S2_S2_EEvT2_20rocsparse_direction_NS_24const_host_device_scalarIT0_EES3_PKS3_PKT1_SC_S9_PKT3_PKT4_S7_PT5_21rocsparse_index_base_b ; -- Begin function _ZN9rocsparseL20bsrxmvn_17_32_kernelILj30E21rocsparse_complex_numIfEliS2_S2_S2_EEvT2_20rocsparse_direction_NS_24const_host_device_scalarIT0_EES3_PKS3_PKT1_SC_S9_PKT3_PKT4_S7_PT5_21rocsparse_index_base_b
	.p2align	8
	.type	_ZN9rocsparseL20bsrxmvn_17_32_kernelILj30E21rocsparse_complex_numIfEliS2_S2_S2_EEvT2_20rocsparse_direction_NS_24const_host_device_scalarIT0_EES3_PKS3_PKT1_SC_S9_PKT3_PKT4_S7_PT5_21rocsparse_index_base_b,@function
_ZN9rocsparseL20bsrxmvn_17_32_kernelILj30E21rocsparse_complex_numIfEliS2_S2_S2_EEvT2_20rocsparse_direction_NS_24const_host_device_scalarIT0_EES3_PKS3_PKT1_SC_S9_PKT3_PKT4_S7_PT5_21rocsparse_index_base_b: ; @_ZN9rocsparseL20bsrxmvn_17_32_kernelILj30E21rocsparse_complex_numIfEliS2_S2_S2_EEvT2_20rocsparse_direction_NS_24const_host_device_scalarIT0_EES3_PKS3_PKT1_SC_S9_PKT3_PKT4_S7_PT5_21rocsparse_index_base_b
; %bb.0:
	s_load_dwordx2 s[0:1], s[4:5], 0x8
	s_load_dwordx2 s[14:15], s[4:5], 0x58
	s_add_u32 s7, s4, 8
	s_addc_u32 s8, s5, 0
	s_add_u32 s9, s4, 0x48
	s_load_dwordx2 s[2:3], s[4:5], 0x48
	s_addc_u32 s10, s5, 0
	s_waitcnt lgkmcnt(0)
	s_bitcmp1_b32 s15, 0
	s_cselect_b32 s1, s8, s1
	s_cselect_b32 s0, s7, s0
	v_mov_b32_e32 v1, s0
	v_mov_b32_e32 v2, s1
	flat_load_dwordx2 v[3:4], v[1:2]
	s_cselect_b32 s0, s10, s3
	s_cselect_b32 s1, s9, s2
	v_mov_b32_e32 v1, s1
	v_mov_b32_e32 v2, s0
	flat_load_dwordx2 v[1:2], v[1:2]
	s_waitcnt vmcnt(0) lgkmcnt(0)
	v_cmp_eq_f32_e32 vcc, 0, v3
	v_cmp_eq_f32_e64 s[0:1], 0, v4
	s_and_b64 s[8:9], vcc, s[0:1]
	s_mov_b64 s[0:1], -1
	s_and_saveexec_b64 s[2:3], s[8:9]
; %bb.1:
	v_cmp_neq_f32_e32 vcc, 1.0, v1
	v_cmp_neq_f32_e64 s[0:1], 0, v2
	s_or_b64 s[0:1], vcc, s[0:1]
	s_orn2_b64 s[0:1], s[0:1], exec
; %bb.2:
	s_or_b64 exec, exec, s[2:3]
	s_and_saveexec_b64 s[2:3], s[0:1]
	s_cbranch_execz .LBB109_39
; %bb.3:
	s_load_dwordx4 s[0:3], s[4:5], 0x18
	s_load_dwordx2 s[8:9], s[4:5], 0x28
	s_waitcnt lgkmcnt(0)
	s_cmp_eq_u64 s[0:1], 0
	s_cbranch_scc1 .LBB109_5
; %bb.4:
	s_ashr_i32 s7, s6, 31
	s_lshl_b64 s[6:7], s[6:7], 2
	s_add_u32 s0, s0, s6
	s_addc_u32 s1, s1, s7
	s_load_dword s0, s[0:1], 0x0
	s_waitcnt lgkmcnt(0)
	s_sub_i32 s6, s0, s14
.LBB109_5:
	s_load_dword s7, s[4:5], 0x4
	s_load_dwordx2 s[12:13], s[4:5], 0x50
	v_mul_u32_u24_e32 v7, 0x889, v0
	v_mov_b32_e32 v5, 30
	v_mul_lo_u16_sdwa v5, v7, v5 dst_sel:DWORD dst_unused:UNUSED_PAD src0_sel:WORD_1 src1_sel:DWORD
	s_waitcnt lgkmcnt(0)
	s_cmp_eq_u32 s7, 1
	s_cselect_b64 s[0:1], -1, 0
	s_cmp_lg_u32 s7, 1
	s_cselect_b64 s[16:17], -1, 0
	s_ashr_i32 s7, s6, 31
	s_lshl_b64 s[10:11], s[6:7], 3
	s_add_u32 s2, s2, s10
	s_addc_u32 s3, s3, s11
	s_add_u32 s7, s2, 8
	s_addc_u32 s15, s3, 0
	;; [unrolled: 2-line block ×3, first 2 shown]
	s_cmp_eq_u64 s[8:9], 0
	s_cselect_b32 s9, s15, s11
	s_cselect_b32 s8, s7, s10
	s_load_dwordx2 s[18:19], s[8:9], 0x0
	s_load_dwordx2 s[20:21], s[2:3], 0x0
	v_sub_u16_e32 v15, v0, v5
	v_lshlrev_b32_e32 v14, 3, v0
	s_waitcnt lgkmcnt(0)
	v_mov_b32_e32 v5, s18
	v_mov_b32_e32 v6, s19
	v_cmp_ge_i64_e32 vcc, s[20:21], v[5:6]
	v_mov_b32_e32 v6, 0
	v_mov_b32_e32 v5, 0
	s_cbranch_vccnz .LBB109_10
; %bb.6:
	s_load_dwordx4 s[8:11], s[4:5], 0x30
	s_load_dwordx2 s[2:3], s[4:5], 0x40
	s_sub_u32 s4, s18, s14
	s_mov_b32 s7, 0xffff
	s_subb_u32 s5, s19, 0
	s_movk_i32 s15, 0x384
	v_and_b32_sdwa v5, s7, v7 dst_sel:DWORD dst_unused:UNUSED_PAD src0_sel:DWORD src1_sel:WORD_1
	v_subrev_u32_e32 v6, 30, v5
	v_cmp_gt_u32_e32 vcc, s15, v0
	s_sub_u32 s18, s20, s14
	v_cndmask_b32_e32 v5, v6, v5, vcc
	s_subb_u32 s19, s21, 0
	v_cndmask_b32_e64 v7, v15, v5, s[0:1]
	s_mul_i32 s0, s19, 0x1c20
	s_mul_hi_u32 s1, s18, 0x1c20
	s_add_i32 s1, s1, s0
	s_mul_i32 s0, s18, 0x1c20
	s_waitcnt lgkmcnt(0)
	s_add_u32 s0, s10, s0
	s_addc_u32 s1, s11, s1
	v_mov_b32_e32 v5, s1
	v_add_co_u32_e32 v8, vcc, s0, v14
	v_addc_co_u32_e32 v9, vcc, 0, v5, vcc
	s_movk_i32 s0, 0x383
	v_cmp_lt_u32_e32 vcc, s0, v0
	v_cndmask_b32_e64 v16, 0, 1, vcc
	v_mov_b32_e32 v5, s21
	v_add_co_u32_e32 v10, vcc, s20, v16
	v_addc_co_u32_e32 v5, vcc, 0, v5, vcc
	v_subrev_co_u32_e32 v10, vcc, s14, v10
	v_subbrev_co_u32_e32 v11, vcc, 0, v5, vcc
	v_lshlrev_b64 v[10:11], 2, v[10:11]
	v_mov_b32_e32 v6, 0
	v_mov_b32_e32 v5, s9
	v_add_co_u32_e32 v10, vcc, s8, v10
	v_mov_b32_e32 v13, s5
	v_addc_co_u32_e32 v11, vcc, v5, v11, vcc
	v_mov_b32_e32 v12, s4
	v_mov_b32_e32 v5, v6
	s_branch .LBB109_8
.LBB109_7:                              ;   in Loop: Header=BB109_8 Depth=1
	s_or_b64 exec, exec, s[0:1]
	s_add_u32 s18, s18, 1
	s_addc_u32 s19, s19, 0
	v_cmp_lt_i64_e32 vcc, s[18:19], v[12:13]
	v_add_co_u32_e64 v10, s[0:1], 4, v10
	v_addc_co_u32_e64 v11, s[0:1], 0, v11, s[0:1]
	s_cbranch_vccz .LBB109_10
.LBB109_8:                              ; =>This Inner Loop Header: Depth=1
	v_mov_b32_e32 v18, s19
	v_add_co_u32_e32 v17, vcc, s18, v16
	v_addc_co_u32_e32 v18, vcc, 0, v18, vcc
	v_cmp_gt_i64_e32 vcc, s[4:5], v[17:18]
	s_and_saveexec_b64 s[0:1], vcc
	s_cbranch_execz .LBB109_7
; %bb.9:                                ;   in Loop: Header=BB109_8 Depth=1
	global_load_dword v17, v[10:11], off
	v_mov_b32_e32 v21, s3
	global_load_dwordx2 v[19:20], v[8:9], off
	s_waitcnt vmcnt(1)
	v_subrev_u32_e32 v17, s14, v17
	v_mad_u64_u32 v[17:18], s[8:9], v17, 30, v[7:8]
	v_ashrrev_i32_e32 v18, 31, v17
	v_lshlrev_b64 v[17:18], 3, v[17:18]
	v_add_co_u32_e32 v17, vcc, s2, v17
	v_addc_co_u32_e32 v18, vcc, v21, v18, vcc
	global_load_dwordx2 v[17:18], v[17:18], off
	v_add_co_u32_e32 v8, vcc, 0x1c20, v8
	v_addc_co_u32_e32 v9, vcc, 0, v9, vcc
	s_waitcnt vmcnt(0)
	v_fmac_f32_e32 v5, v19, v17
	v_fmac_f32_e32 v6, v20, v17
	v_fma_f32 v5, -v20, v18, v5
	v_fmac_f32_e32 v6, v19, v18
	s_branch .LBB109_7
.LBB109_10:
	s_and_b64 vcc, exec, s[16:17]
	ds_write_b64 v14, v[5:6]
	s_waitcnt lgkmcnt(0)
	s_barrier
	s_cbranch_vccz .LBB109_22
; %bb.11:
	v_cmp_gt_u16_e32 vcc, 14, v15
	s_and_saveexec_b64 s[0:1], vcc
	s_cbranch_execz .LBB109_13
; %bb.12:
	ds_read2_b64 v[7:10], v14 offset1:16
	s_waitcnt lgkmcnt(0)
	v_add_f32_e32 v7, v9, v7
	v_add_f32_e32 v8, v10, v8
	ds_write_b64 v14, v[7:8]
.LBB109_13:
	s_or_b64 exec, exec, s[0:1]
	v_cmp_gt_u16_e32 vcc, 8, v15
	s_waitcnt lgkmcnt(0)
	s_barrier
	s_and_saveexec_b64 s[0:1], vcc
	s_cbranch_execz .LBB109_15
; %bb.14:
	ds_read2_b64 v[7:10], v14 offset1:8
	s_waitcnt lgkmcnt(0)
	v_add_f32_e32 v7, v9, v7
	v_add_f32_e32 v8, v10, v8
	ds_write_b64 v14, v[7:8]
.LBB109_15:
	s_or_b64 exec, exec, s[0:1]
	v_cmp_gt_u16_e32 vcc, 4, v15
	s_waitcnt lgkmcnt(0)
	s_barrier
	;; [unrolled: 13-line block ×3, first 2 shown]
	s_and_saveexec_b64 s[0:1], vcc
	s_cbranch_execz .LBB109_19
; %bb.18:
	ds_read2_b64 v[7:10], v14 offset1:2
	s_waitcnt lgkmcnt(0)
	v_add_f32_e32 v7, v9, v7
	v_add_f32_e32 v8, v10, v8
	ds_write_b64 v14, v[7:8]
.LBB109_19:
	s_or_b64 exec, exec, s[0:1]
	v_cmp_gt_u32_e32 vcc, 30, v0
	v_mov_b32_e32 v8, v6
	v_mov_b32_e32 v7, v5
	s_waitcnt lgkmcnt(0)
	s_barrier
	s_and_saveexec_b64 s[0:1], vcc
	s_cbranch_execz .LBB109_21
; %bb.20:
	s_movk_i32 s2, 0xe8
	v_mad_u32_u24 v7, v0, s2, v14
	ds_read2_b64 v[7:10], v7 offset1:1
	s_waitcnt lgkmcnt(0)
	v_add_f32_e32 v7, v9, v7
	v_add_f32_e32 v8, v10, v8
.LBB109_21:
	s_or_b64 exec, exec, s[0:1]
	s_branch .LBB109_34
.LBB109_22:
                                        ; implicit-def: $vgpr8
                                        ; implicit-def: $vgpr7
	s_cbranch_execz .LBB109_34
; %bb.23:
	s_movk_i32 s0, 0x1a4
	v_cmp_gt_u32_e32 vcc, s0, v0
	s_and_saveexec_b64 s[0:1], vcc
	s_cbranch_execz .LBB109_25
; %bb.24:
	ds_read_b64 v[7:8], v14 offset:3840
	ds_read_b64 v[9:10], v14
	s_waitcnt lgkmcnt(0)
	v_add_f32_e32 v7, v7, v9
	v_add_f32_e32 v8, v8, v10
	ds_write_b64 v14, v[7:8]
.LBB109_25:
	s_or_b64 exec, exec, s[0:1]
	s_movk_i32 s0, 0xf0
	v_cmp_gt_u32_e32 vcc, s0, v0
	s_waitcnt lgkmcnt(0)
	s_barrier
	s_and_saveexec_b64 s[0:1], vcc
	s_cbranch_execz .LBB109_27
; %bb.26:
	ds_read2_b64 v[7:10], v14 offset1:240
	s_waitcnt lgkmcnt(0)
	v_add_f32_e32 v7, v9, v7
	v_add_f32_e32 v8, v10, v8
	ds_write_b64 v14, v[7:8]
.LBB109_27:
	s_or_b64 exec, exec, s[0:1]
	s_movk_i32 s0, 0x78
	v_cmp_gt_u32_e32 vcc, s0, v0
	s_waitcnt lgkmcnt(0)
	s_barrier
	s_and_saveexec_b64 s[0:1], vcc
	s_cbranch_execz .LBB109_29
; %bb.28:
	ds_read2_b64 v[7:10], v14 offset1:120
	s_waitcnt lgkmcnt(0)
	v_add_f32_e32 v7, v9, v7
	v_add_f32_e32 v8, v10, v8
	ds_write_b64 v14, v[7:8]
.LBB109_29:
	s_or_b64 exec, exec, s[0:1]
	v_cmp_gt_u32_e32 vcc, 60, v0
	s_waitcnt lgkmcnt(0)
	s_barrier
	s_and_saveexec_b64 s[0:1], vcc
	s_cbranch_execz .LBB109_31
; %bb.30:
	ds_read2_b64 v[7:10], v14 offset1:60
	s_waitcnt lgkmcnt(0)
	v_add_f32_e32 v7, v9, v7
	v_add_f32_e32 v8, v10, v8
	ds_write_b64 v14, v[7:8]
.LBB109_31:
	s_or_b64 exec, exec, s[0:1]
	v_cmp_gt_u32_e32 vcc, 30, v0
	s_waitcnt lgkmcnt(0)
	s_and_saveexec_b64 s[0:1], vcc
	s_cbranch_execz .LBB109_33
; %bb.32:
	ds_read2_b64 v[5:8], v14 offset1:30
	s_waitcnt lgkmcnt(0)
	v_add_f32_e32 v5, v7, v5
	v_add_f32_e32 v6, v8, v6
.LBB109_33:
	s_or_b64 exec, exec, s[0:1]
	v_mov_b32_e32 v8, v6
	v_mov_b32_e32 v7, v5
.LBB109_34:
	v_cmp_gt_u32_e32 vcc, 30, v0
	s_and_b64 exec, exec, vcc
	s_cbranch_execz .LBB109_39
; %bb.35:
	v_cmp_eq_f32_e32 vcc, 0, v1
	v_cmp_eq_f32_e64 s[0:1], 0, v2
	v_mul_f32_e64 v5, v8, -v4
	v_mul_f32_e32 v6, v3, v8
	s_and_b64 s[0:1], vcc, s[0:1]
	v_fmac_f32_e32 v5, v3, v7
	v_fmac_f32_e32 v6, v4, v7
	s_and_saveexec_b64 s[2:3], s[0:1]
	s_xor_b64 s[0:1], exec, s[2:3]
	s_cbranch_execz .LBB109_37
; %bb.36:
	v_mad_u64_u32 v[0:1], s[2:3], s6, 30, v[0:1]
	v_mov_b32_e32 v1, 0
	v_mov_b32_e32 v2, s13
	v_lshlrev_b64 v[0:1], 3, v[0:1]
	v_add_co_u32_e32 v0, vcc, s12, v0
	v_addc_co_u32_e32 v1, vcc, v2, v1, vcc
	global_store_dwordx2 v[0:1], v[5:6], off
                                        ; implicit-def: $vgpr0
                                        ; implicit-def: $vgpr1_vgpr2
                                        ; implicit-def: $vgpr5
.LBB109_37:
	s_andn2_saveexec_b64 s[0:1], s[0:1]
	s_cbranch_execz .LBB109_39
; %bb.38:
	v_mad_u64_u32 v[3:4], s[0:1], s6, 30, v[0:1]
	v_mov_b32_e32 v4, 0
	v_mov_b32_e32 v0, s13
	v_lshlrev_b64 v[3:4], 3, v[3:4]
	v_add_co_u32_e32 v3, vcc, s12, v3
	v_addc_co_u32_e32 v4, vcc, v0, v4, vcc
	global_load_dwordx2 v[7:8], v[3:4], off
	s_waitcnt vmcnt(0)
	v_fmac_f32_e32 v5, v1, v7
	v_fmac_f32_e32 v6, v2, v7
	v_fma_f32 v5, -v2, v8, v5
	v_fmac_f32_e32 v6, v1, v8
	global_store_dwordx2 v[3:4], v[5:6], off
.LBB109_39:
	s_endpgm
	.section	.rodata,"a",@progbits
	.p2align	6, 0x0
	.amdhsa_kernel _ZN9rocsparseL20bsrxmvn_17_32_kernelILj30E21rocsparse_complex_numIfEliS2_S2_S2_EEvT2_20rocsparse_direction_NS_24const_host_device_scalarIT0_EES3_PKS3_PKT1_SC_S9_PKT3_PKT4_S7_PT5_21rocsparse_index_base_b
		.amdhsa_group_segment_fixed_size 7200
		.amdhsa_private_segment_fixed_size 0
		.amdhsa_kernarg_size 96
		.amdhsa_user_sgpr_count 6
		.amdhsa_user_sgpr_private_segment_buffer 1
		.amdhsa_user_sgpr_dispatch_ptr 0
		.amdhsa_user_sgpr_queue_ptr 0
		.amdhsa_user_sgpr_kernarg_segment_ptr 1
		.amdhsa_user_sgpr_dispatch_id 0
		.amdhsa_user_sgpr_flat_scratch_init 0
		.amdhsa_user_sgpr_private_segment_size 0
		.amdhsa_uses_dynamic_stack 0
		.amdhsa_system_sgpr_private_segment_wavefront_offset 0
		.amdhsa_system_sgpr_workgroup_id_x 1
		.amdhsa_system_sgpr_workgroup_id_y 0
		.amdhsa_system_sgpr_workgroup_id_z 0
		.amdhsa_system_sgpr_workgroup_info 0
		.amdhsa_system_vgpr_workitem_id 0
		.amdhsa_next_free_vgpr 29
		.amdhsa_next_free_sgpr 61
		.amdhsa_reserve_vcc 1
		.amdhsa_reserve_flat_scratch 0
		.amdhsa_float_round_mode_32 0
		.amdhsa_float_round_mode_16_64 0
		.amdhsa_float_denorm_mode_32 3
		.amdhsa_float_denorm_mode_16_64 3
		.amdhsa_dx10_clamp 1
		.amdhsa_ieee_mode 1
		.amdhsa_fp16_overflow 0
		.amdhsa_exception_fp_ieee_invalid_op 0
		.amdhsa_exception_fp_denorm_src 0
		.amdhsa_exception_fp_ieee_div_zero 0
		.amdhsa_exception_fp_ieee_overflow 0
		.amdhsa_exception_fp_ieee_underflow 0
		.amdhsa_exception_fp_ieee_inexact 0
		.amdhsa_exception_int_div_zero 0
	.end_amdhsa_kernel
	.section	.text._ZN9rocsparseL20bsrxmvn_17_32_kernelILj30E21rocsparse_complex_numIfEliS2_S2_S2_EEvT2_20rocsparse_direction_NS_24const_host_device_scalarIT0_EES3_PKS3_PKT1_SC_S9_PKT3_PKT4_S7_PT5_21rocsparse_index_base_b,"axG",@progbits,_ZN9rocsparseL20bsrxmvn_17_32_kernelILj30E21rocsparse_complex_numIfEliS2_S2_S2_EEvT2_20rocsparse_direction_NS_24const_host_device_scalarIT0_EES3_PKS3_PKT1_SC_S9_PKT3_PKT4_S7_PT5_21rocsparse_index_base_b,comdat
.Lfunc_end109:
	.size	_ZN9rocsparseL20bsrxmvn_17_32_kernelILj30E21rocsparse_complex_numIfEliS2_S2_S2_EEvT2_20rocsparse_direction_NS_24const_host_device_scalarIT0_EES3_PKS3_PKT1_SC_S9_PKT3_PKT4_S7_PT5_21rocsparse_index_base_b, .Lfunc_end109-_ZN9rocsparseL20bsrxmvn_17_32_kernelILj30E21rocsparse_complex_numIfEliS2_S2_S2_EEvT2_20rocsparse_direction_NS_24const_host_device_scalarIT0_EES3_PKS3_PKT1_SC_S9_PKT3_PKT4_S7_PT5_21rocsparse_index_base_b
                                        ; -- End function
	.set _ZN9rocsparseL20bsrxmvn_17_32_kernelILj30E21rocsparse_complex_numIfEliS2_S2_S2_EEvT2_20rocsparse_direction_NS_24const_host_device_scalarIT0_EES3_PKS3_PKT1_SC_S9_PKT3_PKT4_S7_PT5_21rocsparse_index_base_b.num_vgpr, 22
	.set _ZN9rocsparseL20bsrxmvn_17_32_kernelILj30E21rocsparse_complex_numIfEliS2_S2_S2_EEvT2_20rocsparse_direction_NS_24const_host_device_scalarIT0_EES3_PKS3_PKT1_SC_S9_PKT3_PKT4_S7_PT5_21rocsparse_index_base_b.num_agpr, 0
	.set _ZN9rocsparseL20bsrxmvn_17_32_kernelILj30E21rocsparse_complex_numIfEliS2_S2_S2_EEvT2_20rocsparse_direction_NS_24const_host_device_scalarIT0_EES3_PKS3_PKT1_SC_S9_PKT3_PKT4_S7_PT5_21rocsparse_index_base_b.numbered_sgpr, 22
	.set _ZN9rocsparseL20bsrxmvn_17_32_kernelILj30E21rocsparse_complex_numIfEliS2_S2_S2_EEvT2_20rocsparse_direction_NS_24const_host_device_scalarIT0_EES3_PKS3_PKT1_SC_S9_PKT3_PKT4_S7_PT5_21rocsparse_index_base_b.num_named_barrier, 0
	.set _ZN9rocsparseL20bsrxmvn_17_32_kernelILj30E21rocsparse_complex_numIfEliS2_S2_S2_EEvT2_20rocsparse_direction_NS_24const_host_device_scalarIT0_EES3_PKS3_PKT1_SC_S9_PKT3_PKT4_S7_PT5_21rocsparse_index_base_b.private_seg_size, 0
	.set _ZN9rocsparseL20bsrxmvn_17_32_kernelILj30E21rocsparse_complex_numIfEliS2_S2_S2_EEvT2_20rocsparse_direction_NS_24const_host_device_scalarIT0_EES3_PKS3_PKT1_SC_S9_PKT3_PKT4_S7_PT5_21rocsparse_index_base_b.uses_vcc, 1
	.set _ZN9rocsparseL20bsrxmvn_17_32_kernelILj30E21rocsparse_complex_numIfEliS2_S2_S2_EEvT2_20rocsparse_direction_NS_24const_host_device_scalarIT0_EES3_PKS3_PKT1_SC_S9_PKT3_PKT4_S7_PT5_21rocsparse_index_base_b.uses_flat_scratch, 0
	.set _ZN9rocsparseL20bsrxmvn_17_32_kernelILj30E21rocsparse_complex_numIfEliS2_S2_S2_EEvT2_20rocsparse_direction_NS_24const_host_device_scalarIT0_EES3_PKS3_PKT1_SC_S9_PKT3_PKT4_S7_PT5_21rocsparse_index_base_b.has_dyn_sized_stack, 0
	.set _ZN9rocsparseL20bsrxmvn_17_32_kernelILj30E21rocsparse_complex_numIfEliS2_S2_S2_EEvT2_20rocsparse_direction_NS_24const_host_device_scalarIT0_EES3_PKS3_PKT1_SC_S9_PKT3_PKT4_S7_PT5_21rocsparse_index_base_b.has_recursion, 0
	.set _ZN9rocsparseL20bsrxmvn_17_32_kernelILj30E21rocsparse_complex_numIfEliS2_S2_S2_EEvT2_20rocsparse_direction_NS_24const_host_device_scalarIT0_EES3_PKS3_PKT1_SC_S9_PKT3_PKT4_S7_PT5_21rocsparse_index_base_b.has_indirect_call, 0
	.section	.AMDGPU.csdata,"",@progbits
; Kernel info:
; codeLenInByte = 1484
; TotalNumSgprs: 26
; NumVgprs: 22
; ScratchSize: 0
; MemoryBound: 0
; FloatMode: 240
; IeeeMode: 1
; LDSByteSize: 7200 bytes/workgroup (compile time only)
; SGPRBlocks: 8
; VGPRBlocks: 7
; NumSGPRsForWavesPerEU: 65
; NumVGPRsForWavesPerEU: 29
; Occupancy: 8
; WaveLimiterHint : 1
; COMPUTE_PGM_RSRC2:SCRATCH_EN: 0
; COMPUTE_PGM_RSRC2:USER_SGPR: 6
; COMPUTE_PGM_RSRC2:TRAP_HANDLER: 0
; COMPUTE_PGM_RSRC2:TGID_X_EN: 1
; COMPUTE_PGM_RSRC2:TGID_Y_EN: 0
; COMPUTE_PGM_RSRC2:TGID_Z_EN: 0
; COMPUTE_PGM_RSRC2:TIDIG_COMP_CNT: 0
	.section	.text._ZN9rocsparseL20bsrxmvn_17_32_kernelILj31E21rocsparse_complex_numIfEliS2_S2_S2_EEvT2_20rocsparse_direction_NS_24const_host_device_scalarIT0_EES3_PKS3_PKT1_SC_S9_PKT3_PKT4_S7_PT5_21rocsparse_index_base_b,"axG",@progbits,_ZN9rocsparseL20bsrxmvn_17_32_kernelILj31E21rocsparse_complex_numIfEliS2_S2_S2_EEvT2_20rocsparse_direction_NS_24const_host_device_scalarIT0_EES3_PKS3_PKT1_SC_S9_PKT3_PKT4_S7_PT5_21rocsparse_index_base_b,comdat
	.globl	_ZN9rocsparseL20bsrxmvn_17_32_kernelILj31E21rocsparse_complex_numIfEliS2_S2_S2_EEvT2_20rocsparse_direction_NS_24const_host_device_scalarIT0_EES3_PKS3_PKT1_SC_S9_PKT3_PKT4_S7_PT5_21rocsparse_index_base_b ; -- Begin function _ZN9rocsparseL20bsrxmvn_17_32_kernelILj31E21rocsparse_complex_numIfEliS2_S2_S2_EEvT2_20rocsparse_direction_NS_24const_host_device_scalarIT0_EES3_PKS3_PKT1_SC_S9_PKT3_PKT4_S7_PT5_21rocsparse_index_base_b
	.p2align	8
	.type	_ZN9rocsparseL20bsrxmvn_17_32_kernelILj31E21rocsparse_complex_numIfEliS2_S2_S2_EEvT2_20rocsparse_direction_NS_24const_host_device_scalarIT0_EES3_PKS3_PKT1_SC_S9_PKT3_PKT4_S7_PT5_21rocsparse_index_base_b,@function
_ZN9rocsparseL20bsrxmvn_17_32_kernelILj31E21rocsparse_complex_numIfEliS2_S2_S2_EEvT2_20rocsparse_direction_NS_24const_host_device_scalarIT0_EES3_PKS3_PKT1_SC_S9_PKT3_PKT4_S7_PT5_21rocsparse_index_base_b: ; @_ZN9rocsparseL20bsrxmvn_17_32_kernelILj31E21rocsparse_complex_numIfEliS2_S2_S2_EEvT2_20rocsparse_direction_NS_24const_host_device_scalarIT0_EES3_PKS3_PKT1_SC_S9_PKT3_PKT4_S7_PT5_21rocsparse_index_base_b
; %bb.0:
	s_load_dwordx2 s[0:1], s[4:5], 0x8
	s_load_dwordx2 s[14:15], s[4:5], 0x58
	s_add_u32 s7, s4, 8
	s_addc_u32 s8, s5, 0
	s_add_u32 s9, s4, 0x48
	s_load_dwordx2 s[2:3], s[4:5], 0x48
	s_addc_u32 s10, s5, 0
	s_waitcnt lgkmcnt(0)
	s_bitcmp1_b32 s15, 0
	s_cselect_b32 s1, s8, s1
	s_cselect_b32 s0, s7, s0
	v_mov_b32_e32 v1, s0
	v_mov_b32_e32 v2, s1
	flat_load_dwordx2 v[3:4], v[1:2]
	s_cselect_b32 s0, s10, s3
	s_cselect_b32 s1, s9, s2
	v_mov_b32_e32 v1, s1
	v_mov_b32_e32 v2, s0
	flat_load_dwordx2 v[1:2], v[1:2]
	s_waitcnt vmcnt(0) lgkmcnt(0)
	v_cmp_eq_f32_e32 vcc, 0, v3
	v_cmp_eq_f32_e64 s[0:1], 0, v4
	s_and_b64 s[8:9], vcc, s[0:1]
	s_mov_b64 s[0:1], -1
	s_and_saveexec_b64 s[2:3], s[8:9]
; %bb.1:
	v_cmp_neq_f32_e32 vcc, 1.0, v1
	v_cmp_neq_f32_e64 s[0:1], 0, v2
	s_or_b64 s[0:1], vcc, s[0:1]
	s_orn2_b64 s[0:1], s[0:1], exec
; %bb.2:
	s_or_b64 exec, exec, s[2:3]
	s_and_saveexec_b64 s[2:3], s[0:1]
	s_cbranch_execz .LBB110_39
; %bb.3:
	s_load_dwordx4 s[0:3], s[4:5], 0x18
	s_load_dwordx2 s[8:9], s[4:5], 0x28
	s_waitcnt lgkmcnt(0)
	s_cmp_eq_u64 s[0:1], 0
	s_cbranch_scc1 .LBB110_5
; %bb.4:
	s_ashr_i32 s7, s6, 31
	s_lshl_b64 s[6:7], s[6:7], 2
	s_add_u32 s0, s0, s6
	s_addc_u32 s1, s1, s7
	s_load_dword s0, s[0:1], 0x0
	s_waitcnt lgkmcnt(0)
	s_sub_i32 s6, s0, s14
.LBB110_5:
	s_load_dword s7, s[4:5], 0x4
	s_load_dwordx2 s[12:13], s[4:5], 0x50
	v_mul_u32_u24_e32 v7, 0x843, v0
	v_mov_b32_e32 v5, 31
	v_mul_lo_u16_sdwa v5, v7, v5 dst_sel:DWORD dst_unused:UNUSED_PAD src0_sel:WORD_1 src1_sel:DWORD
	s_waitcnt lgkmcnt(0)
	s_cmp_eq_u32 s7, 1
	s_cselect_b64 s[0:1], -1, 0
	s_cmp_lg_u32 s7, 1
	s_cselect_b64 s[16:17], -1, 0
	s_ashr_i32 s7, s6, 31
	s_lshl_b64 s[10:11], s[6:7], 3
	s_add_u32 s2, s2, s10
	s_addc_u32 s3, s3, s11
	s_add_u32 s7, s2, 8
	s_addc_u32 s15, s3, 0
	;; [unrolled: 2-line block ×3, first 2 shown]
	s_cmp_eq_u64 s[8:9], 0
	s_cselect_b32 s9, s15, s11
	s_cselect_b32 s8, s7, s10
	s_load_dwordx2 s[18:19], s[8:9], 0x0
	s_load_dwordx2 s[20:21], s[2:3], 0x0
	v_sub_u16_e32 v15, v0, v5
	v_lshlrev_b32_e32 v14, 3, v0
	s_waitcnt lgkmcnt(0)
	v_mov_b32_e32 v5, s18
	v_mov_b32_e32 v6, s19
	v_cmp_ge_i64_e32 vcc, s[20:21], v[5:6]
	v_mov_b32_e32 v6, 0
	v_mov_b32_e32 v5, 0
	s_cbranch_vccnz .LBB110_10
; %bb.6:
	s_load_dwordx4 s[8:11], s[4:5], 0x30
	s_load_dwordx2 s[2:3], s[4:5], 0x40
	s_sub_u32 s4, s18, s14
	s_mov_b32 s7, 0xffff
	s_subb_u32 s5, s19, 0
	s_movk_i32 s15, 0x3c1
	v_and_b32_sdwa v5, s7, v7 dst_sel:DWORD dst_unused:UNUSED_PAD src0_sel:DWORD src1_sel:WORD_1
	v_subrev_u32_e32 v6, 31, v5
	v_cmp_gt_u32_e32 vcc, s15, v0
	s_sub_u32 s18, s20, s14
	v_cndmask_b32_e32 v5, v6, v5, vcc
	s_subb_u32 s19, s21, 0
	v_cndmask_b32_e64 v7, v15, v5, s[0:1]
	s_mul_i32 s0, s19, 0x1e08
	s_mul_hi_u32 s1, s18, 0x1e08
	s_add_i32 s1, s1, s0
	s_mul_i32 s0, s18, 0x1e08
	s_waitcnt lgkmcnt(0)
	s_add_u32 s0, s10, s0
	s_addc_u32 s1, s11, s1
	v_mov_b32_e32 v5, s1
	v_add_co_u32_e32 v8, vcc, s0, v14
	v_addc_co_u32_e32 v9, vcc, 0, v5, vcc
	s_movk_i32 s0, 0x3c0
	v_cmp_lt_u32_e32 vcc, s0, v0
	v_cndmask_b32_e64 v16, 0, 1, vcc
	v_mov_b32_e32 v5, s21
	v_add_co_u32_e32 v10, vcc, s20, v16
	v_addc_co_u32_e32 v5, vcc, 0, v5, vcc
	v_subrev_co_u32_e32 v10, vcc, s14, v10
	v_subbrev_co_u32_e32 v11, vcc, 0, v5, vcc
	v_lshlrev_b64 v[10:11], 2, v[10:11]
	v_mov_b32_e32 v6, 0
	v_mov_b32_e32 v5, s9
	v_add_co_u32_e32 v10, vcc, s8, v10
	v_mov_b32_e32 v13, s5
	v_addc_co_u32_e32 v11, vcc, v5, v11, vcc
	v_mov_b32_e32 v12, s4
	v_mov_b32_e32 v5, v6
	s_branch .LBB110_8
.LBB110_7:                              ;   in Loop: Header=BB110_8 Depth=1
	s_or_b64 exec, exec, s[0:1]
	s_add_u32 s18, s18, 1
	s_addc_u32 s19, s19, 0
	v_cmp_lt_i64_e32 vcc, s[18:19], v[12:13]
	v_add_co_u32_e64 v10, s[0:1], 4, v10
	v_addc_co_u32_e64 v11, s[0:1], 0, v11, s[0:1]
	s_cbranch_vccz .LBB110_10
.LBB110_8:                              ; =>This Inner Loop Header: Depth=1
	v_mov_b32_e32 v18, s19
	v_add_co_u32_e32 v17, vcc, s18, v16
	v_addc_co_u32_e32 v18, vcc, 0, v18, vcc
	v_cmp_gt_i64_e32 vcc, s[4:5], v[17:18]
	s_and_saveexec_b64 s[0:1], vcc
	s_cbranch_execz .LBB110_7
; %bb.9:                                ;   in Loop: Header=BB110_8 Depth=1
	global_load_dword v17, v[10:11], off
	v_mov_b32_e32 v21, s3
	global_load_dwordx2 v[19:20], v[8:9], off
	s_waitcnt vmcnt(1)
	v_subrev_u32_e32 v17, s14, v17
	v_mad_u64_u32 v[17:18], s[8:9], v17, 31, v[7:8]
	v_ashrrev_i32_e32 v18, 31, v17
	v_lshlrev_b64 v[17:18], 3, v[17:18]
	v_add_co_u32_e32 v17, vcc, s2, v17
	v_addc_co_u32_e32 v18, vcc, v21, v18, vcc
	global_load_dwordx2 v[17:18], v[17:18], off
	v_add_co_u32_e32 v8, vcc, 0x1e08, v8
	v_addc_co_u32_e32 v9, vcc, 0, v9, vcc
	s_waitcnt vmcnt(0)
	v_fmac_f32_e32 v5, v19, v17
	v_fmac_f32_e32 v6, v20, v17
	v_fma_f32 v5, -v20, v18, v5
	v_fmac_f32_e32 v6, v19, v18
	s_branch .LBB110_7
.LBB110_10:
	s_and_b64 vcc, exec, s[16:17]
	ds_write_b64 v14, v[5:6]
	s_waitcnt lgkmcnt(0)
	s_barrier
	s_cbranch_vccz .LBB110_22
; %bb.11:
	v_cmp_gt_u16_e32 vcc, 15, v15
	s_and_saveexec_b64 s[0:1], vcc
	s_cbranch_execz .LBB110_13
; %bb.12:
	ds_read2_b64 v[7:10], v14 offset1:16
	s_waitcnt lgkmcnt(0)
	v_add_f32_e32 v7, v9, v7
	v_add_f32_e32 v8, v10, v8
	ds_write_b64 v14, v[7:8]
.LBB110_13:
	s_or_b64 exec, exec, s[0:1]
	v_cmp_gt_u16_e32 vcc, 8, v15
	s_waitcnt lgkmcnt(0)
	s_barrier
	s_and_saveexec_b64 s[0:1], vcc
	s_cbranch_execz .LBB110_15
; %bb.14:
	ds_read2_b64 v[7:10], v14 offset1:8
	s_waitcnt lgkmcnt(0)
	v_add_f32_e32 v7, v9, v7
	v_add_f32_e32 v8, v10, v8
	ds_write_b64 v14, v[7:8]
.LBB110_15:
	s_or_b64 exec, exec, s[0:1]
	v_cmp_gt_u16_e32 vcc, 4, v15
	s_waitcnt lgkmcnt(0)
	s_barrier
	;; [unrolled: 13-line block ×3, first 2 shown]
	s_and_saveexec_b64 s[0:1], vcc
	s_cbranch_execz .LBB110_19
; %bb.18:
	ds_read2_b64 v[7:10], v14 offset1:2
	s_waitcnt lgkmcnt(0)
	v_add_f32_e32 v7, v9, v7
	v_add_f32_e32 v8, v10, v8
	ds_write_b64 v14, v[7:8]
.LBB110_19:
	s_or_b64 exec, exec, s[0:1]
	v_cmp_gt_u32_e32 vcc, 31, v0
	v_mov_b32_e32 v8, v6
	v_mov_b32_e32 v7, v5
	s_waitcnt lgkmcnt(0)
	s_barrier
	s_and_saveexec_b64 s[0:1], vcc
	s_cbranch_execz .LBB110_21
; %bb.20:
	s_movk_i32 s2, 0xf0
	v_mad_u32_u24 v7, v0, s2, v14
	ds_read2_b64 v[7:10], v7 offset1:1
	s_waitcnt lgkmcnt(0)
	v_add_f32_e32 v7, v9, v7
	v_add_f32_e32 v8, v10, v8
.LBB110_21:
	s_or_b64 exec, exec, s[0:1]
	s_branch .LBB110_34
.LBB110_22:
                                        ; implicit-def: $vgpr8
                                        ; implicit-def: $vgpr7
	s_cbranch_execz .LBB110_34
; %bb.23:
	s_movk_i32 s0, 0x1d1
	v_cmp_gt_u32_e32 vcc, s0, v0
	s_and_saveexec_b64 s[0:1], vcc
	s_cbranch_execz .LBB110_25
; %bb.24:
	ds_read_b64 v[7:8], v14 offset:3968
	ds_read_b64 v[9:10], v14
	s_waitcnt lgkmcnt(0)
	v_add_f32_e32 v7, v7, v9
	v_add_f32_e32 v8, v8, v10
	ds_write_b64 v14, v[7:8]
.LBB110_25:
	s_or_b64 exec, exec, s[0:1]
	s_movk_i32 s0, 0xf8
	v_cmp_gt_u32_e32 vcc, s0, v0
	s_waitcnt lgkmcnt(0)
	s_barrier
	s_and_saveexec_b64 s[0:1], vcc
	s_cbranch_execz .LBB110_27
; %bb.26:
	ds_read2_b64 v[7:10], v14 offset1:248
	s_waitcnt lgkmcnt(0)
	v_add_f32_e32 v7, v9, v7
	v_add_f32_e32 v8, v10, v8
	ds_write_b64 v14, v[7:8]
.LBB110_27:
	s_or_b64 exec, exec, s[0:1]
	s_movk_i32 s0, 0x7c
	v_cmp_gt_u32_e32 vcc, s0, v0
	s_waitcnt lgkmcnt(0)
	s_barrier
	s_and_saveexec_b64 s[0:1], vcc
	s_cbranch_execz .LBB110_29
; %bb.28:
	ds_read2_b64 v[7:10], v14 offset1:124
	s_waitcnt lgkmcnt(0)
	v_add_f32_e32 v7, v9, v7
	v_add_f32_e32 v8, v10, v8
	ds_write_b64 v14, v[7:8]
.LBB110_29:
	s_or_b64 exec, exec, s[0:1]
	v_cmp_gt_u32_e32 vcc, 62, v0
	s_waitcnt lgkmcnt(0)
	s_barrier
	s_and_saveexec_b64 s[0:1], vcc
	s_cbranch_execz .LBB110_31
; %bb.30:
	ds_read2_b64 v[7:10], v14 offset1:62
	s_waitcnt lgkmcnt(0)
	v_add_f32_e32 v7, v9, v7
	v_add_f32_e32 v8, v10, v8
	ds_write_b64 v14, v[7:8]
.LBB110_31:
	s_or_b64 exec, exec, s[0:1]
	v_cmp_gt_u32_e32 vcc, 31, v0
	s_waitcnt lgkmcnt(0)
	s_and_saveexec_b64 s[0:1], vcc
	s_cbranch_execz .LBB110_33
; %bb.32:
	ds_read2_b64 v[5:8], v14 offset1:31
	s_waitcnt lgkmcnt(0)
	v_add_f32_e32 v5, v7, v5
	v_add_f32_e32 v6, v8, v6
.LBB110_33:
	s_or_b64 exec, exec, s[0:1]
	v_mov_b32_e32 v8, v6
	v_mov_b32_e32 v7, v5
.LBB110_34:
	v_cmp_gt_u32_e32 vcc, 31, v0
	s_and_b64 exec, exec, vcc
	s_cbranch_execz .LBB110_39
; %bb.35:
	v_cmp_eq_f32_e32 vcc, 0, v1
	v_cmp_eq_f32_e64 s[0:1], 0, v2
	v_mul_f32_e64 v5, v8, -v4
	v_mul_f32_e32 v6, v3, v8
	s_and_b64 s[0:1], vcc, s[0:1]
	v_fmac_f32_e32 v5, v3, v7
	v_fmac_f32_e32 v6, v4, v7
	s_and_saveexec_b64 s[2:3], s[0:1]
	s_xor_b64 s[0:1], exec, s[2:3]
	s_cbranch_execz .LBB110_37
; %bb.36:
	v_mad_u64_u32 v[0:1], s[2:3], s6, 31, v[0:1]
	v_mov_b32_e32 v1, 0
	v_mov_b32_e32 v2, s13
	v_lshlrev_b64 v[0:1], 3, v[0:1]
	v_add_co_u32_e32 v0, vcc, s12, v0
	v_addc_co_u32_e32 v1, vcc, v2, v1, vcc
	global_store_dwordx2 v[0:1], v[5:6], off
                                        ; implicit-def: $vgpr0
                                        ; implicit-def: $vgpr1_vgpr2
                                        ; implicit-def: $vgpr5
.LBB110_37:
	s_andn2_saveexec_b64 s[0:1], s[0:1]
	s_cbranch_execz .LBB110_39
; %bb.38:
	v_mad_u64_u32 v[3:4], s[0:1], s6, 31, v[0:1]
	v_mov_b32_e32 v4, 0
	v_mov_b32_e32 v0, s13
	v_lshlrev_b64 v[3:4], 3, v[3:4]
	v_add_co_u32_e32 v3, vcc, s12, v3
	v_addc_co_u32_e32 v4, vcc, v0, v4, vcc
	global_load_dwordx2 v[7:8], v[3:4], off
	s_waitcnt vmcnt(0)
	v_fmac_f32_e32 v5, v1, v7
	v_fmac_f32_e32 v6, v2, v7
	v_fma_f32 v5, -v2, v8, v5
	v_fmac_f32_e32 v6, v1, v8
	global_store_dwordx2 v[3:4], v[5:6], off
.LBB110_39:
	s_endpgm
	.section	.rodata,"a",@progbits
	.p2align	6, 0x0
	.amdhsa_kernel _ZN9rocsparseL20bsrxmvn_17_32_kernelILj31E21rocsparse_complex_numIfEliS2_S2_S2_EEvT2_20rocsparse_direction_NS_24const_host_device_scalarIT0_EES3_PKS3_PKT1_SC_S9_PKT3_PKT4_S7_PT5_21rocsparse_index_base_b
		.amdhsa_group_segment_fixed_size 7688
		.amdhsa_private_segment_fixed_size 0
		.amdhsa_kernarg_size 96
		.amdhsa_user_sgpr_count 6
		.amdhsa_user_sgpr_private_segment_buffer 1
		.amdhsa_user_sgpr_dispatch_ptr 0
		.amdhsa_user_sgpr_queue_ptr 0
		.amdhsa_user_sgpr_kernarg_segment_ptr 1
		.amdhsa_user_sgpr_dispatch_id 0
		.amdhsa_user_sgpr_flat_scratch_init 0
		.amdhsa_user_sgpr_private_segment_size 0
		.amdhsa_uses_dynamic_stack 0
		.amdhsa_system_sgpr_private_segment_wavefront_offset 0
		.amdhsa_system_sgpr_workgroup_id_x 1
		.amdhsa_system_sgpr_workgroup_id_y 0
		.amdhsa_system_sgpr_workgroup_id_z 0
		.amdhsa_system_sgpr_workgroup_info 0
		.amdhsa_system_vgpr_workitem_id 0
		.amdhsa_next_free_vgpr 29
		.amdhsa_next_free_sgpr 61
		.amdhsa_reserve_vcc 1
		.amdhsa_reserve_flat_scratch 0
		.amdhsa_float_round_mode_32 0
		.amdhsa_float_round_mode_16_64 0
		.amdhsa_float_denorm_mode_32 3
		.amdhsa_float_denorm_mode_16_64 3
		.amdhsa_dx10_clamp 1
		.amdhsa_ieee_mode 1
		.amdhsa_fp16_overflow 0
		.amdhsa_exception_fp_ieee_invalid_op 0
		.amdhsa_exception_fp_denorm_src 0
		.amdhsa_exception_fp_ieee_div_zero 0
		.amdhsa_exception_fp_ieee_overflow 0
		.amdhsa_exception_fp_ieee_underflow 0
		.amdhsa_exception_fp_ieee_inexact 0
		.amdhsa_exception_int_div_zero 0
	.end_amdhsa_kernel
	.section	.text._ZN9rocsparseL20bsrxmvn_17_32_kernelILj31E21rocsparse_complex_numIfEliS2_S2_S2_EEvT2_20rocsparse_direction_NS_24const_host_device_scalarIT0_EES3_PKS3_PKT1_SC_S9_PKT3_PKT4_S7_PT5_21rocsparse_index_base_b,"axG",@progbits,_ZN9rocsparseL20bsrxmvn_17_32_kernelILj31E21rocsparse_complex_numIfEliS2_S2_S2_EEvT2_20rocsparse_direction_NS_24const_host_device_scalarIT0_EES3_PKS3_PKT1_SC_S9_PKT3_PKT4_S7_PT5_21rocsparse_index_base_b,comdat
.Lfunc_end110:
	.size	_ZN9rocsparseL20bsrxmvn_17_32_kernelILj31E21rocsparse_complex_numIfEliS2_S2_S2_EEvT2_20rocsparse_direction_NS_24const_host_device_scalarIT0_EES3_PKS3_PKT1_SC_S9_PKT3_PKT4_S7_PT5_21rocsparse_index_base_b, .Lfunc_end110-_ZN9rocsparseL20bsrxmvn_17_32_kernelILj31E21rocsparse_complex_numIfEliS2_S2_S2_EEvT2_20rocsparse_direction_NS_24const_host_device_scalarIT0_EES3_PKS3_PKT1_SC_S9_PKT3_PKT4_S7_PT5_21rocsparse_index_base_b
                                        ; -- End function
	.set _ZN9rocsparseL20bsrxmvn_17_32_kernelILj31E21rocsparse_complex_numIfEliS2_S2_S2_EEvT2_20rocsparse_direction_NS_24const_host_device_scalarIT0_EES3_PKS3_PKT1_SC_S9_PKT3_PKT4_S7_PT5_21rocsparse_index_base_b.num_vgpr, 22
	.set _ZN9rocsparseL20bsrxmvn_17_32_kernelILj31E21rocsparse_complex_numIfEliS2_S2_S2_EEvT2_20rocsparse_direction_NS_24const_host_device_scalarIT0_EES3_PKS3_PKT1_SC_S9_PKT3_PKT4_S7_PT5_21rocsparse_index_base_b.num_agpr, 0
	.set _ZN9rocsparseL20bsrxmvn_17_32_kernelILj31E21rocsparse_complex_numIfEliS2_S2_S2_EEvT2_20rocsparse_direction_NS_24const_host_device_scalarIT0_EES3_PKS3_PKT1_SC_S9_PKT3_PKT4_S7_PT5_21rocsparse_index_base_b.numbered_sgpr, 22
	.set _ZN9rocsparseL20bsrxmvn_17_32_kernelILj31E21rocsparse_complex_numIfEliS2_S2_S2_EEvT2_20rocsparse_direction_NS_24const_host_device_scalarIT0_EES3_PKS3_PKT1_SC_S9_PKT3_PKT4_S7_PT5_21rocsparse_index_base_b.num_named_barrier, 0
	.set _ZN9rocsparseL20bsrxmvn_17_32_kernelILj31E21rocsparse_complex_numIfEliS2_S2_S2_EEvT2_20rocsparse_direction_NS_24const_host_device_scalarIT0_EES3_PKS3_PKT1_SC_S9_PKT3_PKT4_S7_PT5_21rocsparse_index_base_b.private_seg_size, 0
	.set _ZN9rocsparseL20bsrxmvn_17_32_kernelILj31E21rocsparse_complex_numIfEliS2_S2_S2_EEvT2_20rocsparse_direction_NS_24const_host_device_scalarIT0_EES3_PKS3_PKT1_SC_S9_PKT3_PKT4_S7_PT5_21rocsparse_index_base_b.uses_vcc, 1
	.set _ZN9rocsparseL20bsrxmvn_17_32_kernelILj31E21rocsparse_complex_numIfEliS2_S2_S2_EEvT2_20rocsparse_direction_NS_24const_host_device_scalarIT0_EES3_PKS3_PKT1_SC_S9_PKT3_PKT4_S7_PT5_21rocsparse_index_base_b.uses_flat_scratch, 0
	.set _ZN9rocsparseL20bsrxmvn_17_32_kernelILj31E21rocsparse_complex_numIfEliS2_S2_S2_EEvT2_20rocsparse_direction_NS_24const_host_device_scalarIT0_EES3_PKS3_PKT1_SC_S9_PKT3_PKT4_S7_PT5_21rocsparse_index_base_b.has_dyn_sized_stack, 0
	.set _ZN9rocsparseL20bsrxmvn_17_32_kernelILj31E21rocsparse_complex_numIfEliS2_S2_S2_EEvT2_20rocsparse_direction_NS_24const_host_device_scalarIT0_EES3_PKS3_PKT1_SC_S9_PKT3_PKT4_S7_PT5_21rocsparse_index_base_b.has_recursion, 0
	.set _ZN9rocsparseL20bsrxmvn_17_32_kernelILj31E21rocsparse_complex_numIfEliS2_S2_S2_EEvT2_20rocsparse_direction_NS_24const_host_device_scalarIT0_EES3_PKS3_PKT1_SC_S9_PKT3_PKT4_S7_PT5_21rocsparse_index_base_b.has_indirect_call, 0
	.section	.AMDGPU.csdata,"",@progbits
; Kernel info:
; codeLenInByte = 1484
; TotalNumSgprs: 26
; NumVgprs: 22
; ScratchSize: 0
; MemoryBound: 0
; FloatMode: 240
; IeeeMode: 1
; LDSByteSize: 7688 bytes/workgroup (compile time only)
; SGPRBlocks: 8
; VGPRBlocks: 7
; NumSGPRsForWavesPerEU: 65
; NumVGPRsForWavesPerEU: 29
; Occupancy: 8
; WaveLimiterHint : 1
; COMPUTE_PGM_RSRC2:SCRATCH_EN: 0
; COMPUTE_PGM_RSRC2:USER_SGPR: 6
; COMPUTE_PGM_RSRC2:TRAP_HANDLER: 0
; COMPUTE_PGM_RSRC2:TGID_X_EN: 1
; COMPUTE_PGM_RSRC2:TGID_Y_EN: 0
; COMPUTE_PGM_RSRC2:TGID_Z_EN: 0
; COMPUTE_PGM_RSRC2:TIDIG_COMP_CNT: 0
	.section	.text._ZN9rocsparseL20bsrxmvn_17_32_kernelILj32E21rocsparse_complex_numIfEliS2_S2_S2_EEvT2_20rocsparse_direction_NS_24const_host_device_scalarIT0_EES3_PKS3_PKT1_SC_S9_PKT3_PKT4_S7_PT5_21rocsparse_index_base_b,"axG",@progbits,_ZN9rocsparseL20bsrxmvn_17_32_kernelILj32E21rocsparse_complex_numIfEliS2_S2_S2_EEvT2_20rocsparse_direction_NS_24const_host_device_scalarIT0_EES3_PKS3_PKT1_SC_S9_PKT3_PKT4_S7_PT5_21rocsparse_index_base_b,comdat
	.globl	_ZN9rocsparseL20bsrxmvn_17_32_kernelILj32E21rocsparse_complex_numIfEliS2_S2_S2_EEvT2_20rocsparse_direction_NS_24const_host_device_scalarIT0_EES3_PKS3_PKT1_SC_S9_PKT3_PKT4_S7_PT5_21rocsparse_index_base_b ; -- Begin function _ZN9rocsparseL20bsrxmvn_17_32_kernelILj32E21rocsparse_complex_numIfEliS2_S2_S2_EEvT2_20rocsparse_direction_NS_24const_host_device_scalarIT0_EES3_PKS3_PKT1_SC_S9_PKT3_PKT4_S7_PT5_21rocsparse_index_base_b
	.p2align	8
	.type	_ZN9rocsparseL20bsrxmvn_17_32_kernelILj32E21rocsparse_complex_numIfEliS2_S2_S2_EEvT2_20rocsparse_direction_NS_24const_host_device_scalarIT0_EES3_PKS3_PKT1_SC_S9_PKT3_PKT4_S7_PT5_21rocsparse_index_base_b,@function
_ZN9rocsparseL20bsrxmvn_17_32_kernelILj32E21rocsparse_complex_numIfEliS2_S2_S2_EEvT2_20rocsparse_direction_NS_24const_host_device_scalarIT0_EES3_PKS3_PKT1_SC_S9_PKT3_PKT4_S7_PT5_21rocsparse_index_base_b: ; @_ZN9rocsparseL20bsrxmvn_17_32_kernelILj32E21rocsparse_complex_numIfEliS2_S2_S2_EEvT2_20rocsparse_direction_NS_24const_host_device_scalarIT0_EES3_PKS3_PKT1_SC_S9_PKT3_PKT4_S7_PT5_21rocsparse_index_base_b
; %bb.0:
	s_load_dwordx2 s[0:1], s[4:5], 0x8
	s_load_dwordx2 s[8:9], s[4:5], 0x58
	s_add_u32 s7, s4, 8
	s_addc_u32 s10, s5, 0
	s_add_u32 s11, s4, 0x48
	s_load_dwordx2 s[2:3], s[4:5], 0x48
	s_addc_u32 s12, s5, 0
	s_waitcnt lgkmcnt(0)
	s_bitcmp1_b32 s9, 0
	s_cselect_b32 s1, s10, s1
	s_cselect_b32 s0, s7, s0
	v_mov_b32_e32 v1, s0
	v_mov_b32_e32 v2, s1
	flat_load_dwordx2 v[3:4], v[1:2]
	s_cselect_b32 s0, s12, s3
	s_cselect_b32 s1, s11, s2
	v_mov_b32_e32 v1, s1
	v_mov_b32_e32 v2, s0
	flat_load_dwordx2 v[1:2], v[1:2]
	s_waitcnt vmcnt(0) lgkmcnt(0)
	v_cmp_eq_f32_e32 vcc, 0, v3
	v_cmp_eq_f32_e64 s[0:1], 0, v4
	s_and_b64 s[10:11], vcc, s[0:1]
	s_mov_b64 s[0:1], -1
	s_and_saveexec_b64 s[2:3], s[10:11]
; %bb.1:
	v_cmp_neq_f32_e32 vcc, 1.0, v1
	v_cmp_neq_f32_e64 s[0:1], 0, v2
	s_or_b64 s[0:1], vcc, s[0:1]
	s_orn2_b64 s[0:1], s[0:1], exec
; %bb.2:
	s_or_b64 exec, exec, s[2:3]
	s_and_saveexec_b64 s[2:3], s[0:1]
	s_cbranch_execz .LBB111_37
; %bb.3:
	s_load_dwordx4 s[0:3], s[4:5], 0x18
	s_load_dwordx2 s[12:13], s[4:5], 0x28
	s_waitcnt lgkmcnt(0)
	s_cmp_eq_u64 s[0:1], 0
	s_cbranch_scc1 .LBB111_5
; %bb.4:
	s_ashr_i32 s7, s6, 31
	s_lshl_b64 s[6:7], s[6:7], 2
	s_add_u32 s0, s0, s6
	s_addc_u32 s1, s1, s7
	s_load_dword s0, s[0:1], 0x0
	s_waitcnt lgkmcnt(0)
	s_sub_i32 s6, s0, s8
.LBB111_5:
	s_load_dword s7, s[4:5], 0x4
	v_and_b32_e32 v12, 31, v0
	v_mov_b32_e32 v6, 0
	v_lshlrev_b32_e32 v11, 3, v0
	v_mov_b32_e32 v5, 0
	s_waitcnt lgkmcnt(0)
	s_cmp_eq_u32 s7, 1
	s_cselect_b64 s[0:1], -1, 0
	s_cmp_lg_u32 s7, 1
	s_cselect_b64 s[10:11], -1, 0
	s_ashr_i32 s7, s6, 31
	s_lshl_b64 s[14:15], s[6:7], 3
	s_add_u32 s18, s2, s14
	s_addc_u32 s19, s3, s15
	s_add_u32 s2, s18, 8
	s_addc_u32 s3, s19, 0
	;; [unrolled: 2-line block ×3, first 2 shown]
	s_cmp_eq_u64 s[12:13], 0
	s_cselect_b32 s13, s3, s9
	s_cselect_b32 s12, s2, s7
	s_load_dwordx2 s[16:17], s[12:13], 0x0
	s_load_dwordx2 s[14:15], s[18:19], 0x0
	;; [unrolled: 1-line block ×3, first 2 shown]
	s_waitcnt lgkmcnt(0)
	v_mov_b32_e32 v7, s16
	v_mov_b32_e32 v8, s17
	v_cmp_ge_i64_e32 vcc, s[14:15], v[7:8]
	s_cbranch_vccnz .LBB111_8
; %bb.6:
	s_sub_u32 s16, s16, s8
	s_load_dwordx4 s[20:23], s[4:5], 0x30
	s_load_dwordx2 s[12:13], s[4:5], 0x40
	s_subb_u32 s17, s17, 0
	v_lshrrev_b32_e32 v5, 5, v0
	v_cndmask_b32_e64 v13, v12, v5, s[0:1]
	s_sub_u32 s0, s14, s8
	s_subb_u32 s1, s15, 0
	s_lshl_b64 s[4:5], s[0:1], 13
	s_waitcnt lgkmcnt(0)
	s_add_u32 s4, s22, s4
	s_mov_b32 s9, 0
	s_addc_u32 s5, s23, s5
	v_mov_b32_e32 v5, s5
	v_add_co_u32_e32 v7, vcc, s4, v11
	s_lshl_b64 s[4:5], s[14:15], 2
	s_lshl_b64 s[14:15], s[8:9], 2
	s_sub_u32 s4, s4, s14
	s_subb_u32 s5, s5, s15
	v_mov_b32_e32 v6, 0
	s_add_u32 s4, s20, s4
	v_mov_b32_e32 v9, s16
	v_addc_co_u32_e32 v8, vcc, 0, v5, vcc
	s_addc_u32 s5, s21, s5
	v_mov_b32_e32 v14, s13
	v_mov_b32_e32 v10, s17
	;; [unrolled: 1-line block ×3, first 2 shown]
.LBB111_7:                              ; =>This Inner Loop Header: Depth=1
	s_load_dword s7, s[4:5], 0x0
	global_load_dwordx2 v[15:16], v[7:8], off
	s_waitcnt lgkmcnt(0)
	s_sub_i32 s7, s7, s8
	v_lshl_or_b32 v17, s7, 5, v13
	v_ashrrev_i32_e32 v18, 31, v17
	v_lshlrev_b64 v[17:18], 3, v[17:18]
	s_add_u32 s0, s0, 1
	v_add_co_u32_e32 v17, vcc, s12, v17
	v_addc_co_u32_e32 v18, vcc, v14, v18, vcc
	global_load_dwordx2 v[17:18], v[17:18], off
	v_add_co_u32_e32 v7, vcc, 0x2000, v7
	v_addc_co_u32_e32 v8, vcc, 0, v8, vcc
	s_addc_u32 s1, s1, 0
	v_cmp_lt_i64_e32 vcc, s[0:1], v[9:10]
	s_add_u32 s4, s4, 4
	s_addc_u32 s5, s5, 0
	s_and_b64 vcc, exec, vcc
	s_waitcnt vmcnt(0)
	v_fmac_f32_e32 v5, v15, v17
	v_fmac_f32_e32 v6, v16, v17
	v_fma_f32 v5, -v16, v18, v5
	v_fmac_f32_e32 v6, v15, v18
	s_cbranch_vccnz .LBB111_7
.LBB111_8:
	s_and_b64 vcc, exec, s[10:11]
	ds_write_b64 v11, v[5:6]
	s_waitcnt lgkmcnt(0)
	s_barrier
	s_cbranch_vccz .LBB111_20
; %bb.9:
	v_cmp_gt_u32_e32 vcc, 16, v12
	s_and_saveexec_b64 s[0:1], vcc
	s_cbranch_execz .LBB111_11
; %bb.10:
	ds_read2_b64 v[7:10], v11 offset1:16
	s_waitcnt lgkmcnt(0)
	v_add_f32_e32 v7, v9, v7
	v_add_f32_e32 v8, v10, v8
	ds_write_b64 v11, v[7:8]
.LBB111_11:
	s_or_b64 exec, exec, s[0:1]
	v_cmp_gt_u32_e32 vcc, 8, v12
	s_waitcnt lgkmcnt(0)
	s_barrier
	s_and_saveexec_b64 s[0:1], vcc
	s_cbranch_execz .LBB111_13
; %bb.12:
	ds_read2_b64 v[7:10], v11 offset1:8
	s_waitcnt lgkmcnt(0)
	v_add_f32_e32 v7, v9, v7
	v_add_f32_e32 v8, v10, v8
	ds_write_b64 v11, v[7:8]
.LBB111_13:
	s_or_b64 exec, exec, s[0:1]
	v_cmp_gt_u32_e32 vcc, 4, v12
	s_waitcnt lgkmcnt(0)
	s_barrier
	;; [unrolled: 13-line block ×3, first 2 shown]
	s_and_saveexec_b64 s[0:1], vcc
	s_cbranch_execz .LBB111_17
; %bb.16:
	ds_read2_b64 v[7:10], v11 offset1:2
	s_waitcnt lgkmcnt(0)
	v_add_f32_e32 v7, v9, v7
	v_add_f32_e32 v8, v10, v8
	ds_write_b64 v11, v[7:8]
.LBB111_17:
	s_or_b64 exec, exec, s[0:1]
	v_cmp_gt_u32_e32 vcc, 32, v0
	v_mov_b32_e32 v8, v6
	v_mov_b32_e32 v7, v5
	s_waitcnt lgkmcnt(0)
	s_barrier
	s_and_saveexec_b64 s[0:1], vcc
	s_cbranch_execz .LBB111_19
; %bb.18:
	s_movk_i32 s4, 0xf8
	v_mad_u32_u24 v7, v0, s4, v11
	ds_read2_b64 v[7:10], v7 offset1:1
	s_waitcnt lgkmcnt(0)
	v_add_f32_e32 v7, v9, v7
	v_add_f32_e32 v8, v10, v8
.LBB111_19:
	s_or_b64 exec, exec, s[0:1]
	s_branch .LBB111_32
.LBB111_20:
                                        ; implicit-def: $vgpr8
                                        ; implicit-def: $vgpr7
	s_cbranch_execz .LBB111_32
; %bb.21:
	s_movk_i32 s0, 0x200
	v_cmp_gt_u32_e32 vcc, s0, v0
	s_and_saveexec_b64 s[0:1], vcc
	s_cbranch_execz .LBB111_23
; %bb.22:
	ds_read2st64_b64 v[7:10], v11 offset1:8
	s_waitcnt lgkmcnt(0)
	v_add_f32_e32 v7, v9, v7
	v_add_f32_e32 v8, v10, v8
	ds_write_b64 v11, v[7:8]
.LBB111_23:
	s_or_b64 exec, exec, s[0:1]
	s_movk_i32 s0, 0x100
	v_cmp_gt_u32_e32 vcc, s0, v0
	s_waitcnt lgkmcnt(0)
	s_barrier
	s_and_saveexec_b64 s[0:1], vcc
	s_cbranch_execz .LBB111_25
; %bb.24:
	ds_read2st64_b64 v[7:10], v11 offset1:4
	s_waitcnt lgkmcnt(0)
	v_add_f32_e32 v7, v9, v7
	v_add_f32_e32 v8, v10, v8
	ds_write_b64 v11, v[7:8]
.LBB111_25:
	s_or_b64 exec, exec, s[0:1]
	s_movk_i32 s0, 0x80
	v_cmp_gt_u32_e32 vcc, s0, v0
	s_waitcnt lgkmcnt(0)
	s_barrier
	s_and_saveexec_b64 s[0:1], vcc
	s_cbranch_execz .LBB111_27
; %bb.26:
	ds_read2st64_b64 v[7:10], v11 offset1:2
	s_waitcnt lgkmcnt(0)
	v_add_f32_e32 v7, v9, v7
	v_add_f32_e32 v8, v10, v8
	ds_write_b64 v11, v[7:8]
.LBB111_27:
	s_or_b64 exec, exec, s[0:1]
	v_cmp_gt_u32_e32 vcc, 64, v0
	s_waitcnt lgkmcnt(0)
	s_barrier
	s_and_saveexec_b64 s[0:1], vcc
	s_cbranch_execz .LBB111_29
; %bb.28:
	ds_read2st64_b64 v[7:10], v11 offset1:1
	s_waitcnt lgkmcnt(0)
	v_add_f32_e32 v7, v9, v7
	v_add_f32_e32 v8, v10, v8
	ds_write_b64 v11, v[7:8]
.LBB111_29:
	s_or_b64 exec, exec, s[0:1]
	v_cmp_gt_u32_e32 vcc, 32, v0
	s_waitcnt lgkmcnt(0)
	s_and_saveexec_b64 s[0:1], vcc
	s_cbranch_execz .LBB111_31
; %bb.30:
	ds_read2_b64 v[5:8], v11 offset1:32
	s_waitcnt lgkmcnt(0)
	v_add_f32_e32 v5, v7, v5
	v_add_f32_e32 v6, v8, v6
.LBB111_31:
	s_or_b64 exec, exec, s[0:1]
	v_mov_b32_e32 v8, v6
	v_mov_b32_e32 v7, v5
.LBB111_32:
	v_cmp_gt_u32_e32 vcc, 32, v0
	s_and_b64 exec, exec, vcc
	s_cbranch_execz .LBB111_37
; %bb.33:
	v_cmp_eq_f32_e32 vcc, 0, v1
	v_cmp_eq_f32_e64 s[0:1], 0, v2
	v_mul_f32_e64 v5, v8, -v4
	v_mul_f32_e32 v6, v3, v8
	s_and_b64 s[0:1], vcc, s[0:1]
	v_fmac_f32_e32 v5, v3, v7
	v_fmac_f32_e32 v6, v4, v7
	v_lshl_or_b32 v3, s6, 5, v0
	s_and_saveexec_b64 s[4:5], s[0:1]
	s_xor_b64 s[0:1], exec, s[4:5]
	s_cbranch_execz .LBB111_35
; %bb.34:
	v_mov_b32_e32 v4, 0
	v_lshlrev_b64 v[0:1], 3, v[3:4]
	v_mov_b32_e32 v2, s3
	v_add_co_u32_e32 v0, vcc, s2, v0
	v_addc_co_u32_e32 v1, vcc, v2, v1, vcc
	global_store_dwordx2 v[0:1], v[5:6], off
                                        ; implicit-def: $vgpr3
                                        ; implicit-def: $vgpr1_vgpr2
                                        ; implicit-def: $vgpr5
.LBB111_35:
	s_andn2_saveexec_b64 s[0:1], s[0:1]
	s_cbranch_execz .LBB111_37
; %bb.36:
	v_mov_b32_e32 v4, 0
	v_lshlrev_b64 v[3:4], 3, v[3:4]
	v_mov_b32_e32 v0, s3
	v_add_co_u32_e32 v3, vcc, s2, v3
	v_addc_co_u32_e32 v4, vcc, v0, v4, vcc
	global_load_dwordx2 v[7:8], v[3:4], off
	s_waitcnt vmcnt(0)
	v_fmac_f32_e32 v5, v1, v7
	v_fmac_f32_e32 v6, v2, v7
	v_fma_f32 v5, -v2, v8, v5
	v_fmac_f32_e32 v6, v1, v8
	global_store_dwordx2 v[3:4], v[5:6], off
.LBB111_37:
	s_endpgm
	.section	.rodata,"a",@progbits
	.p2align	6, 0x0
	.amdhsa_kernel _ZN9rocsparseL20bsrxmvn_17_32_kernelILj32E21rocsparse_complex_numIfEliS2_S2_S2_EEvT2_20rocsparse_direction_NS_24const_host_device_scalarIT0_EES3_PKS3_PKT1_SC_S9_PKT3_PKT4_S7_PT5_21rocsparse_index_base_b
		.amdhsa_group_segment_fixed_size 8192
		.amdhsa_private_segment_fixed_size 0
		.amdhsa_kernarg_size 96
		.amdhsa_user_sgpr_count 6
		.amdhsa_user_sgpr_private_segment_buffer 1
		.amdhsa_user_sgpr_dispatch_ptr 0
		.amdhsa_user_sgpr_queue_ptr 0
		.amdhsa_user_sgpr_kernarg_segment_ptr 1
		.amdhsa_user_sgpr_dispatch_id 0
		.amdhsa_user_sgpr_flat_scratch_init 0
		.amdhsa_user_sgpr_private_segment_size 0
		.amdhsa_uses_dynamic_stack 0
		.amdhsa_system_sgpr_private_segment_wavefront_offset 0
		.amdhsa_system_sgpr_workgroup_id_x 1
		.amdhsa_system_sgpr_workgroup_id_y 0
		.amdhsa_system_sgpr_workgroup_id_z 0
		.amdhsa_system_sgpr_workgroup_info 0
		.amdhsa_system_vgpr_workitem_id 0
		.amdhsa_next_free_vgpr 29
		.amdhsa_next_free_sgpr 61
		.amdhsa_reserve_vcc 1
		.amdhsa_reserve_flat_scratch 0
		.amdhsa_float_round_mode_32 0
		.amdhsa_float_round_mode_16_64 0
		.amdhsa_float_denorm_mode_32 3
		.amdhsa_float_denorm_mode_16_64 3
		.amdhsa_dx10_clamp 1
		.amdhsa_ieee_mode 1
		.amdhsa_fp16_overflow 0
		.amdhsa_exception_fp_ieee_invalid_op 0
		.amdhsa_exception_fp_denorm_src 0
		.amdhsa_exception_fp_ieee_div_zero 0
		.amdhsa_exception_fp_ieee_overflow 0
		.amdhsa_exception_fp_ieee_underflow 0
		.amdhsa_exception_fp_ieee_inexact 0
		.amdhsa_exception_int_div_zero 0
	.end_amdhsa_kernel
	.section	.text._ZN9rocsparseL20bsrxmvn_17_32_kernelILj32E21rocsparse_complex_numIfEliS2_S2_S2_EEvT2_20rocsparse_direction_NS_24const_host_device_scalarIT0_EES3_PKS3_PKT1_SC_S9_PKT3_PKT4_S7_PT5_21rocsparse_index_base_b,"axG",@progbits,_ZN9rocsparseL20bsrxmvn_17_32_kernelILj32E21rocsparse_complex_numIfEliS2_S2_S2_EEvT2_20rocsparse_direction_NS_24const_host_device_scalarIT0_EES3_PKS3_PKT1_SC_S9_PKT3_PKT4_S7_PT5_21rocsparse_index_base_b,comdat
.Lfunc_end111:
	.size	_ZN9rocsparseL20bsrxmvn_17_32_kernelILj32E21rocsparse_complex_numIfEliS2_S2_S2_EEvT2_20rocsparse_direction_NS_24const_host_device_scalarIT0_EES3_PKS3_PKT1_SC_S9_PKT3_PKT4_S7_PT5_21rocsparse_index_base_b, .Lfunc_end111-_ZN9rocsparseL20bsrxmvn_17_32_kernelILj32E21rocsparse_complex_numIfEliS2_S2_S2_EEvT2_20rocsparse_direction_NS_24const_host_device_scalarIT0_EES3_PKS3_PKT1_SC_S9_PKT3_PKT4_S7_PT5_21rocsparse_index_base_b
                                        ; -- End function
	.set _ZN9rocsparseL20bsrxmvn_17_32_kernelILj32E21rocsparse_complex_numIfEliS2_S2_S2_EEvT2_20rocsparse_direction_NS_24const_host_device_scalarIT0_EES3_PKS3_PKT1_SC_S9_PKT3_PKT4_S7_PT5_21rocsparse_index_base_b.num_vgpr, 19
	.set _ZN9rocsparseL20bsrxmvn_17_32_kernelILj32E21rocsparse_complex_numIfEliS2_S2_S2_EEvT2_20rocsparse_direction_NS_24const_host_device_scalarIT0_EES3_PKS3_PKT1_SC_S9_PKT3_PKT4_S7_PT5_21rocsparse_index_base_b.num_agpr, 0
	.set _ZN9rocsparseL20bsrxmvn_17_32_kernelILj32E21rocsparse_complex_numIfEliS2_S2_S2_EEvT2_20rocsparse_direction_NS_24const_host_device_scalarIT0_EES3_PKS3_PKT1_SC_S9_PKT3_PKT4_S7_PT5_21rocsparse_index_base_b.numbered_sgpr, 24
	.set _ZN9rocsparseL20bsrxmvn_17_32_kernelILj32E21rocsparse_complex_numIfEliS2_S2_S2_EEvT2_20rocsparse_direction_NS_24const_host_device_scalarIT0_EES3_PKS3_PKT1_SC_S9_PKT3_PKT4_S7_PT5_21rocsparse_index_base_b.num_named_barrier, 0
	.set _ZN9rocsparseL20bsrxmvn_17_32_kernelILj32E21rocsparse_complex_numIfEliS2_S2_S2_EEvT2_20rocsparse_direction_NS_24const_host_device_scalarIT0_EES3_PKS3_PKT1_SC_S9_PKT3_PKT4_S7_PT5_21rocsparse_index_base_b.private_seg_size, 0
	.set _ZN9rocsparseL20bsrxmvn_17_32_kernelILj32E21rocsparse_complex_numIfEliS2_S2_S2_EEvT2_20rocsparse_direction_NS_24const_host_device_scalarIT0_EES3_PKS3_PKT1_SC_S9_PKT3_PKT4_S7_PT5_21rocsparse_index_base_b.uses_vcc, 1
	.set _ZN9rocsparseL20bsrxmvn_17_32_kernelILj32E21rocsparse_complex_numIfEliS2_S2_S2_EEvT2_20rocsparse_direction_NS_24const_host_device_scalarIT0_EES3_PKS3_PKT1_SC_S9_PKT3_PKT4_S7_PT5_21rocsparse_index_base_b.uses_flat_scratch, 0
	.set _ZN9rocsparseL20bsrxmvn_17_32_kernelILj32E21rocsparse_complex_numIfEliS2_S2_S2_EEvT2_20rocsparse_direction_NS_24const_host_device_scalarIT0_EES3_PKS3_PKT1_SC_S9_PKT3_PKT4_S7_PT5_21rocsparse_index_base_b.has_dyn_sized_stack, 0
	.set _ZN9rocsparseL20bsrxmvn_17_32_kernelILj32E21rocsparse_complex_numIfEliS2_S2_S2_EEvT2_20rocsparse_direction_NS_24const_host_device_scalarIT0_EES3_PKS3_PKT1_SC_S9_PKT3_PKT4_S7_PT5_21rocsparse_index_base_b.has_recursion, 0
	.set _ZN9rocsparseL20bsrxmvn_17_32_kernelILj32E21rocsparse_complex_numIfEliS2_S2_S2_EEvT2_20rocsparse_direction_NS_24const_host_device_scalarIT0_EES3_PKS3_PKT1_SC_S9_PKT3_PKT4_S7_PT5_21rocsparse_index_base_b.has_indirect_call, 0
	.section	.AMDGPU.csdata,"",@progbits
; Kernel info:
; codeLenInByte = 1328
; TotalNumSgprs: 28
; NumVgprs: 19
; ScratchSize: 0
; MemoryBound: 0
; FloatMode: 240
; IeeeMode: 1
; LDSByteSize: 8192 bytes/workgroup (compile time only)
; SGPRBlocks: 8
; VGPRBlocks: 7
; NumSGPRsForWavesPerEU: 65
; NumVGPRsForWavesPerEU: 29
; Occupancy: 8
; WaveLimiterHint : 1
; COMPUTE_PGM_RSRC2:SCRATCH_EN: 0
; COMPUTE_PGM_RSRC2:USER_SGPR: 6
; COMPUTE_PGM_RSRC2:TRAP_HANDLER: 0
; COMPUTE_PGM_RSRC2:TGID_X_EN: 1
; COMPUTE_PGM_RSRC2:TGID_Y_EN: 0
; COMPUTE_PGM_RSRC2:TGID_Z_EN: 0
; COMPUTE_PGM_RSRC2:TIDIG_COMP_CNT: 0
	.section	.text._ZN9rocsparseL20bsrxmvn_17_32_kernelILj17E21rocsparse_complex_numIdEliS2_S2_S2_EEvT2_20rocsparse_direction_NS_24const_host_device_scalarIT0_EES3_PKS3_PKT1_SC_S9_PKT3_PKT4_S7_PT5_21rocsparse_index_base_b,"axG",@progbits,_ZN9rocsparseL20bsrxmvn_17_32_kernelILj17E21rocsparse_complex_numIdEliS2_S2_S2_EEvT2_20rocsparse_direction_NS_24const_host_device_scalarIT0_EES3_PKS3_PKT1_SC_S9_PKT3_PKT4_S7_PT5_21rocsparse_index_base_b,comdat
	.globl	_ZN9rocsparseL20bsrxmvn_17_32_kernelILj17E21rocsparse_complex_numIdEliS2_S2_S2_EEvT2_20rocsparse_direction_NS_24const_host_device_scalarIT0_EES3_PKS3_PKT1_SC_S9_PKT3_PKT4_S7_PT5_21rocsparse_index_base_b ; -- Begin function _ZN9rocsparseL20bsrxmvn_17_32_kernelILj17E21rocsparse_complex_numIdEliS2_S2_S2_EEvT2_20rocsparse_direction_NS_24const_host_device_scalarIT0_EES3_PKS3_PKT1_SC_S9_PKT3_PKT4_S7_PT5_21rocsparse_index_base_b
	.p2align	8
	.type	_ZN9rocsparseL20bsrxmvn_17_32_kernelILj17E21rocsparse_complex_numIdEliS2_S2_S2_EEvT2_20rocsparse_direction_NS_24const_host_device_scalarIT0_EES3_PKS3_PKT1_SC_S9_PKT3_PKT4_S7_PT5_21rocsparse_index_base_b,@function
_ZN9rocsparseL20bsrxmvn_17_32_kernelILj17E21rocsparse_complex_numIdEliS2_S2_S2_EEvT2_20rocsparse_direction_NS_24const_host_device_scalarIT0_EES3_PKS3_PKT1_SC_S9_PKT3_PKT4_S7_PT5_21rocsparse_index_base_b: ; @_ZN9rocsparseL20bsrxmvn_17_32_kernelILj17E21rocsparse_complex_numIdEliS2_S2_S2_EEvT2_20rocsparse_direction_NS_24const_host_device_scalarIT0_EES3_PKS3_PKT1_SC_S9_PKT3_PKT4_S7_PT5_21rocsparse_index_base_b
; %bb.0:
	s_load_dwordx2 s[0:1], s[4:5], 0x8
	s_load_dwordx2 s[10:11], s[4:5], 0x68
	s_add_u32 s7, s4, 8
	s_addc_u32 s8, s5, 0
	s_add_u32 s9, s4, 0x50
	s_addc_u32 s12, s5, 0
	s_waitcnt lgkmcnt(0)
	s_bitcmp1_b32 s11, 0
	s_cselect_b32 s1, s8, s1
	s_cselect_b32 s0, s7, s0
	v_mov_b32_e32 v1, s0
	v_mov_b32_e32 v2, s1
	flat_load_dwordx4 v[5:8], v[1:2]
	s_load_dwordx2 s[2:3], s[4:5], 0x50
	s_waitcnt lgkmcnt(0)
	s_cselect_b32 s0, s12, s3
	s_cselect_b32 s1, s9, s2
	v_mov_b32_e32 v1, s1
	v_mov_b32_e32 v2, s0
	flat_load_dwordx4 v[1:4], v[1:2]
	s_waitcnt vmcnt(0)
	v_cmp_eq_f64_e32 vcc, 0, v[5:6]
	v_cmp_eq_f64_e64 s[0:1], 0, v[7:8]
	s_and_b64 s[8:9], vcc, s[0:1]
	s_mov_b64 s[0:1], -1
	s_and_saveexec_b64 s[2:3], s[8:9]
	s_cbranch_execz .LBB112_2
; %bb.1:
	s_waitcnt lgkmcnt(0)
	v_cmp_neq_f64_e32 vcc, 1.0, v[1:2]
	v_cmp_neq_f64_e64 s[0:1], 0, v[3:4]
	s_or_b64 s[0:1], vcc, s[0:1]
	s_orn2_b64 s[0:1], s[0:1], exec
.LBB112_2:
	s_or_b64 exec, exec, s[2:3]
	s_and_saveexec_b64 s[2:3], s[0:1]
	s_cbranch_execz .LBB112_39
; %bb.3:
	s_load_dwordx4 s[0:3], s[4:5], 0x20
	s_load_dwordx2 s[14:15], s[4:5], 0x30
	s_waitcnt lgkmcnt(0)
	s_cmp_eq_u64 s[0:1], 0
	s_cbranch_scc1 .LBB112_5
; %bb.4:
	s_ashr_i32 s7, s6, 31
	s_lshl_b64 s[6:7], s[6:7], 2
	s_add_u32 s0, s0, s6
	s_addc_u32 s1, s1, s7
	s_load_dword s0, s[0:1], 0x0
	s_waitcnt lgkmcnt(0)
	s_sub_i32 s6, s0, s10
.LBB112_5:
	s_load_dword s7, s[4:5], 0x4
	s_load_dwordx2 s[8:9], s[4:5], 0x60
	v_mul_u32_u24_e32 v13, 0xf10, v0
	v_mov_b32_e32 v9, 17
	v_mul_lo_u16_sdwa v9, v13, v9 dst_sel:DWORD dst_unused:UNUSED_PAD src0_sel:WORD_1 src1_sel:DWORD
	s_waitcnt lgkmcnt(0)
	s_cmp_eq_u32 s7, 1
	s_cselect_b64 s[0:1], -1, 0
	s_cmp_lg_u32 s7, 1
	s_cselect_b64 s[12:13], -1, 0
	s_ashr_i32 s7, s6, 31
	s_lshl_b64 s[16:17], s[6:7], 3
	s_add_u32 s2, s2, s16
	s_addc_u32 s3, s3, s17
	s_add_u32 s7, s2, 8
	s_addc_u32 s11, s3, 0
	;; [unrolled: 2-line block ×3, first 2 shown]
	s_cmp_eq_u64 s[14:15], 0
	s_cselect_b32 s19, s11, s17
	s_cselect_b32 s18, s7, s16
	s_load_dwordx2 s[14:15], s[18:19], 0x0
	s_load_dwordx2 s[16:17], s[2:3], 0x0
	v_sub_u16_e32 v21, v0, v9
	v_mov_b32_e32 v11, 0
	v_mov_b32_e32 v12, 0
	s_waitcnt lgkmcnt(0)
	v_mov_b32_e32 v9, s14
	v_mov_b32_e32 v10, s15
	v_cmp_ge_i64_e32 vcc, s[16:17], v[9:10]
	v_mov_b32_e32 v9, 0
	v_lshlrev_b32_e32 v20, 4, v0
	v_mov_b32_e32 v10, 0
	s_cbranch_vccnz .LBB112_10
; %bb.6:
	v_mov_b32_e32 v9, 31
	v_mul_lo_u16_sdwa v9, v13, v9 dst_sel:DWORD dst_unused:UNUSED_PAD src0_sel:WORD_1 src1_sel:DWORD
	s_load_dwordx2 s[2:3], s[4:5], 0x48
	s_load_dwordx4 s[20:23], s[4:5], 0x38
	s_sub_u32 s4, s14, s10
	v_lshrrev_b16_e32 v9, 9, v9
	s_subb_u32 s5, s15, 0
	v_mul_lo_u16_e32 v9, 17, v9
	v_sub_u16_sdwa v9, v13, v9 dst_sel:DWORD dst_unused:UNUSED_PAD src0_sel:WORD_1 src1_sel:DWORD
	s_sub_u32 s14, s16, s10
	v_and_b32_e32 v9, 0xff, v9
	s_subb_u32 s15, s17, 0
	v_cndmask_b32_e64 v13, v21, v9, s[0:1]
	s_mul_i32 s0, s15, 0x1210
	s_mul_hi_u32 s1, s14, 0x1210
	s_add_i32 s1, s1, s0
	s_mul_i32 s0, s14, 0x1210
	s_waitcnt lgkmcnt(0)
	s_add_u32 s0, s22, s0
	s_addc_u32 s1, s23, s1
	v_mov_b32_e32 v9, s1
	v_add_co_u32_e32 v14, vcc, s0, v20
	s_movk_i32 s0, 0xe3
	v_addc_co_u32_e32 v15, vcc, 0, v9, vcc
	v_mul_u32_u24_sdwa v9, v0, s0 dst_sel:DWORD dst_unused:UNUSED_PAD src0_sel:WORD_0 src1_sel:DWORD
	v_lshrrev_b32_e32 v22, 16, v9
	v_mov_b32_e32 v9, s17
	v_add_co_u32_e32 v10, vcc, s16, v22
	v_addc_co_u32_e32 v11, vcc, 0, v9, vcc
	v_subrev_co_u32_e32 v9, vcc, s10, v10
	v_subbrev_co_u32_e32 v10, vcc, 0, v11, vcc
	v_lshlrev_b64 v[9:10], 2, v[9:10]
	v_mov_b32_e32 v11, s21
	v_add_co_u32_e32 v16, vcc, s20, v9
	v_addc_co_u32_e32 v17, vcc, v11, v10, vcc
	v_mov_b32_e32 v11, 0
	v_mov_b32_e32 v12, 0
	;; [unrolled: 1-line block ×6, first 2 shown]
	s_branch .LBB112_8
.LBB112_7:                              ;   in Loop: Header=BB112_8 Depth=1
	s_or_b64 exec, exec, s[0:1]
	s_add_u32 s14, s14, 1
	s_addc_u32 s15, s15, 0
	v_cmp_lt_i64_e32 vcc, s[14:15], v[18:19]
	v_add_co_u32_e64 v16, s[0:1], 4, v16
	v_addc_co_u32_e64 v17, s[0:1], 0, v17, s[0:1]
	s_cbranch_vccz .LBB112_10
.LBB112_8:                              ; =>This Inner Loop Header: Depth=1
	v_mov_b32_e32 v24, s15
	v_add_co_u32_e32 v23, vcc, s14, v22
	v_addc_co_u32_e32 v24, vcc, 0, v24, vcc
	v_cmp_gt_i64_e32 vcc, s[4:5], v[23:24]
	s_and_saveexec_b64 s[0:1], vcc
	s_cbranch_execz .LBB112_7
; %bb.9:                                ;   in Loop: Header=BB112_8 Depth=1
	global_load_dword v23, v[16:17], off
	v_mov_b32_e32 v29, s3
	s_waitcnt vmcnt(0)
	v_subrev_u32_e32 v23, s10, v23
	v_mad_u64_u32 v[27:28], s[16:17], v23, 17, v[13:14]
	global_load_dwordx4 v[23:26], v[14:15], off
	v_ashrrev_i32_e32 v28, 31, v27
	v_lshlrev_b64 v[27:28], 4, v[27:28]
	v_add_co_u32_e32 v27, vcc, s2, v27
	v_addc_co_u32_e32 v28, vcc, v29, v28, vcc
	global_load_dwordx4 v[27:30], v[27:28], off
	v_add_co_u32_e32 v14, vcc, 0x1210, v14
	v_addc_co_u32_e32 v15, vcc, 0, v15, vcc
	s_waitcnt vmcnt(0)
	v_fma_f64 v[9:10], v[23:24], v[27:28], v[9:10]
	v_fma_f64 v[11:12], v[25:26], v[27:28], v[11:12]
	v_fma_f64 v[9:10], -v[25:26], v[29:30], v[9:10]
	v_fma_f64 v[11:12], v[23:24], v[29:30], v[11:12]
	s_branch .LBB112_7
.LBB112_10:
	s_and_b64 vcc, exec, s[12:13]
	ds_write_b128 v20, v[9:12]
	s_waitcnt lgkmcnt(0)
	s_barrier
	s_cbranch_vccz .LBB112_22
; %bb.11:
	v_cmp_eq_u16_e32 vcc, 0, v21
	s_and_saveexec_b64 s[0:1], vcc
	s_cbranch_execz .LBB112_13
; %bb.12:
	ds_read_b128 v[13:16], v20 offset:256
	ds_read_b128 v[22:25], v20
	s_waitcnt lgkmcnt(0)
	v_add_f64 v[13:14], v[13:14], v[22:23]
	v_add_f64 v[15:16], v[15:16], v[24:25]
	ds_write_b128 v20, v[13:16]
.LBB112_13:
	s_or_b64 exec, exec, s[0:1]
	v_cmp_gt_u16_e32 vcc, 8, v21
	s_waitcnt lgkmcnt(0)
	s_barrier
	s_and_saveexec_b64 s[0:1], vcc
	s_cbranch_execz .LBB112_15
; %bb.14:
	ds_read_b128 v[13:16], v20 offset:128
	ds_read_b128 v[22:25], v20
	s_waitcnt lgkmcnt(0)
	v_add_f64 v[13:14], v[13:14], v[22:23]
	v_add_f64 v[15:16], v[15:16], v[24:25]
	ds_write_b128 v20, v[13:16]
.LBB112_15:
	s_or_b64 exec, exec, s[0:1]
	v_cmp_gt_u16_e32 vcc, 4, v21
	s_waitcnt lgkmcnt(0)
	s_barrier
	;; [unrolled: 14-line block ×3, first 2 shown]
	s_and_saveexec_b64 s[0:1], vcc
	s_cbranch_execz .LBB112_19
; %bb.18:
	ds_read_b128 v[13:16], v20
	ds_read_b128 v[21:24], v20 offset:32
	s_waitcnt lgkmcnt(0)
	v_add_f64 v[13:14], v[21:22], v[13:14]
	v_add_f64 v[15:16], v[23:24], v[15:16]
	ds_write_b128 v20, v[13:16]
.LBB112_19:
	s_or_b64 exec, exec, s[0:1]
	v_mov_b32_e32 v16, v12
	v_mov_b32_e32 v14, v10
	v_cmp_gt_u32_e32 vcc, 17, v0
	v_mov_b32_e32 v15, v11
	v_mov_b32_e32 v13, v9
	s_waitcnt lgkmcnt(0)
	s_barrier
	s_and_saveexec_b64 s[0:1], vcc
	s_cbranch_execz .LBB112_21
; %bb.20:
	v_lshl_add_u32 v17, v0, 8, v20
	ds_read_b128 v[13:16], v17
	ds_read_b128 v[21:24], v17 offset:16
	s_waitcnt lgkmcnt(0)
	v_add_f64 v[13:14], v[21:22], v[13:14]
	v_add_f64 v[15:16], v[23:24], v[15:16]
.LBB112_21:
	s_or_b64 exec, exec, s[0:1]
	v_cmp_gt_u32_e64 s[0:1], 17, v0
	s_branch .LBB112_34
.LBB112_22:
                                        ; implicit-def: $vgpr15_vgpr16
                                        ; implicit-def: $vgpr13_vgpr14
	v_cmp_gt_u32_e64 s[0:1], 17, v0
	s_cbranch_execz .LBB112_34
; %bb.23:
	s_and_saveexec_b64 s[2:3], s[0:1]
	s_cbranch_execz .LBB112_25
; %bb.24:
	ds_read_b128 v[13:16], v20 offset:4352
	ds_read_b128 v[21:24], v20
	s_waitcnt lgkmcnt(0)
	v_add_f64 v[13:14], v[13:14], v[21:22]
	v_add_f64 v[15:16], v[15:16], v[23:24]
	ds_write_b128 v20, v[13:16]
.LBB112_25:
	s_or_b64 exec, exec, s[2:3]
	s_movk_i32 s2, 0x88
	v_cmp_gt_u32_e32 vcc, s2, v0
	s_waitcnt lgkmcnt(0)
	s_barrier
	s_and_saveexec_b64 s[2:3], vcc
	s_cbranch_execz .LBB112_27
; %bb.26:
	ds_read_b128 v[13:16], v20 offset:2176
	ds_read_b128 v[21:24], v20
	s_waitcnt lgkmcnt(0)
	v_add_f64 v[13:14], v[13:14], v[21:22]
	v_add_f64 v[15:16], v[15:16], v[23:24]
	ds_write_b128 v20, v[13:16]
.LBB112_27:
	s_or_b64 exec, exec, s[2:3]
	s_movk_i32 s2, 0x44
	v_cmp_gt_u32_e32 vcc, s2, v0
	s_waitcnt lgkmcnt(0)
	s_barrier
	s_and_saveexec_b64 s[2:3], vcc
	s_cbranch_execz .LBB112_29
; %bb.28:
	ds_read_b128 v[13:16], v20 offset:1088
	ds_read_b128 v[21:24], v20
	s_waitcnt lgkmcnt(0)
	v_add_f64 v[13:14], v[13:14], v[21:22]
	v_add_f64 v[15:16], v[15:16], v[23:24]
	ds_write_b128 v20, v[13:16]
.LBB112_29:
	s_or_b64 exec, exec, s[2:3]
	v_cmp_gt_u32_e32 vcc, 34, v0
	s_waitcnt lgkmcnt(0)
	s_barrier
	s_and_saveexec_b64 s[2:3], vcc
	s_cbranch_execz .LBB112_31
; %bb.30:
	ds_read_b128 v[13:16], v20 offset:544
	ds_read_b128 v[21:24], v20
	s_waitcnt lgkmcnt(0)
	v_add_f64 v[13:14], v[13:14], v[21:22]
	v_add_f64 v[15:16], v[15:16], v[23:24]
	ds_write_b128 v20, v[13:16]
.LBB112_31:
	s_or_b64 exec, exec, s[2:3]
	s_waitcnt lgkmcnt(0)
	s_and_saveexec_b64 s[2:3], s[0:1]
	s_cbranch_execz .LBB112_33
; %bb.32:
	ds_read_b128 v[9:12], v20 offset:272
	ds_read_b128 v[13:16], v20
	s_waitcnt lgkmcnt(0)
	v_add_f64 v[9:10], v[9:10], v[13:14]
	v_add_f64 v[11:12], v[11:12], v[15:16]
.LBB112_33:
	s_or_b64 exec, exec, s[2:3]
	v_mov_b32_e32 v16, v12
	v_mov_b32_e32 v14, v10
	;; [unrolled: 1-line block ×4, first 2 shown]
.LBB112_34:
	v_cmp_gt_u32_e32 vcc, 17, v0
	s_and_b64 exec, exec, vcc
	s_cbranch_execz .LBB112_39
; %bb.35:
	v_mul_f64 v[9:10], v[15:16], -v[7:8]
	v_mul_f64 v[11:12], v[5:6], v[15:16]
	v_cmp_eq_f64_e32 vcc, 0, v[1:2]
	v_cmp_eq_f64_e64 s[0:1], 0, v[3:4]
	v_fma_f64 v[5:6], v[5:6], v[13:14], v[9:10]
	v_fma_f64 v[7:8], v[7:8], v[13:14], v[11:12]
	s_and_b64 s[0:1], vcc, s[0:1]
	s_and_saveexec_b64 s[2:3], s[0:1]
	s_xor_b64 s[0:1], exec, s[2:3]
	s_cbranch_execz .LBB112_37
; %bb.36:
	v_mad_u64_u32 v[0:1], s[2:3], s6, 17, v[0:1]
	v_mov_b32_e32 v1, 0
	v_mov_b32_e32 v2, s9
	v_lshlrev_b64 v[0:1], 4, v[0:1]
	v_add_co_u32_e32 v0, vcc, s8, v0
	v_addc_co_u32_e32 v1, vcc, v2, v1, vcc
	global_store_dwordx4 v[0:1], v[5:8], off
                                        ; implicit-def: $vgpr0
                                        ; implicit-def: $vgpr1_vgpr2
                                        ; implicit-def: $vgpr5_vgpr6
.LBB112_37:
	s_andn2_saveexec_b64 s[0:1], s[0:1]
	s_cbranch_execz .LBB112_39
; %bb.38:
	v_mad_u64_u32 v[9:10], s[0:1], s6, 17, v[0:1]
	v_mov_b32_e32 v10, 0
	v_mov_b32_e32 v0, s9
	v_lshlrev_b64 v[9:10], 4, v[9:10]
	v_add_co_u32_e32 v13, vcc, s8, v9
	v_addc_co_u32_e32 v14, vcc, v0, v10, vcc
	global_load_dwordx4 v[9:12], v[13:14], off
	s_waitcnt vmcnt(0)
	v_fma_f64 v[5:6], v[1:2], v[9:10], v[5:6]
	v_fma_f64 v[7:8], v[3:4], v[9:10], v[7:8]
	v_fma_f64 v[3:4], -v[3:4], v[11:12], v[5:6]
	v_fma_f64 v[5:6], v[1:2], v[11:12], v[7:8]
	global_store_dwordx4 v[13:14], v[3:6], off
.LBB112_39:
	s_endpgm
	.section	.rodata,"a",@progbits
	.p2align	6, 0x0
	.amdhsa_kernel _ZN9rocsparseL20bsrxmvn_17_32_kernelILj17E21rocsparse_complex_numIdEliS2_S2_S2_EEvT2_20rocsparse_direction_NS_24const_host_device_scalarIT0_EES3_PKS3_PKT1_SC_S9_PKT3_PKT4_S7_PT5_21rocsparse_index_base_b
		.amdhsa_group_segment_fixed_size 4624
		.amdhsa_private_segment_fixed_size 0
		.amdhsa_kernarg_size 112
		.amdhsa_user_sgpr_count 6
		.amdhsa_user_sgpr_private_segment_buffer 1
		.amdhsa_user_sgpr_dispatch_ptr 0
		.amdhsa_user_sgpr_queue_ptr 0
		.amdhsa_user_sgpr_kernarg_segment_ptr 1
		.amdhsa_user_sgpr_dispatch_id 0
		.amdhsa_user_sgpr_flat_scratch_init 0
		.amdhsa_user_sgpr_private_segment_size 0
		.amdhsa_uses_dynamic_stack 0
		.amdhsa_system_sgpr_private_segment_wavefront_offset 0
		.amdhsa_system_sgpr_workgroup_id_x 1
		.amdhsa_system_sgpr_workgroup_id_y 0
		.amdhsa_system_sgpr_workgroup_id_z 0
		.amdhsa_system_sgpr_workgroup_info 0
		.amdhsa_system_vgpr_workitem_id 0
		.amdhsa_next_free_vgpr 31
		.amdhsa_next_free_sgpr 24
		.amdhsa_reserve_vcc 1
		.amdhsa_reserve_flat_scratch 0
		.amdhsa_float_round_mode_32 0
		.amdhsa_float_round_mode_16_64 0
		.amdhsa_float_denorm_mode_32 3
		.amdhsa_float_denorm_mode_16_64 3
		.amdhsa_dx10_clamp 1
		.amdhsa_ieee_mode 1
		.amdhsa_fp16_overflow 0
		.amdhsa_exception_fp_ieee_invalid_op 0
		.amdhsa_exception_fp_denorm_src 0
		.amdhsa_exception_fp_ieee_div_zero 0
		.amdhsa_exception_fp_ieee_overflow 0
		.amdhsa_exception_fp_ieee_underflow 0
		.amdhsa_exception_fp_ieee_inexact 0
		.amdhsa_exception_int_div_zero 0
	.end_amdhsa_kernel
	.section	.text._ZN9rocsparseL20bsrxmvn_17_32_kernelILj17E21rocsparse_complex_numIdEliS2_S2_S2_EEvT2_20rocsparse_direction_NS_24const_host_device_scalarIT0_EES3_PKS3_PKT1_SC_S9_PKT3_PKT4_S7_PT5_21rocsparse_index_base_b,"axG",@progbits,_ZN9rocsparseL20bsrxmvn_17_32_kernelILj17E21rocsparse_complex_numIdEliS2_S2_S2_EEvT2_20rocsparse_direction_NS_24const_host_device_scalarIT0_EES3_PKS3_PKT1_SC_S9_PKT3_PKT4_S7_PT5_21rocsparse_index_base_b,comdat
.Lfunc_end112:
	.size	_ZN9rocsparseL20bsrxmvn_17_32_kernelILj17E21rocsparse_complex_numIdEliS2_S2_S2_EEvT2_20rocsparse_direction_NS_24const_host_device_scalarIT0_EES3_PKS3_PKT1_SC_S9_PKT3_PKT4_S7_PT5_21rocsparse_index_base_b, .Lfunc_end112-_ZN9rocsparseL20bsrxmvn_17_32_kernelILj17E21rocsparse_complex_numIdEliS2_S2_S2_EEvT2_20rocsparse_direction_NS_24const_host_device_scalarIT0_EES3_PKS3_PKT1_SC_S9_PKT3_PKT4_S7_PT5_21rocsparse_index_base_b
                                        ; -- End function
	.set _ZN9rocsparseL20bsrxmvn_17_32_kernelILj17E21rocsparse_complex_numIdEliS2_S2_S2_EEvT2_20rocsparse_direction_NS_24const_host_device_scalarIT0_EES3_PKS3_PKT1_SC_S9_PKT3_PKT4_S7_PT5_21rocsparse_index_base_b.num_vgpr, 31
	.set _ZN9rocsparseL20bsrxmvn_17_32_kernelILj17E21rocsparse_complex_numIdEliS2_S2_S2_EEvT2_20rocsparse_direction_NS_24const_host_device_scalarIT0_EES3_PKS3_PKT1_SC_S9_PKT3_PKT4_S7_PT5_21rocsparse_index_base_b.num_agpr, 0
	.set _ZN9rocsparseL20bsrxmvn_17_32_kernelILj17E21rocsparse_complex_numIdEliS2_S2_S2_EEvT2_20rocsparse_direction_NS_24const_host_device_scalarIT0_EES3_PKS3_PKT1_SC_S9_PKT3_PKT4_S7_PT5_21rocsparse_index_base_b.numbered_sgpr, 24
	.set _ZN9rocsparseL20bsrxmvn_17_32_kernelILj17E21rocsparse_complex_numIdEliS2_S2_S2_EEvT2_20rocsparse_direction_NS_24const_host_device_scalarIT0_EES3_PKS3_PKT1_SC_S9_PKT3_PKT4_S7_PT5_21rocsparse_index_base_b.num_named_barrier, 0
	.set _ZN9rocsparseL20bsrxmvn_17_32_kernelILj17E21rocsparse_complex_numIdEliS2_S2_S2_EEvT2_20rocsparse_direction_NS_24const_host_device_scalarIT0_EES3_PKS3_PKT1_SC_S9_PKT3_PKT4_S7_PT5_21rocsparse_index_base_b.private_seg_size, 0
	.set _ZN9rocsparseL20bsrxmvn_17_32_kernelILj17E21rocsparse_complex_numIdEliS2_S2_S2_EEvT2_20rocsparse_direction_NS_24const_host_device_scalarIT0_EES3_PKS3_PKT1_SC_S9_PKT3_PKT4_S7_PT5_21rocsparse_index_base_b.uses_vcc, 1
	.set _ZN9rocsparseL20bsrxmvn_17_32_kernelILj17E21rocsparse_complex_numIdEliS2_S2_S2_EEvT2_20rocsparse_direction_NS_24const_host_device_scalarIT0_EES3_PKS3_PKT1_SC_S9_PKT3_PKT4_S7_PT5_21rocsparse_index_base_b.uses_flat_scratch, 0
	.set _ZN9rocsparseL20bsrxmvn_17_32_kernelILj17E21rocsparse_complex_numIdEliS2_S2_S2_EEvT2_20rocsparse_direction_NS_24const_host_device_scalarIT0_EES3_PKS3_PKT1_SC_S9_PKT3_PKT4_S7_PT5_21rocsparse_index_base_b.has_dyn_sized_stack, 0
	.set _ZN9rocsparseL20bsrxmvn_17_32_kernelILj17E21rocsparse_complex_numIdEliS2_S2_S2_EEvT2_20rocsparse_direction_NS_24const_host_device_scalarIT0_EES3_PKS3_PKT1_SC_S9_PKT3_PKT4_S7_PT5_21rocsparse_index_base_b.has_recursion, 0
	.set _ZN9rocsparseL20bsrxmvn_17_32_kernelILj17E21rocsparse_complex_numIdEliS2_S2_S2_EEvT2_20rocsparse_direction_NS_24const_host_device_scalarIT0_EES3_PKS3_PKT1_SC_S9_PKT3_PKT4_S7_PT5_21rocsparse_index_base_b.has_indirect_call, 0
	.section	.AMDGPU.csdata,"",@progbits
; Kernel info:
; codeLenInByte = 1720
; TotalNumSgprs: 28
; NumVgprs: 31
; ScratchSize: 0
; MemoryBound: 0
; FloatMode: 240
; IeeeMode: 1
; LDSByteSize: 4624 bytes/workgroup (compile time only)
; SGPRBlocks: 3
; VGPRBlocks: 7
; NumSGPRsForWavesPerEU: 28
; NumVGPRsForWavesPerEU: 31
; Occupancy: 8
; WaveLimiterHint : 1
; COMPUTE_PGM_RSRC2:SCRATCH_EN: 0
; COMPUTE_PGM_RSRC2:USER_SGPR: 6
; COMPUTE_PGM_RSRC2:TRAP_HANDLER: 0
; COMPUTE_PGM_RSRC2:TGID_X_EN: 1
; COMPUTE_PGM_RSRC2:TGID_Y_EN: 0
; COMPUTE_PGM_RSRC2:TGID_Z_EN: 0
; COMPUTE_PGM_RSRC2:TIDIG_COMP_CNT: 0
	.section	.text._ZN9rocsparseL20bsrxmvn_17_32_kernelILj18E21rocsparse_complex_numIdEliS2_S2_S2_EEvT2_20rocsparse_direction_NS_24const_host_device_scalarIT0_EES3_PKS3_PKT1_SC_S9_PKT3_PKT4_S7_PT5_21rocsparse_index_base_b,"axG",@progbits,_ZN9rocsparseL20bsrxmvn_17_32_kernelILj18E21rocsparse_complex_numIdEliS2_S2_S2_EEvT2_20rocsparse_direction_NS_24const_host_device_scalarIT0_EES3_PKS3_PKT1_SC_S9_PKT3_PKT4_S7_PT5_21rocsparse_index_base_b,comdat
	.globl	_ZN9rocsparseL20bsrxmvn_17_32_kernelILj18E21rocsparse_complex_numIdEliS2_S2_S2_EEvT2_20rocsparse_direction_NS_24const_host_device_scalarIT0_EES3_PKS3_PKT1_SC_S9_PKT3_PKT4_S7_PT5_21rocsparse_index_base_b ; -- Begin function _ZN9rocsparseL20bsrxmvn_17_32_kernelILj18E21rocsparse_complex_numIdEliS2_S2_S2_EEvT2_20rocsparse_direction_NS_24const_host_device_scalarIT0_EES3_PKS3_PKT1_SC_S9_PKT3_PKT4_S7_PT5_21rocsparse_index_base_b
	.p2align	8
	.type	_ZN9rocsparseL20bsrxmvn_17_32_kernelILj18E21rocsparse_complex_numIdEliS2_S2_S2_EEvT2_20rocsparse_direction_NS_24const_host_device_scalarIT0_EES3_PKS3_PKT1_SC_S9_PKT3_PKT4_S7_PT5_21rocsparse_index_base_b,@function
_ZN9rocsparseL20bsrxmvn_17_32_kernelILj18E21rocsparse_complex_numIdEliS2_S2_S2_EEvT2_20rocsparse_direction_NS_24const_host_device_scalarIT0_EES3_PKS3_PKT1_SC_S9_PKT3_PKT4_S7_PT5_21rocsparse_index_base_b: ; @_ZN9rocsparseL20bsrxmvn_17_32_kernelILj18E21rocsparse_complex_numIdEliS2_S2_S2_EEvT2_20rocsparse_direction_NS_24const_host_device_scalarIT0_EES3_PKS3_PKT1_SC_S9_PKT3_PKT4_S7_PT5_21rocsparse_index_base_b
; %bb.0:
	s_load_dwordx2 s[0:1], s[4:5], 0x8
	s_load_dwordx2 s[10:11], s[4:5], 0x68
	s_add_u32 s7, s4, 8
	s_addc_u32 s8, s5, 0
	s_add_u32 s9, s4, 0x50
	s_addc_u32 s12, s5, 0
	s_waitcnt lgkmcnt(0)
	s_bitcmp1_b32 s11, 0
	s_cselect_b32 s1, s8, s1
	s_cselect_b32 s0, s7, s0
	v_mov_b32_e32 v1, s0
	v_mov_b32_e32 v2, s1
	flat_load_dwordx4 v[5:8], v[1:2]
	s_load_dwordx2 s[2:3], s[4:5], 0x50
	s_waitcnt lgkmcnt(0)
	s_cselect_b32 s0, s12, s3
	s_cselect_b32 s1, s9, s2
	v_mov_b32_e32 v1, s1
	v_mov_b32_e32 v2, s0
	flat_load_dwordx4 v[1:4], v[1:2]
	s_waitcnt vmcnt(0)
	v_cmp_eq_f64_e32 vcc, 0, v[5:6]
	v_cmp_eq_f64_e64 s[0:1], 0, v[7:8]
	s_and_b64 s[8:9], vcc, s[0:1]
	s_mov_b64 s[0:1], -1
	s_and_saveexec_b64 s[2:3], s[8:9]
	s_cbranch_execz .LBB113_2
; %bb.1:
	s_waitcnt lgkmcnt(0)
	v_cmp_neq_f64_e32 vcc, 1.0, v[1:2]
	v_cmp_neq_f64_e64 s[0:1], 0, v[3:4]
	s_or_b64 s[0:1], vcc, s[0:1]
	s_orn2_b64 s[0:1], s[0:1], exec
.LBB113_2:
	s_or_b64 exec, exec, s[2:3]
	s_and_saveexec_b64 s[2:3], s[0:1]
	s_cbranch_execz .LBB113_39
; %bb.3:
	s_load_dwordx4 s[0:3], s[4:5], 0x20
	s_load_dwordx2 s[14:15], s[4:5], 0x30
	s_waitcnt lgkmcnt(0)
	s_cmp_eq_u64 s[0:1], 0
	s_cbranch_scc1 .LBB113_5
; %bb.4:
	s_ashr_i32 s7, s6, 31
	s_lshl_b64 s[6:7], s[6:7], 2
	s_add_u32 s0, s0, s6
	s_addc_u32 s1, s1, s7
	s_load_dword s0, s[0:1], 0x0
	s_waitcnt lgkmcnt(0)
	s_sub_i32 s6, s0, s10
.LBB113_5:
	s_load_dword s7, s[4:5], 0x4
	s_load_dwordx2 s[8:9], s[4:5], 0x60
	v_mul_u32_u24_e32 v13, 0xe39, v0
	v_mov_b32_e32 v14, 18
	v_mul_lo_u16_sdwa v9, v13, v14 dst_sel:DWORD dst_unused:UNUSED_PAD src0_sel:WORD_1 src1_sel:DWORD
	s_waitcnt lgkmcnt(0)
	s_cmp_eq_u32 s7, 1
	s_cselect_b64 s[0:1], -1, 0
	s_cmp_lg_u32 s7, 1
	s_cselect_b64 s[12:13], -1, 0
	s_ashr_i32 s7, s6, 31
	s_lshl_b64 s[16:17], s[6:7], 3
	s_add_u32 s2, s2, s16
	s_addc_u32 s3, s3, s17
	s_add_u32 s7, s2, 8
	s_addc_u32 s11, s3, 0
	;; [unrolled: 2-line block ×3, first 2 shown]
	s_cmp_eq_u64 s[14:15], 0
	s_cselect_b32 s19, s11, s17
	s_cselect_b32 s18, s7, s16
	s_load_dwordx2 s[14:15], s[18:19], 0x0
	s_load_dwordx2 s[16:17], s[2:3], 0x0
	v_sub_u16_e32 v21, v0, v9
	v_mov_b32_e32 v11, 0
	v_mov_b32_e32 v12, 0
	s_waitcnt lgkmcnt(0)
	v_mov_b32_e32 v9, s14
	v_mov_b32_e32 v10, s15
	v_cmp_ge_i64_e32 vcc, s[16:17], v[9:10]
	v_mov_b32_e32 v9, 0
	v_lshlrev_b32_e32 v20, 4, v0
	v_mov_b32_e32 v10, 0
	s_cbranch_vccnz .LBB113_10
; %bb.6:
	v_mov_b32_e32 v9, 15
	s_load_dwordx2 s[2:3], s[4:5], 0x48
	s_load_dwordx4 s[20:23], s[4:5], 0x38
	s_sub_u32 s4, s14, s10
	v_mul_lo_u16_sdwa v9, v13, v9 dst_sel:DWORD dst_unused:UNUSED_PAD src0_sel:WORD_1 src1_sel:DWORD
	s_subb_u32 s5, s15, 0
	v_mul_lo_u16_sdwa v9, v9, v14 dst_sel:DWORD dst_unused:UNUSED_PAD src0_sel:BYTE_1 src1_sel:DWORD
	v_sub_u16_sdwa v9, v13, v9 dst_sel:DWORD dst_unused:UNUSED_PAD src0_sel:WORD_1 src1_sel:DWORD
	s_sub_u32 s14, s16, s10
	v_and_b32_e32 v9, 0xff, v9
	s_subb_u32 s15, s17, 0
	v_cndmask_b32_e64 v13, v21, v9, s[0:1]
	s_mul_i32 s0, s15, 0x1440
	s_mul_hi_u32 s1, s14, 0x1440
	s_add_i32 s1, s1, s0
	s_mul_i32 s0, s14, 0x1440
	s_waitcnt lgkmcnt(0)
	s_add_u32 s0, s22, s0
	s_addc_u32 s1, s23, s1
	v_mov_b32_e32 v9, s1
	v_add_co_u32_e32 v14, vcc, s0, v20
	s_movk_i32 s0, 0x195
	v_addc_co_u32_e32 v15, vcc, 0, v9, vcc
	v_mul_u32_u24_sdwa v9, v0, s0 dst_sel:DWORD dst_unused:UNUSED_PAD src0_sel:WORD_0 src1_sel:DWORD
	v_lshrrev_b32_e32 v22, 17, v9
	v_mov_b32_e32 v9, s17
	v_add_co_u32_e32 v10, vcc, s16, v22
	v_addc_co_u32_e32 v11, vcc, 0, v9, vcc
	v_subrev_co_u32_e32 v9, vcc, s10, v10
	v_subbrev_co_u32_e32 v10, vcc, 0, v11, vcc
	v_lshlrev_b64 v[9:10], 2, v[9:10]
	v_mov_b32_e32 v11, s21
	v_add_co_u32_e32 v16, vcc, s20, v9
	v_addc_co_u32_e32 v17, vcc, v11, v10, vcc
	v_mov_b32_e32 v11, 0
	v_mov_b32_e32 v12, 0
	;; [unrolled: 1-line block ×6, first 2 shown]
	s_branch .LBB113_8
.LBB113_7:                              ;   in Loop: Header=BB113_8 Depth=1
	s_or_b64 exec, exec, s[0:1]
	s_add_u32 s14, s14, 1
	s_addc_u32 s15, s15, 0
	v_cmp_lt_i64_e32 vcc, s[14:15], v[18:19]
	v_add_co_u32_e64 v16, s[0:1], 4, v16
	v_addc_co_u32_e64 v17, s[0:1], 0, v17, s[0:1]
	s_cbranch_vccz .LBB113_10
.LBB113_8:                              ; =>This Inner Loop Header: Depth=1
	v_mov_b32_e32 v24, s15
	v_add_co_u32_e32 v23, vcc, s14, v22
	v_addc_co_u32_e32 v24, vcc, 0, v24, vcc
	v_cmp_gt_i64_e32 vcc, s[4:5], v[23:24]
	s_and_saveexec_b64 s[0:1], vcc
	s_cbranch_execz .LBB113_7
; %bb.9:                                ;   in Loop: Header=BB113_8 Depth=1
	global_load_dword v23, v[16:17], off
	v_mov_b32_e32 v29, s3
	s_waitcnt vmcnt(0)
	v_subrev_u32_e32 v23, s10, v23
	v_mad_u64_u32 v[27:28], s[16:17], v23, 18, v[13:14]
	global_load_dwordx4 v[23:26], v[14:15], off
	v_ashrrev_i32_e32 v28, 31, v27
	v_lshlrev_b64 v[27:28], 4, v[27:28]
	v_add_co_u32_e32 v27, vcc, s2, v27
	v_addc_co_u32_e32 v28, vcc, v29, v28, vcc
	global_load_dwordx4 v[27:30], v[27:28], off
	v_add_co_u32_e32 v14, vcc, 0x1440, v14
	v_addc_co_u32_e32 v15, vcc, 0, v15, vcc
	s_waitcnt vmcnt(0)
	v_fma_f64 v[9:10], v[23:24], v[27:28], v[9:10]
	v_fma_f64 v[11:12], v[25:26], v[27:28], v[11:12]
	v_fma_f64 v[9:10], -v[25:26], v[29:30], v[9:10]
	v_fma_f64 v[11:12], v[23:24], v[29:30], v[11:12]
	s_branch .LBB113_7
.LBB113_10:
	s_and_b64 vcc, exec, s[12:13]
	ds_write_b128 v20, v[9:12]
	s_waitcnt lgkmcnt(0)
	s_barrier
	s_cbranch_vccz .LBB113_22
; %bb.11:
	v_cmp_gt_u16_e32 vcc, 2, v21
	s_and_saveexec_b64 s[0:1], vcc
	s_cbranch_execz .LBB113_13
; %bb.12:
	ds_read_b128 v[13:16], v20 offset:256
	ds_read_b128 v[22:25], v20
	s_waitcnt lgkmcnt(0)
	v_add_f64 v[13:14], v[13:14], v[22:23]
	v_add_f64 v[15:16], v[15:16], v[24:25]
	ds_write_b128 v20, v[13:16]
.LBB113_13:
	s_or_b64 exec, exec, s[0:1]
	v_cmp_gt_u16_e64 s[0:1], 8, v21
	s_waitcnt lgkmcnt(0)
	s_barrier
	s_and_saveexec_b64 s[2:3], s[0:1]
	s_cbranch_execz .LBB113_15
; %bb.14:
	ds_read_b128 v[13:16], v20 offset:128
	ds_read_b128 v[22:25], v20
	s_waitcnt lgkmcnt(0)
	v_add_f64 v[13:14], v[13:14], v[22:23]
	v_add_f64 v[15:16], v[15:16], v[24:25]
	ds_write_b128 v20, v[13:16]
.LBB113_15:
	s_or_b64 exec, exec, s[2:3]
	v_cmp_gt_u16_e64 s[0:1], 4, v21
	s_waitcnt lgkmcnt(0)
	s_barrier
	s_and_saveexec_b64 s[2:3], s[0:1]
	s_cbranch_execz .LBB113_17
; %bb.16:
	ds_read_b128 v[13:16], v20 offset:64
	ds_read_b128 v[21:24], v20
	s_waitcnt lgkmcnt(0)
	v_add_f64 v[13:14], v[13:14], v[21:22]
	v_add_f64 v[15:16], v[15:16], v[23:24]
	ds_write_b128 v20, v[13:16]
.LBB113_17:
	s_or_b64 exec, exec, s[2:3]
	s_waitcnt lgkmcnt(0)
	s_barrier
	s_and_saveexec_b64 s[0:1], vcc
	s_cbranch_execz .LBB113_19
; %bb.18:
	ds_read_b128 v[13:16], v20
	ds_read_b128 v[21:24], v20 offset:32
	s_waitcnt lgkmcnt(0)
	v_add_f64 v[13:14], v[21:22], v[13:14]
	v_add_f64 v[15:16], v[23:24], v[15:16]
	ds_write_b128 v20, v[13:16]
.LBB113_19:
	s_or_b64 exec, exec, s[0:1]
	v_mov_b32_e32 v16, v12
	v_mov_b32_e32 v14, v10
	v_cmp_gt_u32_e32 vcc, 18, v0
	v_mov_b32_e32 v15, v11
	v_mov_b32_e32 v13, v9
	s_waitcnt lgkmcnt(0)
	s_barrier
	s_and_saveexec_b64 s[0:1], vcc
	s_cbranch_execz .LBB113_21
; %bb.20:
	s_movk_i32 s2, 0x110
	v_mad_u32_u24 v17, v0, s2, v20
	ds_read_b128 v[13:16], v17
	ds_read_b128 v[21:24], v17 offset:16
	s_waitcnt lgkmcnt(0)
	v_add_f64 v[13:14], v[21:22], v[13:14]
	v_add_f64 v[15:16], v[23:24], v[15:16]
.LBB113_21:
	s_or_b64 exec, exec, s[0:1]
	s_branch .LBB113_34
.LBB113_22:
                                        ; implicit-def: $vgpr15_vgpr16
                                        ; implicit-def: $vgpr13_vgpr14
	s_cbranch_execz .LBB113_34
; %bb.23:
	v_cmp_gt_u32_e32 vcc, 36, v0
	s_and_saveexec_b64 s[0:1], vcc
	s_cbranch_execz .LBB113_25
; %bb.24:
	ds_read_b128 v[13:16], v20 offset:4608
	ds_read_b128 v[21:24], v20
	s_waitcnt lgkmcnt(0)
	v_add_f64 v[13:14], v[13:14], v[21:22]
	v_add_f64 v[15:16], v[15:16], v[23:24]
	ds_write_b128 v20, v[13:16]
.LBB113_25:
	s_or_b64 exec, exec, s[0:1]
	s_movk_i32 s0, 0x90
	v_cmp_gt_u32_e64 s[0:1], s0, v0
	s_waitcnt lgkmcnt(0)
	s_barrier
	s_and_saveexec_b64 s[2:3], s[0:1]
	s_cbranch_execz .LBB113_27
; %bb.26:
	ds_read_b128 v[13:16], v20 offset:2304
	ds_read_b128 v[21:24], v20
	s_waitcnt lgkmcnt(0)
	v_add_f64 v[13:14], v[13:14], v[21:22]
	v_add_f64 v[15:16], v[15:16], v[23:24]
	ds_write_b128 v20, v[13:16]
.LBB113_27:
	s_or_b64 exec, exec, s[2:3]
	s_movk_i32 s0, 0x48
	v_cmp_gt_u32_e64 s[0:1], s0, v0
	s_waitcnt lgkmcnt(0)
	s_barrier
	s_and_saveexec_b64 s[2:3], s[0:1]
	s_cbranch_execz .LBB113_29
; %bb.28:
	ds_read_b128 v[13:16], v20 offset:1152
	ds_read_b128 v[21:24], v20
	s_waitcnt lgkmcnt(0)
	v_add_f64 v[13:14], v[13:14], v[21:22]
	v_add_f64 v[15:16], v[15:16], v[23:24]
	ds_write_b128 v20, v[13:16]
.LBB113_29:
	s_or_b64 exec, exec, s[2:3]
	s_waitcnt lgkmcnt(0)
	s_barrier
	s_and_saveexec_b64 s[0:1], vcc
	s_cbranch_execz .LBB113_31
; %bb.30:
	ds_read_b128 v[13:16], v20 offset:576
	ds_read_b128 v[21:24], v20
	s_waitcnt lgkmcnt(0)
	v_add_f64 v[13:14], v[13:14], v[21:22]
	v_add_f64 v[15:16], v[15:16], v[23:24]
	ds_write_b128 v20, v[13:16]
.LBB113_31:
	s_or_b64 exec, exec, s[0:1]
	v_cmp_gt_u32_e32 vcc, 18, v0
	s_waitcnt lgkmcnt(0)
	s_and_saveexec_b64 s[0:1], vcc
	s_cbranch_execz .LBB113_33
; %bb.32:
	ds_read_b128 v[9:12], v20 offset:288
	ds_read_b128 v[13:16], v20
	s_waitcnt lgkmcnt(0)
	v_add_f64 v[9:10], v[9:10], v[13:14]
	v_add_f64 v[11:12], v[11:12], v[15:16]
.LBB113_33:
	s_or_b64 exec, exec, s[0:1]
	v_mov_b32_e32 v16, v12
	v_mov_b32_e32 v14, v10
	;; [unrolled: 1-line block ×4, first 2 shown]
.LBB113_34:
	v_cmp_gt_u32_e32 vcc, 18, v0
	s_and_b64 exec, exec, vcc
	s_cbranch_execz .LBB113_39
; %bb.35:
	v_mul_f64 v[9:10], v[15:16], -v[7:8]
	v_mul_f64 v[11:12], v[5:6], v[15:16]
	v_cmp_eq_f64_e32 vcc, 0, v[1:2]
	v_cmp_eq_f64_e64 s[0:1], 0, v[3:4]
	v_fma_f64 v[5:6], v[5:6], v[13:14], v[9:10]
	v_fma_f64 v[7:8], v[7:8], v[13:14], v[11:12]
	s_and_b64 s[0:1], vcc, s[0:1]
	s_and_saveexec_b64 s[2:3], s[0:1]
	s_xor_b64 s[0:1], exec, s[2:3]
	s_cbranch_execz .LBB113_37
; %bb.36:
	v_mad_u64_u32 v[0:1], s[2:3], s6, 18, v[0:1]
	v_mov_b32_e32 v1, 0
	v_mov_b32_e32 v2, s9
	v_lshlrev_b64 v[0:1], 4, v[0:1]
	v_add_co_u32_e32 v0, vcc, s8, v0
	v_addc_co_u32_e32 v1, vcc, v2, v1, vcc
	global_store_dwordx4 v[0:1], v[5:8], off
                                        ; implicit-def: $vgpr0
                                        ; implicit-def: $vgpr1_vgpr2
                                        ; implicit-def: $vgpr5_vgpr6
.LBB113_37:
	s_andn2_saveexec_b64 s[0:1], s[0:1]
	s_cbranch_execz .LBB113_39
; %bb.38:
	v_mad_u64_u32 v[9:10], s[0:1], s6, 18, v[0:1]
	v_mov_b32_e32 v10, 0
	v_mov_b32_e32 v0, s9
	v_lshlrev_b64 v[9:10], 4, v[9:10]
	v_add_co_u32_e32 v13, vcc, s8, v9
	v_addc_co_u32_e32 v14, vcc, v0, v10, vcc
	global_load_dwordx4 v[9:12], v[13:14], off
	s_waitcnt vmcnt(0)
	v_fma_f64 v[5:6], v[1:2], v[9:10], v[5:6]
	v_fma_f64 v[7:8], v[3:4], v[9:10], v[7:8]
	v_fma_f64 v[3:4], -v[3:4], v[11:12], v[5:6]
	v_fma_f64 v[5:6], v[1:2], v[11:12], v[7:8]
	global_store_dwordx4 v[13:14], v[3:6], off
.LBB113_39:
	s_endpgm
	.section	.rodata,"a",@progbits
	.p2align	6, 0x0
	.amdhsa_kernel _ZN9rocsparseL20bsrxmvn_17_32_kernelILj18E21rocsparse_complex_numIdEliS2_S2_S2_EEvT2_20rocsparse_direction_NS_24const_host_device_scalarIT0_EES3_PKS3_PKT1_SC_S9_PKT3_PKT4_S7_PT5_21rocsparse_index_base_b
		.amdhsa_group_segment_fixed_size 5184
		.amdhsa_private_segment_fixed_size 0
		.amdhsa_kernarg_size 112
		.amdhsa_user_sgpr_count 6
		.amdhsa_user_sgpr_private_segment_buffer 1
		.amdhsa_user_sgpr_dispatch_ptr 0
		.amdhsa_user_sgpr_queue_ptr 0
		.amdhsa_user_sgpr_kernarg_segment_ptr 1
		.amdhsa_user_sgpr_dispatch_id 0
		.amdhsa_user_sgpr_flat_scratch_init 0
		.amdhsa_user_sgpr_private_segment_size 0
		.amdhsa_uses_dynamic_stack 0
		.amdhsa_system_sgpr_private_segment_wavefront_offset 0
		.amdhsa_system_sgpr_workgroup_id_x 1
		.amdhsa_system_sgpr_workgroup_id_y 0
		.amdhsa_system_sgpr_workgroup_id_z 0
		.amdhsa_system_sgpr_workgroup_info 0
		.amdhsa_system_vgpr_workitem_id 0
		.amdhsa_next_free_vgpr 31
		.amdhsa_next_free_sgpr 61
		.amdhsa_reserve_vcc 1
		.amdhsa_reserve_flat_scratch 0
		.amdhsa_float_round_mode_32 0
		.amdhsa_float_round_mode_16_64 0
		.amdhsa_float_denorm_mode_32 3
		.amdhsa_float_denorm_mode_16_64 3
		.amdhsa_dx10_clamp 1
		.amdhsa_ieee_mode 1
		.amdhsa_fp16_overflow 0
		.amdhsa_exception_fp_ieee_invalid_op 0
		.amdhsa_exception_fp_denorm_src 0
		.amdhsa_exception_fp_ieee_div_zero 0
		.amdhsa_exception_fp_ieee_overflow 0
		.amdhsa_exception_fp_ieee_underflow 0
		.amdhsa_exception_fp_ieee_inexact 0
		.amdhsa_exception_int_div_zero 0
	.end_amdhsa_kernel
	.section	.text._ZN9rocsparseL20bsrxmvn_17_32_kernelILj18E21rocsparse_complex_numIdEliS2_S2_S2_EEvT2_20rocsparse_direction_NS_24const_host_device_scalarIT0_EES3_PKS3_PKT1_SC_S9_PKT3_PKT4_S7_PT5_21rocsparse_index_base_b,"axG",@progbits,_ZN9rocsparseL20bsrxmvn_17_32_kernelILj18E21rocsparse_complex_numIdEliS2_S2_S2_EEvT2_20rocsparse_direction_NS_24const_host_device_scalarIT0_EES3_PKS3_PKT1_SC_S9_PKT3_PKT4_S7_PT5_21rocsparse_index_base_b,comdat
.Lfunc_end113:
	.size	_ZN9rocsparseL20bsrxmvn_17_32_kernelILj18E21rocsparse_complex_numIdEliS2_S2_S2_EEvT2_20rocsparse_direction_NS_24const_host_device_scalarIT0_EES3_PKS3_PKT1_SC_S9_PKT3_PKT4_S7_PT5_21rocsparse_index_base_b, .Lfunc_end113-_ZN9rocsparseL20bsrxmvn_17_32_kernelILj18E21rocsparse_complex_numIdEliS2_S2_S2_EEvT2_20rocsparse_direction_NS_24const_host_device_scalarIT0_EES3_PKS3_PKT1_SC_S9_PKT3_PKT4_S7_PT5_21rocsparse_index_base_b
                                        ; -- End function
	.set _ZN9rocsparseL20bsrxmvn_17_32_kernelILj18E21rocsparse_complex_numIdEliS2_S2_S2_EEvT2_20rocsparse_direction_NS_24const_host_device_scalarIT0_EES3_PKS3_PKT1_SC_S9_PKT3_PKT4_S7_PT5_21rocsparse_index_base_b.num_vgpr, 31
	.set _ZN9rocsparseL20bsrxmvn_17_32_kernelILj18E21rocsparse_complex_numIdEliS2_S2_S2_EEvT2_20rocsparse_direction_NS_24const_host_device_scalarIT0_EES3_PKS3_PKT1_SC_S9_PKT3_PKT4_S7_PT5_21rocsparse_index_base_b.num_agpr, 0
	.set _ZN9rocsparseL20bsrxmvn_17_32_kernelILj18E21rocsparse_complex_numIdEliS2_S2_S2_EEvT2_20rocsparse_direction_NS_24const_host_device_scalarIT0_EES3_PKS3_PKT1_SC_S9_PKT3_PKT4_S7_PT5_21rocsparse_index_base_b.numbered_sgpr, 24
	.set _ZN9rocsparseL20bsrxmvn_17_32_kernelILj18E21rocsparse_complex_numIdEliS2_S2_S2_EEvT2_20rocsparse_direction_NS_24const_host_device_scalarIT0_EES3_PKS3_PKT1_SC_S9_PKT3_PKT4_S7_PT5_21rocsparse_index_base_b.num_named_barrier, 0
	.set _ZN9rocsparseL20bsrxmvn_17_32_kernelILj18E21rocsparse_complex_numIdEliS2_S2_S2_EEvT2_20rocsparse_direction_NS_24const_host_device_scalarIT0_EES3_PKS3_PKT1_SC_S9_PKT3_PKT4_S7_PT5_21rocsparse_index_base_b.private_seg_size, 0
	.set _ZN9rocsparseL20bsrxmvn_17_32_kernelILj18E21rocsparse_complex_numIdEliS2_S2_S2_EEvT2_20rocsparse_direction_NS_24const_host_device_scalarIT0_EES3_PKS3_PKT1_SC_S9_PKT3_PKT4_S7_PT5_21rocsparse_index_base_b.uses_vcc, 1
	.set _ZN9rocsparseL20bsrxmvn_17_32_kernelILj18E21rocsparse_complex_numIdEliS2_S2_S2_EEvT2_20rocsparse_direction_NS_24const_host_device_scalarIT0_EES3_PKS3_PKT1_SC_S9_PKT3_PKT4_S7_PT5_21rocsparse_index_base_b.uses_flat_scratch, 0
	.set _ZN9rocsparseL20bsrxmvn_17_32_kernelILj18E21rocsparse_complex_numIdEliS2_S2_S2_EEvT2_20rocsparse_direction_NS_24const_host_device_scalarIT0_EES3_PKS3_PKT1_SC_S9_PKT3_PKT4_S7_PT5_21rocsparse_index_base_b.has_dyn_sized_stack, 0
	.set _ZN9rocsparseL20bsrxmvn_17_32_kernelILj18E21rocsparse_complex_numIdEliS2_S2_S2_EEvT2_20rocsparse_direction_NS_24const_host_device_scalarIT0_EES3_PKS3_PKT1_SC_S9_PKT3_PKT4_S7_PT5_21rocsparse_index_base_b.has_recursion, 0
	.set _ZN9rocsparseL20bsrxmvn_17_32_kernelILj18E21rocsparse_complex_numIdEliS2_S2_S2_EEvT2_20rocsparse_direction_NS_24const_host_device_scalarIT0_EES3_PKS3_PKT1_SC_S9_PKT3_PKT4_S7_PT5_21rocsparse_index_base_b.has_indirect_call, 0
	.section	.AMDGPU.csdata,"",@progbits
; Kernel info:
; codeLenInByte = 1724
; TotalNumSgprs: 28
; NumVgprs: 31
; ScratchSize: 0
; MemoryBound: 0
; FloatMode: 240
; IeeeMode: 1
; LDSByteSize: 5184 bytes/workgroup (compile time only)
; SGPRBlocks: 8
; VGPRBlocks: 7
; NumSGPRsForWavesPerEU: 65
; NumVGPRsForWavesPerEU: 31
; Occupancy: 8
; WaveLimiterHint : 1
; COMPUTE_PGM_RSRC2:SCRATCH_EN: 0
; COMPUTE_PGM_RSRC2:USER_SGPR: 6
; COMPUTE_PGM_RSRC2:TRAP_HANDLER: 0
; COMPUTE_PGM_RSRC2:TGID_X_EN: 1
; COMPUTE_PGM_RSRC2:TGID_Y_EN: 0
; COMPUTE_PGM_RSRC2:TGID_Z_EN: 0
; COMPUTE_PGM_RSRC2:TIDIG_COMP_CNT: 0
	.section	.text._ZN9rocsparseL20bsrxmvn_17_32_kernelILj19E21rocsparse_complex_numIdEliS2_S2_S2_EEvT2_20rocsparse_direction_NS_24const_host_device_scalarIT0_EES3_PKS3_PKT1_SC_S9_PKT3_PKT4_S7_PT5_21rocsparse_index_base_b,"axG",@progbits,_ZN9rocsparseL20bsrxmvn_17_32_kernelILj19E21rocsparse_complex_numIdEliS2_S2_S2_EEvT2_20rocsparse_direction_NS_24const_host_device_scalarIT0_EES3_PKS3_PKT1_SC_S9_PKT3_PKT4_S7_PT5_21rocsparse_index_base_b,comdat
	.globl	_ZN9rocsparseL20bsrxmvn_17_32_kernelILj19E21rocsparse_complex_numIdEliS2_S2_S2_EEvT2_20rocsparse_direction_NS_24const_host_device_scalarIT0_EES3_PKS3_PKT1_SC_S9_PKT3_PKT4_S7_PT5_21rocsparse_index_base_b ; -- Begin function _ZN9rocsparseL20bsrxmvn_17_32_kernelILj19E21rocsparse_complex_numIdEliS2_S2_S2_EEvT2_20rocsparse_direction_NS_24const_host_device_scalarIT0_EES3_PKS3_PKT1_SC_S9_PKT3_PKT4_S7_PT5_21rocsparse_index_base_b
	.p2align	8
	.type	_ZN9rocsparseL20bsrxmvn_17_32_kernelILj19E21rocsparse_complex_numIdEliS2_S2_S2_EEvT2_20rocsparse_direction_NS_24const_host_device_scalarIT0_EES3_PKS3_PKT1_SC_S9_PKT3_PKT4_S7_PT5_21rocsparse_index_base_b,@function
_ZN9rocsparseL20bsrxmvn_17_32_kernelILj19E21rocsparse_complex_numIdEliS2_S2_S2_EEvT2_20rocsparse_direction_NS_24const_host_device_scalarIT0_EES3_PKS3_PKT1_SC_S9_PKT3_PKT4_S7_PT5_21rocsparse_index_base_b: ; @_ZN9rocsparseL20bsrxmvn_17_32_kernelILj19E21rocsparse_complex_numIdEliS2_S2_S2_EEvT2_20rocsparse_direction_NS_24const_host_device_scalarIT0_EES3_PKS3_PKT1_SC_S9_PKT3_PKT4_S7_PT5_21rocsparse_index_base_b
; %bb.0:
	s_load_dwordx2 s[0:1], s[4:5], 0x8
	s_load_dwordx2 s[10:11], s[4:5], 0x68
	s_add_u32 s7, s4, 8
	s_addc_u32 s8, s5, 0
	s_add_u32 s9, s4, 0x50
	s_addc_u32 s12, s5, 0
	s_waitcnt lgkmcnt(0)
	s_bitcmp1_b32 s11, 0
	s_cselect_b32 s1, s8, s1
	s_cselect_b32 s0, s7, s0
	v_mov_b32_e32 v1, s0
	v_mov_b32_e32 v2, s1
	flat_load_dwordx4 v[5:8], v[1:2]
	s_load_dwordx2 s[2:3], s[4:5], 0x50
	s_waitcnt lgkmcnt(0)
	s_cselect_b32 s0, s12, s3
	s_cselect_b32 s1, s9, s2
	v_mov_b32_e32 v1, s1
	v_mov_b32_e32 v2, s0
	flat_load_dwordx4 v[1:4], v[1:2]
	s_waitcnt vmcnt(0)
	v_cmp_eq_f64_e32 vcc, 0, v[5:6]
	v_cmp_eq_f64_e64 s[0:1], 0, v[7:8]
	s_and_b64 s[8:9], vcc, s[0:1]
	s_mov_b64 s[0:1], -1
	s_and_saveexec_b64 s[2:3], s[8:9]
	s_cbranch_execz .LBB114_2
; %bb.1:
	s_waitcnt lgkmcnt(0)
	v_cmp_neq_f64_e32 vcc, 1.0, v[1:2]
	v_cmp_neq_f64_e64 s[0:1], 0, v[3:4]
	s_or_b64 s[0:1], vcc, s[0:1]
	s_orn2_b64 s[0:1], s[0:1], exec
.LBB114_2:
	s_or_b64 exec, exec, s[2:3]
	s_and_saveexec_b64 s[2:3], s[0:1]
	s_cbranch_execz .LBB114_39
; %bb.3:
	s_load_dwordx4 s[0:3], s[4:5], 0x20
	s_load_dwordx2 s[14:15], s[4:5], 0x30
	s_waitcnt lgkmcnt(0)
	s_cmp_eq_u64 s[0:1], 0
	s_cbranch_scc1 .LBB114_5
; %bb.4:
	s_ashr_i32 s7, s6, 31
	s_lshl_b64 s[6:7], s[6:7], 2
	s_add_u32 s0, s0, s6
	s_addc_u32 s1, s1, s7
	s_load_dword s0, s[0:1], 0x0
	s_waitcnt lgkmcnt(0)
	s_sub_i32 s6, s0, s10
.LBB114_5:
	s_load_dword s7, s[4:5], 0x4
	s_load_dwordx2 s[8:9], s[4:5], 0x60
	v_mul_u32_u24_e32 v13, 0xd7a, v0
	v_mov_b32_e32 v14, 19
	v_mul_lo_u16_sdwa v9, v13, v14 dst_sel:DWORD dst_unused:UNUSED_PAD src0_sel:WORD_1 src1_sel:DWORD
	s_waitcnt lgkmcnt(0)
	s_cmp_eq_u32 s7, 1
	s_cselect_b64 s[0:1], -1, 0
	s_cmp_lg_u32 s7, 1
	s_cselect_b64 s[12:13], -1, 0
	s_ashr_i32 s7, s6, 31
	s_lshl_b64 s[16:17], s[6:7], 3
	s_add_u32 s2, s2, s16
	s_addc_u32 s3, s3, s17
	s_add_u32 s7, s2, 8
	s_addc_u32 s11, s3, 0
	s_add_u32 s16, s14, s16
	s_addc_u32 s17, s15, s17
	s_cmp_eq_u64 s[14:15], 0
	s_cselect_b32 s19, s11, s17
	s_cselect_b32 s18, s7, s16
	s_load_dwordx2 s[14:15], s[18:19], 0x0
	s_load_dwordx2 s[16:17], s[2:3], 0x0
	v_sub_u16_e32 v21, v0, v9
	v_mov_b32_e32 v11, 0
	v_mov_b32_e32 v12, 0
	s_waitcnt lgkmcnt(0)
	v_mov_b32_e32 v9, s14
	v_mov_b32_e32 v10, s15
	v_cmp_ge_i64_e32 vcc, s[16:17], v[9:10]
	v_mov_b32_e32 v9, 0
	v_lshlrev_b32_e32 v20, 4, v0
	v_mov_b32_e32 v10, 0
	s_cbranch_vccnz .LBB114_10
; %bb.6:
	v_mov_b32_e32 v9, 14
	s_load_dwordx2 s[2:3], s[4:5], 0x48
	s_load_dwordx4 s[20:23], s[4:5], 0x38
	s_sub_u32 s4, s14, s10
	v_mul_lo_u16_sdwa v9, v13, v9 dst_sel:DWORD dst_unused:UNUSED_PAD src0_sel:WORD_1 src1_sel:DWORD
	s_subb_u32 s5, s15, 0
	v_mul_lo_u16_sdwa v9, v9, v14 dst_sel:DWORD dst_unused:UNUSED_PAD src0_sel:BYTE_1 src1_sel:DWORD
	v_sub_u16_sdwa v9, v13, v9 dst_sel:DWORD dst_unused:UNUSED_PAD src0_sel:WORD_1 src1_sel:DWORD
	s_sub_u32 s14, s16, s10
	v_and_b32_e32 v9, 0xff, v9
	s_subb_u32 s15, s17, 0
	v_cndmask_b32_e64 v13, v21, v9, s[0:1]
	s_mul_i32 s0, s15, 0x1690
	s_mul_hi_u32 s1, s14, 0x1690
	s_add_i32 s1, s1, s0
	s_mul_i32 s0, s14, 0x1690
	s_waitcnt lgkmcnt(0)
	s_add_u32 s0, s22, s0
	s_addc_u32 s1, s23, s1
	v_mov_b32_e32 v9, s1
	v_add_co_u32_e32 v14, vcc, s0, v20
	s_movk_i32 s0, 0xb6
	v_addc_co_u32_e32 v15, vcc, 0, v9, vcc
	v_mul_u32_u24_sdwa v9, v0, s0 dst_sel:DWORD dst_unused:UNUSED_PAD src0_sel:WORD_0 src1_sel:DWORD
	v_lshrrev_b32_e32 v22, 16, v9
	v_mov_b32_e32 v9, s17
	v_add_co_u32_e32 v10, vcc, s16, v22
	v_addc_co_u32_e32 v11, vcc, 0, v9, vcc
	v_subrev_co_u32_e32 v9, vcc, s10, v10
	v_subbrev_co_u32_e32 v10, vcc, 0, v11, vcc
	v_lshlrev_b64 v[9:10], 2, v[9:10]
	v_mov_b32_e32 v11, s21
	v_add_co_u32_e32 v16, vcc, s20, v9
	v_addc_co_u32_e32 v17, vcc, v11, v10, vcc
	v_mov_b32_e32 v11, 0
	v_mov_b32_e32 v12, 0
	;; [unrolled: 1-line block ×6, first 2 shown]
	s_branch .LBB114_8
.LBB114_7:                              ;   in Loop: Header=BB114_8 Depth=1
	s_or_b64 exec, exec, s[0:1]
	s_add_u32 s14, s14, 1
	s_addc_u32 s15, s15, 0
	v_cmp_lt_i64_e32 vcc, s[14:15], v[18:19]
	v_add_co_u32_e64 v16, s[0:1], 4, v16
	v_addc_co_u32_e64 v17, s[0:1], 0, v17, s[0:1]
	s_cbranch_vccz .LBB114_10
.LBB114_8:                              ; =>This Inner Loop Header: Depth=1
	v_mov_b32_e32 v24, s15
	v_add_co_u32_e32 v23, vcc, s14, v22
	v_addc_co_u32_e32 v24, vcc, 0, v24, vcc
	v_cmp_gt_i64_e32 vcc, s[4:5], v[23:24]
	s_and_saveexec_b64 s[0:1], vcc
	s_cbranch_execz .LBB114_7
; %bb.9:                                ;   in Loop: Header=BB114_8 Depth=1
	global_load_dword v23, v[16:17], off
	v_mov_b32_e32 v29, s3
	s_waitcnt vmcnt(0)
	v_subrev_u32_e32 v23, s10, v23
	v_mad_u64_u32 v[27:28], s[16:17], v23, 19, v[13:14]
	global_load_dwordx4 v[23:26], v[14:15], off
	v_ashrrev_i32_e32 v28, 31, v27
	v_lshlrev_b64 v[27:28], 4, v[27:28]
	v_add_co_u32_e32 v27, vcc, s2, v27
	v_addc_co_u32_e32 v28, vcc, v29, v28, vcc
	global_load_dwordx4 v[27:30], v[27:28], off
	v_add_co_u32_e32 v14, vcc, 0x1690, v14
	v_addc_co_u32_e32 v15, vcc, 0, v15, vcc
	s_waitcnt vmcnt(0)
	v_fma_f64 v[9:10], v[23:24], v[27:28], v[9:10]
	v_fma_f64 v[11:12], v[25:26], v[27:28], v[11:12]
	v_fma_f64 v[9:10], -v[25:26], v[29:30], v[9:10]
	v_fma_f64 v[11:12], v[23:24], v[29:30], v[11:12]
	s_branch .LBB114_7
.LBB114_10:
	s_and_b64 vcc, exec, s[12:13]
	ds_write_b128 v20, v[9:12]
	s_waitcnt lgkmcnt(0)
	s_barrier
	s_cbranch_vccz .LBB114_22
; %bb.11:
	v_cmp_gt_u16_e32 vcc, 3, v21
	s_and_saveexec_b64 s[0:1], vcc
	s_cbranch_execz .LBB114_13
; %bb.12:
	ds_read_b128 v[13:16], v20 offset:256
	ds_read_b128 v[22:25], v20
	s_waitcnt lgkmcnt(0)
	v_add_f64 v[13:14], v[13:14], v[22:23]
	v_add_f64 v[15:16], v[15:16], v[24:25]
	ds_write_b128 v20, v[13:16]
.LBB114_13:
	s_or_b64 exec, exec, s[0:1]
	v_cmp_gt_u16_e32 vcc, 8, v21
	s_waitcnt lgkmcnt(0)
	s_barrier
	s_and_saveexec_b64 s[0:1], vcc
	s_cbranch_execz .LBB114_15
; %bb.14:
	ds_read_b128 v[13:16], v20 offset:128
	ds_read_b128 v[22:25], v20
	s_waitcnt lgkmcnt(0)
	v_add_f64 v[13:14], v[13:14], v[22:23]
	v_add_f64 v[15:16], v[15:16], v[24:25]
	ds_write_b128 v20, v[13:16]
.LBB114_15:
	s_or_b64 exec, exec, s[0:1]
	v_cmp_gt_u16_e32 vcc, 4, v21
	s_waitcnt lgkmcnt(0)
	s_barrier
	;; [unrolled: 14-line block ×3, first 2 shown]
	s_and_saveexec_b64 s[0:1], vcc
	s_cbranch_execz .LBB114_19
; %bb.18:
	ds_read_b128 v[13:16], v20
	ds_read_b128 v[21:24], v20 offset:32
	s_waitcnt lgkmcnt(0)
	v_add_f64 v[13:14], v[21:22], v[13:14]
	v_add_f64 v[15:16], v[23:24], v[15:16]
	ds_write_b128 v20, v[13:16]
.LBB114_19:
	s_or_b64 exec, exec, s[0:1]
	v_mov_b32_e32 v16, v12
	v_mov_b32_e32 v14, v10
	v_cmp_gt_u32_e32 vcc, 19, v0
	v_mov_b32_e32 v15, v11
	v_mov_b32_e32 v13, v9
	s_waitcnt lgkmcnt(0)
	s_barrier
	s_and_saveexec_b64 s[0:1], vcc
	s_cbranch_execz .LBB114_21
; %bb.20:
	s_movk_i32 s2, 0x120
	v_mad_u32_u24 v17, v0, s2, v20
	ds_read_b128 v[13:16], v17
	ds_read_b128 v[21:24], v17 offset:16
	s_waitcnt lgkmcnt(0)
	v_add_f64 v[13:14], v[21:22], v[13:14]
	v_add_f64 v[15:16], v[23:24], v[15:16]
.LBB114_21:
	s_or_b64 exec, exec, s[0:1]
	s_branch .LBB114_34
.LBB114_22:
                                        ; implicit-def: $vgpr15_vgpr16
                                        ; implicit-def: $vgpr13_vgpr14
	s_cbranch_execz .LBB114_34
; %bb.23:
	v_cmp_gt_u32_e32 vcc, 57, v0
	s_and_saveexec_b64 s[0:1], vcc
	s_cbranch_execz .LBB114_25
; %bb.24:
	ds_read_b128 v[13:16], v20 offset:4864
	ds_read_b128 v[21:24], v20
	s_waitcnt lgkmcnt(0)
	v_add_f64 v[13:14], v[13:14], v[21:22]
	v_add_f64 v[15:16], v[15:16], v[23:24]
	ds_write_b128 v20, v[13:16]
.LBB114_25:
	s_or_b64 exec, exec, s[0:1]
	s_movk_i32 s0, 0x98
	v_cmp_gt_u32_e32 vcc, s0, v0
	s_waitcnt lgkmcnt(0)
	s_barrier
	s_and_saveexec_b64 s[0:1], vcc
	s_cbranch_execz .LBB114_27
; %bb.26:
	ds_read_b128 v[13:16], v20 offset:2432
	ds_read_b128 v[21:24], v20
	s_waitcnt lgkmcnt(0)
	v_add_f64 v[13:14], v[13:14], v[21:22]
	v_add_f64 v[15:16], v[15:16], v[23:24]
	ds_write_b128 v20, v[13:16]
.LBB114_27:
	s_or_b64 exec, exec, s[0:1]
	s_movk_i32 s0, 0x4c
	v_cmp_gt_u32_e32 vcc, s0, v0
	s_waitcnt lgkmcnt(0)
	s_barrier
	s_and_saveexec_b64 s[0:1], vcc
	s_cbranch_execz .LBB114_29
; %bb.28:
	ds_read_b128 v[13:16], v20 offset:1216
	ds_read_b128 v[21:24], v20
	s_waitcnt lgkmcnt(0)
	v_add_f64 v[13:14], v[13:14], v[21:22]
	v_add_f64 v[15:16], v[15:16], v[23:24]
	ds_write_b128 v20, v[13:16]
.LBB114_29:
	s_or_b64 exec, exec, s[0:1]
	v_cmp_gt_u32_e32 vcc, 38, v0
	s_waitcnt lgkmcnt(0)
	s_barrier
	s_and_saveexec_b64 s[0:1], vcc
	s_cbranch_execz .LBB114_31
; %bb.30:
	ds_read_b128 v[13:16], v20 offset:608
	ds_read_b128 v[21:24], v20
	s_waitcnt lgkmcnt(0)
	v_add_f64 v[13:14], v[13:14], v[21:22]
	v_add_f64 v[15:16], v[15:16], v[23:24]
	ds_write_b128 v20, v[13:16]
.LBB114_31:
	s_or_b64 exec, exec, s[0:1]
	v_cmp_gt_u32_e32 vcc, 19, v0
	s_waitcnt lgkmcnt(0)
	s_and_saveexec_b64 s[0:1], vcc
	s_cbranch_execz .LBB114_33
; %bb.32:
	ds_read_b128 v[9:12], v20 offset:304
	ds_read_b128 v[13:16], v20
	s_waitcnt lgkmcnt(0)
	v_add_f64 v[9:10], v[9:10], v[13:14]
	v_add_f64 v[11:12], v[11:12], v[15:16]
.LBB114_33:
	s_or_b64 exec, exec, s[0:1]
	v_mov_b32_e32 v16, v12
	v_mov_b32_e32 v14, v10
	;; [unrolled: 1-line block ×4, first 2 shown]
.LBB114_34:
	v_cmp_gt_u32_e32 vcc, 19, v0
	s_and_b64 exec, exec, vcc
	s_cbranch_execz .LBB114_39
; %bb.35:
	v_mul_f64 v[9:10], v[15:16], -v[7:8]
	v_mul_f64 v[11:12], v[5:6], v[15:16]
	v_cmp_eq_f64_e32 vcc, 0, v[1:2]
	v_cmp_eq_f64_e64 s[0:1], 0, v[3:4]
	v_fma_f64 v[5:6], v[5:6], v[13:14], v[9:10]
	v_fma_f64 v[7:8], v[7:8], v[13:14], v[11:12]
	s_and_b64 s[0:1], vcc, s[0:1]
	s_and_saveexec_b64 s[2:3], s[0:1]
	s_xor_b64 s[0:1], exec, s[2:3]
	s_cbranch_execz .LBB114_37
; %bb.36:
	v_mad_u64_u32 v[0:1], s[2:3], s6, 19, v[0:1]
	v_mov_b32_e32 v1, 0
	v_mov_b32_e32 v2, s9
	v_lshlrev_b64 v[0:1], 4, v[0:1]
	v_add_co_u32_e32 v0, vcc, s8, v0
	v_addc_co_u32_e32 v1, vcc, v2, v1, vcc
	global_store_dwordx4 v[0:1], v[5:8], off
                                        ; implicit-def: $vgpr0
                                        ; implicit-def: $vgpr1_vgpr2
                                        ; implicit-def: $vgpr5_vgpr6
.LBB114_37:
	s_andn2_saveexec_b64 s[0:1], s[0:1]
	s_cbranch_execz .LBB114_39
; %bb.38:
	v_mad_u64_u32 v[9:10], s[0:1], s6, 19, v[0:1]
	v_mov_b32_e32 v10, 0
	v_mov_b32_e32 v0, s9
	v_lshlrev_b64 v[9:10], 4, v[9:10]
	v_add_co_u32_e32 v13, vcc, s8, v9
	v_addc_co_u32_e32 v14, vcc, v0, v10, vcc
	global_load_dwordx4 v[9:12], v[13:14], off
	s_waitcnt vmcnt(0)
	v_fma_f64 v[5:6], v[1:2], v[9:10], v[5:6]
	v_fma_f64 v[7:8], v[3:4], v[9:10], v[7:8]
	v_fma_f64 v[3:4], -v[3:4], v[11:12], v[5:6]
	v_fma_f64 v[5:6], v[1:2], v[11:12], v[7:8]
	global_store_dwordx4 v[13:14], v[3:6], off
.LBB114_39:
	s_endpgm
	.section	.rodata,"a",@progbits
	.p2align	6, 0x0
	.amdhsa_kernel _ZN9rocsparseL20bsrxmvn_17_32_kernelILj19E21rocsparse_complex_numIdEliS2_S2_S2_EEvT2_20rocsparse_direction_NS_24const_host_device_scalarIT0_EES3_PKS3_PKT1_SC_S9_PKT3_PKT4_S7_PT5_21rocsparse_index_base_b
		.amdhsa_group_segment_fixed_size 5776
		.amdhsa_private_segment_fixed_size 0
		.amdhsa_kernarg_size 112
		.amdhsa_user_sgpr_count 6
		.amdhsa_user_sgpr_private_segment_buffer 1
		.amdhsa_user_sgpr_dispatch_ptr 0
		.amdhsa_user_sgpr_queue_ptr 0
		.amdhsa_user_sgpr_kernarg_segment_ptr 1
		.amdhsa_user_sgpr_dispatch_id 0
		.amdhsa_user_sgpr_flat_scratch_init 0
		.amdhsa_user_sgpr_private_segment_size 0
		.amdhsa_uses_dynamic_stack 0
		.amdhsa_system_sgpr_private_segment_wavefront_offset 0
		.amdhsa_system_sgpr_workgroup_id_x 1
		.amdhsa_system_sgpr_workgroup_id_y 0
		.amdhsa_system_sgpr_workgroup_id_z 0
		.amdhsa_system_sgpr_workgroup_info 0
		.amdhsa_system_vgpr_workitem_id 0
		.amdhsa_next_free_vgpr 31
		.amdhsa_next_free_sgpr 61
		.amdhsa_reserve_vcc 1
		.amdhsa_reserve_flat_scratch 0
		.amdhsa_float_round_mode_32 0
		.amdhsa_float_round_mode_16_64 0
		.amdhsa_float_denorm_mode_32 3
		.amdhsa_float_denorm_mode_16_64 3
		.amdhsa_dx10_clamp 1
		.amdhsa_ieee_mode 1
		.amdhsa_fp16_overflow 0
		.amdhsa_exception_fp_ieee_invalid_op 0
		.amdhsa_exception_fp_denorm_src 0
		.amdhsa_exception_fp_ieee_div_zero 0
		.amdhsa_exception_fp_ieee_overflow 0
		.amdhsa_exception_fp_ieee_underflow 0
		.amdhsa_exception_fp_ieee_inexact 0
		.amdhsa_exception_int_div_zero 0
	.end_amdhsa_kernel
	.section	.text._ZN9rocsparseL20bsrxmvn_17_32_kernelILj19E21rocsparse_complex_numIdEliS2_S2_S2_EEvT2_20rocsparse_direction_NS_24const_host_device_scalarIT0_EES3_PKS3_PKT1_SC_S9_PKT3_PKT4_S7_PT5_21rocsparse_index_base_b,"axG",@progbits,_ZN9rocsparseL20bsrxmvn_17_32_kernelILj19E21rocsparse_complex_numIdEliS2_S2_S2_EEvT2_20rocsparse_direction_NS_24const_host_device_scalarIT0_EES3_PKS3_PKT1_SC_S9_PKT3_PKT4_S7_PT5_21rocsparse_index_base_b,comdat
.Lfunc_end114:
	.size	_ZN9rocsparseL20bsrxmvn_17_32_kernelILj19E21rocsparse_complex_numIdEliS2_S2_S2_EEvT2_20rocsparse_direction_NS_24const_host_device_scalarIT0_EES3_PKS3_PKT1_SC_S9_PKT3_PKT4_S7_PT5_21rocsparse_index_base_b, .Lfunc_end114-_ZN9rocsparseL20bsrxmvn_17_32_kernelILj19E21rocsparse_complex_numIdEliS2_S2_S2_EEvT2_20rocsparse_direction_NS_24const_host_device_scalarIT0_EES3_PKS3_PKT1_SC_S9_PKT3_PKT4_S7_PT5_21rocsparse_index_base_b
                                        ; -- End function
	.set _ZN9rocsparseL20bsrxmvn_17_32_kernelILj19E21rocsparse_complex_numIdEliS2_S2_S2_EEvT2_20rocsparse_direction_NS_24const_host_device_scalarIT0_EES3_PKS3_PKT1_SC_S9_PKT3_PKT4_S7_PT5_21rocsparse_index_base_b.num_vgpr, 31
	.set _ZN9rocsparseL20bsrxmvn_17_32_kernelILj19E21rocsparse_complex_numIdEliS2_S2_S2_EEvT2_20rocsparse_direction_NS_24const_host_device_scalarIT0_EES3_PKS3_PKT1_SC_S9_PKT3_PKT4_S7_PT5_21rocsparse_index_base_b.num_agpr, 0
	.set _ZN9rocsparseL20bsrxmvn_17_32_kernelILj19E21rocsparse_complex_numIdEliS2_S2_S2_EEvT2_20rocsparse_direction_NS_24const_host_device_scalarIT0_EES3_PKS3_PKT1_SC_S9_PKT3_PKT4_S7_PT5_21rocsparse_index_base_b.numbered_sgpr, 24
	.set _ZN9rocsparseL20bsrxmvn_17_32_kernelILj19E21rocsparse_complex_numIdEliS2_S2_S2_EEvT2_20rocsparse_direction_NS_24const_host_device_scalarIT0_EES3_PKS3_PKT1_SC_S9_PKT3_PKT4_S7_PT5_21rocsparse_index_base_b.num_named_barrier, 0
	.set _ZN9rocsparseL20bsrxmvn_17_32_kernelILj19E21rocsparse_complex_numIdEliS2_S2_S2_EEvT2_20rocsparse_direction_NS_24const_host_device_scalarIT0_EES3_PKS3_PKT1_SC_S9_PKT3_PKT4_S7_PT5_21rocsparse_index_base_b.private_seg_size, 0
	.set _ZN9rocsparseL20bsrxmvn_17_32_kernelILj19E21rocsparse_complex_numIdEliS2_S2_S2_EEvT2_20rocsparse_direction_NS_24const_host_device_scalarIT0_EES3_PKS3_PKT1_SC_S9_PKT3_PKT4_S7_PT5_21rocsparse_index_base_b.uses_vcc, 1
	.set _ZN9rocsparseL20bsrxmvn_17_32_kernelILj19E21rocsparse_complex_numIdEliS2_S2_S2_EEvT2_20rocsparse_direction_NS_24const_host_device_scalarIT0_EES3_PKS3_PKT1_SC_S9_PKT3_PKT4_S7_PT5_21rocsparse_index_base_b.uses_flat_scratch, 0
	.set _ZN9rocsparseL20bsrxmvn_17_32_kernelILj19E21rocsparse_complex_numIdEliS2_S2_S2_EEvT2_20rocsparse_direction_NS_24const_host_device_scalarIT0_EES3_PKS3_PKT1_SC_S9_PKT3_PKT4_S7_PT5_21rocsparse_index_base_b.has_dyn_sized_stack, 0
	.set _ZN9rocsparseL20bsrxmvn_17_32_kernelILj19E21rocsparse_complex_numIdEliS2_S2_S2_EEvT2_20rocsparse_direction_NS_24const_host_device_scalarIT0_EES3_PKS3_PKT1_SC_S9_PKT3_PKT4_S7_PT5_21rocsparse_index_base_b.has_recursion, 0
	.set _ZN9rocsparseL20bsrxmvn_17_32_kernelILj19E21rocsparse_complex_numIdEliS2_S2_S2_EEvT2_20rocsparse_direction_NS_24const_host_device_scalarIT0_EES3_PKS3_PKT1_SC_S9_PKT3_PKT4_S7_PT5_21rocsparse_index_base_b.has_indirect_call, 0
	.section	.AMDGPU.csdata,"",@progbits
; Kernel info:
; codeLenInByte = 1716
; TotalNumSgprs: 28
; NumVgprs: 31
; ScratchSize: 0
; MemoryBound: 0
; FloatMode: 240
; IeeeMode: 1
; LDSByteSize: 5776 bytes/workgroup (compile time only)
; SGPRBlocks: 8
; VGPRBlocks: 7
; NumSGPRsForWavesPerEU: 65
; NumVGPRsForWavesPerEU: 31
; Occupancy: 8
; WaveLimiterHint : 1
; COMPUTE_PGM_RSRC2:SCRATCH_EN: 0
; COMPUTE_PGM_RSRC2:USER_SGPR: 6
; COMPUTE_PGM_RSRC2:TRAP_HANDLER: 0
; COMPUTE_PGM_RSRC2:TGID_X_EN: 1
; COMPUTE_PGM_RSRC2:TGID_Y_EN: 0
; COMPUTE_PGM_RSRC2:TGID_Z_EN: 0
; COMPUTE_PGM_RSRC2:TIDIG_COMP_CNT: 0
	.section	.text._ZN9rocsparseL20bsrxmvn_17_32_kernelILj20E21rocsparse_complex_numIdEliS2_S2_S2_EEvT2_20rocsparse_direction_NS_24const_host_device_scalarIT0_EES3_PKS3_PKT1_SC_S9_PKT3_PKT4_S7_PT5_21rocsparse_index_base_b,"axG",@progbits,_ZN9rocsparseL20bsrxmvn_17_32_kernelILj20E21rocsparse_complex_numIdEliS2_S2_S2_EEvT2_20rocsparse_direction_NS_24const_host_device_scalarIT0_EES3_PKS3_PKT1_SC_S9_PKT3_PKT4_S7_PT5_21rocsparse_index_base_b,comdat
	.globl	_ZN9rocsparseL20bsrxmvn_17_32_kernelILj20E21rocsparse_complex_numIdEliS2_S2_S2_EEvT2_20rocsparse_direction_NS_24const_host_device_scalarIT0_EES3_PKS3_PKT1_SC_S9_PKT3_PKT4_S7_PT5_21rocsparse_index_base_b ; -- Begin function _ZN9rocsparseL20bsrxmvn_17_32_kernelILj20E21rocsparse_complex_numIdEliS2_S2_S2_EEvT2_20rocsparse_direction_NS_24const_host_device_scalarIT0_EES3_PKS3_PKT1_SC_S9_PKT3_PKT4_S7_PT5_21rocsparse_index_base_b
	.p2align	8
	.type	_ZN9rocsparseL20bsrxmvn_17_32_kernelILj20E21rocsparse_complex_numIdEliS2_S2_S2_EEvT2_20rocsparse_direction_NS_24const_host_device_scalarIT0_EES3_PKS3_PKT1_SC_S9_PKT3_PKT4_S7_PT5_21rocsparse_index_base_b,@function
_ZN9rocsparseL20bsrxmvn_17_32_kernelILj20E21rocsparse_complex_numIdEliS2_S2_S2_EEvT2_20rocsparse_direction_NS_24const_host_device_scalarIT0_EES3_PKS3_PKT1_SC_S9_PKT3_PKT4_S7_PT5_21rocsparse_index_base_b: ; @_ZN9rocsparseL20bsrxmvn_17_32_kernelILj20E21rocsparse_complex_numIdEliS2_S2_S2_EEvT2_20rocsparse_direction_NS_24const_host_device_scalarIT0_EES3_PKS3_PKT1_SC_S9_PKT3_PKT4_S7_PT5_21rocsparse_index_base_b
; %bb.0:
	s_load_dwordx2 s[0:1], s[4:5], 0x8
	s_load_dwordx2 s[10:11], s[4:5], 0x68
	s_add_u32 s7, s4, 8
	s_addc_u32 s8, s5, 0
	s_add_u32 s9, s4, 0x50
	s_addc_u32 s12, s5, 0
	s_waitcnt lgkmcnt(0)
	s_bitcmp1_b32 s11, 0
	s_cselect_b32 s1, s8, s1
	s_cselect_b32 s0, s7, s0
	v_mov_b32_e32 v1, s0
	v_mov_b32_e32 v2, s1
	flat_load_dwordx4 v[5:8], v[1:2]
	s_load_dwordx2 s[2:3], s[4:5], 0x50
	s_waitcnt lgkmcnt(0)
	s_cselect_b32 s0, s12, s3
	s_cselect_b32 s1, s9, s2
	v_mov_b32_e32 v1, s1
	v_mov_b32_e32 v2, s0
	flat_load_dwordx4 v[1:4], v[1:2]
	s_waitcnt vmcnt(0)
	v_cmp_eq_f64_e32 vcc, 0, v[5:6]
	v_cmp_eq_f64_e64 s[0:1], 0, v[7:8]
	s_and_b64 s[8:9], vcc, s[0:1]
	s_mov_b64 s[0:1], -1
	s_and_saveexec_b64 s[2:3], s[8:9]
	s_cbranch_execz .LBB115_2
; %bb.1:
	s_waitcnt lgkmcnt(0)
	v_cmp_neq_f64_e32 vcc, 1.0, v[1:2]
	v_cmp_neq_f64_e64 s[0:1], 0, v[3:4]
	s_or_b64 s[0:1], vcc, s[0:1]
	s_orn2_b64 s[0:1], s[0:1], exec
.LBB115_2:
	s_or_b64 exec, exec, s[2:3]
	s_and_saveexec_b64 s[2:3], s[0:1]
	s_cbranch_execz .LBB115_39
; %bb.3:
	s_load_dwordx4 s[0:3], s[4:5], 0x20
	s_load_dwordx2 s[14:15], s[4:5], 0x30
	s_waitcnt lgkmcnt(0)
	s_cmp_eq_u64 s[0:1], 0
	s_cbranch_scc1 .LBB115_5
; %bb.4:
	s_ashr_i32 s7, s6, 31
	s_lshl_b64 s[6:7], s[6:7], 2
	s_add_u32 s0, s0, s6
	s_addc_u32 s1, s1, s7
	s_load_dword s0, s[0:1], 0x0
	s_waitcnt lgkmcnt(0)
	s_sub_i32 s6, s0, s10
.LBB115_5:
	s_load_dword s7, s[4:5], 0x4
	s_load_dwordx2 s[8:9], s[4:5], 0x60
	v_mul_u32_u24_e32 v13, 0xccd, v0
	v_mov_b32_e32 v14, 20
	v_mul_lo_u16_sdwa v9, v13, v14 dst_sel:DWORD dst_unused:UNUSED_PAD src0_sel:WORD_1 src1_sel:DWORD
	s_waitcnt lgkmcnt(0)
	s_cmp_eq_u32 s7, 1
	s_cselect_b64 s[0:1], -1, 0
	s_cmp_lg_u32 s7, 1
	s_cselect_b64 s[12:13], -1, 0
	s_ashr_i32 s7, s6, 31
	s_lshl_b64 s[16:17], s[6:7], 3
	s_add_u32 s2, s2, s16
	s_addc_u32 s3, s3, s17
	s_add_u32 s7, s2, 8
	s_addc_u32 s11, s3, 0
	;; [unrolled: 2-line block ×3, first 2 shown]
	s_cmp_eq_u64 s[14:15], 0
	s_cselect_b32 s19, s11, s17
	s_cselect_b32 s18, s7, s16
	s_load_dwordx2 s[14:15], s[18:19], 0x0
	s_load_dwordx2 s[16:17], s[2:3], 0x0
	v_sub_u16_e32 v21, v0, v9
	v_mov_b32_e32 v11, 0
	v_mov_b32_e32 v12, 0
	s_waitcnt lgkmcnt(0)
	v_mov_b32_e32 v9, s14
	v_mov_b32_e32 v10, s15
	v_cmp_ge_i64_e32 vcc, s[16:17], v[9:10]
	v_mov_b32_e32 v9, 0
	v_lshlrev_b32_e32 v20, 4, v0
	v_mov_b32_e32 v10, 0
	s_cbranch_vccnz .LBB115_10
; %bb.6:
	v_mov_b32_e32 v9, 13
	s_load_dwordx2 s[2:3], s[4:5], 0x48
	s_load_dwordx4 s[20:23], s[4:5], 0x38
	s_sub_u32 s4, s14, s10
	v_mul_lo_u16_sdwa v9, v13, v9 dst_sel:DWORD dst_unused:UNUSED_PAD src0_sel:WORD_1 src1_sel:DWORD
	s_subb_u32 s5, s15, 0
	v_mul_lo_u16_sdwa v9, v9, v14 dst_sel:DWORD dst_unused:UNUSED_PAD src0_sel:BYTE_1 src1_sel:DWORD
	v_sub_u16_sdwa v9, v13, v9 dst_sel:DWORD dst_unused:UNUSED_PAD src0_sel:WORD_1 src1_sel:DWORD
	s_sub_u32 s14, s16, s10
	v_and_b32_e32 v9, 0xff, v9
	s_subb_u32 s15, s17, 0
	v_cndmask_b32_e64 v13, v21, v9, s[0:1]
	s_mul_i32 s0, s15, 0x1900
	s_mul_hi_u32 s1, s14, 0x1900
	s_add_i32 s1, s1, s0
	s_mul_i32 s0, s14, 0x1900
	s_waitcnt lgkmcnt(0)
	s_add_u32 s0, s22, s0
	s_addc_u32 s1, s23, s1
	v_mov_b32_e32 v9, s1
	v_add_co_u32_e32 v14, vcc, s0, v20
	s_movk_i32 s0, 0xa4
	v_addc_co_u32_e32 v15, vcc, 0, v9, vcc
	v_mul_u32_u24_sdwa v9, v0, s0 dst_sel:DWORD dst_unused:UNUSED_PAD src0_sel:WORD_0 src1_sel:DWORD
	v_lshrrev_b32_e32 v22, 16, v9
	v_mov_b32_e32 v9, s17
	v_add_co_u32_e32 v10, vcc, s16, v22
	v_addc_co_u32_e32 v11, vcc, 0, v9, vcc
	v_subrev_co_u32_e32 v9, vcc, s10, v10
	v_subbrev_co_u32_e32 v10, vcc, 0, v11, vcc
	v_lshlrev_b64 v[9:10], 2, v[9:10]
	v_mov_b32_e32 v11, s21
	v_add_co_u32_e32 v16, vcc, s20, v9
	v_addc_co_u32_e32 v17, vcc, v11, v10, vcc
	v_mov_b32_e32 v11, 0
	v_mov_b32_e32 v12, 0
	;; [unrolled: 1-line block ×6, first 2 shown]
	s_branch .LBB115_8
.LBB115_7:                              ;   in Loop: Header=BB115_8 Depth=1
	s_or_b64 exec, exec, s[0:1]
	s_add_u32 s14, s14, 1
	s_addc_u32 s15, s15, 0
	v_cmp_lt_i64_e32 vcc, s[14:15], v[18:19]
	v_add_co_u32_e64 v16, s[0:1], 4, v16
	v_addc_co_u32_e64 v17, s[0:1], 0, v17, s[0:1]
	s_cbranch_vccz .LBB115_10
.LBB115_8:                              ; =>This Inner Loop Header: Depth=1
	v_mov_b32_e32 v24, s15
	v_add_co_u32_e32 v23, vcc, s14, v22
	v_addc_co_u32_e32 v24, vcc, 0, v24, vcc
	v_cmp_gt_i64_e32 vcc, s[4:5], v[23:24]
	s_and_saveexec_b64 s[0:1], vcc
	s_cbranch_execz .LBB115_7
; %bb.9:                                ;   in Loop: Header=BB115_8 Depth=1
	global_load_dword v23, v[16:17], off
	v_mov_b32_e32 v29, s3
	s_waitcnt vmcnt(0)
	v_subrev_u32_e32 v23, s10, v23
	v_mad_u64_u32 v[27:28], s[16:17], v23, 20, v[13:14]
	global_load_dwordx4 v[23:26], v[14:15], off
	v_ashrrev_i32_e32 v28, 31, v27
	v_lshlrev_b64 v[27:28], 4, v[27:28]
	v_add_co_u32_e32 v27, vcc, s2, v27
	v_addc_co_u32_e32 v28, vcc, v29, v28, vcc
	global_load_dwordx4 v[27:30], v[27:28], off
	v_add_co_u32_e32 v14, vcc, 0x1900, v14
	v_addc_co_u32_e32 v15, vcc, 0, v15, vcc
	s_waitcnt vmcnt(0)
	v_fma_f64 v[9:10], v[23:24], v[27:28], v[9:10]
	v_fma_f64 v[11:12], v[25:26], v[27:28], v[11:12]
	v_fma_f64 v[9:10], -v[25:26], v[29:30], v[9:10]
	v_fma_f64 v[11:12], v[23:24], v[29:30], v[11:12]
	s_branch .LBB115_7
.LBB115_10:
	s_and_b64 vcc, exec, s[12:13]
	ds_write_b128 v20, v[9:12]
	s_waitcnt lgkmcnt(0)
	s_barrier
	s_cbranch_vccz .LBB115_22
; %bb.11:
	v_cmp_gt_u16_e32 vcc, 4, v21
	s_and_saveexec_b64 s[0:1], vcc
	s_cbranch_execz .LBB115_13
; %bb.12:
	ds_read_b128 v[13:16], v20 offset:256
	ds_read_b128 v[22:25], v20
	s_waitcnt lgkmcnt(0)
	v_add_f64 v[13:14], v[13:14], v[22:23]
	v_add_f64 v[15:16], v[15:16], v[24:25]
	ds_write_b128 v20, v[13:16]
.LBB115_13:
	s_or_b64 exec, exec, s[0:1]
	v_cmp_gt_u16_e64 s[0:1], 8, v21
	s_waitcnt lgkmcnt(0)
	s_barrier
	s_and_saveexec_b64 s[2:3], s[0:1]
	s_cbranch_execz .LBB115_15
; %bb.14:
	ds_read_b128 v[13:16], v20 offset:128
	ds_read_b128 v[22:25], v20
	s_waitcnt lgkmcnt(0)
	v_add_f64 v[13:14], v[13:14], v[22:23]
	v_add_f64 v[15:16], v[15:16], v[24:25]
	ds_write_b128 v20, v[13:16]
.LBB115_15:
	s_or_b64 exec, exec, s[2:3]
	s_waitcnt lgkmcnt(0)
	s_barrier
	s_and_saveexec_b64 s[0:1], vcc
	s_cbranch_execz .LBB115_17
; %bb.16:
	ds_read_b128 v[13:16], v20 offset:64
	ds_read_b128 v[22:25], v20
	s_waitcnt lgkmcnt(0)
	v_add_f64 v[13:14], v[13:14], v[22:23]
	v_add_f64 v[15:16], v[15:16], v[24:25]
	ds_write_b128 v20, v[13:16]
.LBB115_17:
	s_or_b64 exec, exec, s[0:1]
	v_cmp_gt_u16_e32 vcc, 2, v21
	s_waitcnt lgkmcnt(0)
	s_barrier
	s_and_saveexec_b64 s[0:1], vcc
	s_cbranch_execz .LBB115_19
; %bb.18:
	ds_read_b128 v[13:16], v20
	ds_read_b128 v[21:24], v20 offset:32
	s_waitcnt lgkmcnt(0)
	v_add_f64 v[13:14], v[21:22], v[13:14]
	v_add_f64 v[15:16], v[23:24], v[15:16]
	ds_write_b128 v20, v[13:16]
.LBB115_19:
	s_or_b64 exec, exec, s[0:1]
	v_mov_b32_e32 v16, v12
	v_mov_b32_e32 v14, v10
	v_cmp_gt_u32_e32 vcc, 20, v0
	v_mov_b32_e32 v15, v11
	v_mov_b32_e32 v13, v9
	s_waitcnt lgkmcnt(0)
	s_barrier
	s_and_saveexec_b64 s[0:1], vcc
	s_cbranch_execz .LBB115_21
; %bb.20:
	s_movk_i32 s2, 0x130
	v_mad_u32_u24 v17, v0, s2, v20
	ds_read_b128 v[13:16], v17
	ds_read_b128 v[21:24], v17 offset:16
	s_waitcnt lgkmcnt(0)
	v_add_f64 v[13:14], v[21:22], v[13:14]
	v_add_f64 v[15:16], v[23:24], v[15:16]
.LBB115_21:
	s_or_b64 exec, exec, s[0:1]
	s_branch .LBB115_34
.LBB115_22:
                                        ; implicit-def: $vgpr15_vgpr16
                                        ; implicit-def: $vgpr13_vgpr14
	s_cbranch_execz .LBB115_34
; %bb.23:
	s_movk_i32 s0, 0x50
	v_cmp_gt_u32_e32 vcc, s0, v0
	s_and_saveexec_b64 s[0:1], vcc
	s_cbranch_execz .LBB115_25
; %bb.24:
	ds_read_b128 v[13:16], v20 offset:5120
	ds_read_b128 v[21:24], v20
	s_waitcnt lgkmcnt(0)
	v_add_f64 v[13:14], v[13:14], v[21:22]
	v_add_f64 v[15:16], v[15:16], v[23:24]
	ds_write_b128 v20, v[13:16]
.LBB115_25:
	s_or_b64 exec, exec, s[0:1]
	s_movk_i32 s0, 0xa0
	v_cmp_gt_u32_e64 s[0:1], s0, v0
	s_waitcnt lgkmcnt(0)
	s_barrier
	s_and_saveexec_b64 s[2:3], s[0:1]
	s_cbranch_execz .LBB115_27
; %bb.26:
	ds_read_b128 v[13:16], v20 offset:2560
	ds_read_b128 v[21:24], v20
	s_waitcnt lgkmcnt(0)
	v_add_f64 v[13:14], v[13:14], v[21:22]
	v_add_f64 v[15:16], v[15:16], v[23:24]
	ds_write_b128 v20, v[13:16]
.LBB115_27:
	s_or_b64 exec, exec, s[2:3]
	s_waitcnt lgkmcnt(0)
	s_barrier
	s_and_saveexec_b64 s[0:1], vcc
	s_cbranch_execz .LBB115_29
; %bb.28:
	ds_read_b128 v[13:16], v20 offset:1280
	ds_read_b128 v[21:24], v20
	s_waitcnt lgkmcnt(0)
	v_add_f64 v[13:14], v[13:14], v[21:22]
	v_add_f64 v[15:16], v[15:16], v[23:24]
	ds_write_b128 v20, v[13:16]
.LBB115_29:
	s_or_b64 exec, exec, s[0:1]
	v_cmp_gt_u32_e32 vcc, 40, v0
	s_waitcnt lgkmcnt(0)
	s_barrier
	s_and_saveexec_b64 s[0:1], vcc
	s_cbranch_execz .LBB115_31
; %bb.30:
	ds_read_b128 v[13:16], v20 offset:640
	ds_read_b128 v[21:24], v20
	s_waitcnt lgkmcnt(0)
	v_add_f64 v[13:14], v[13:14], v[21:22]
	v_add_f64 v[15:16], v[15:16], v[23:24]
	ds_write_b128 v20, v[13:16]
.LBB115_31:
	s_or_b64 exec, exec, s[0:1]
	v_cmp_gt_u32_e32 vcc, 20, v0
	s_waitcnt lgkmcnt(0)
	s_and_saveexec_b64 s[0:1], vcc
	s_cbranch_execz .LBB115_33
; %bb.32:
	ds_read_b128 v[9:12], v20 offset:320
	ds_read_b128 v[13:16], v20
	s_waitcnt lgkmcnt(0)
	v_add_f64 v[9:10], v[9:10], v[13:14]
	v_add_f64 v[11:12], v[11:12], v[15:16]
.LBB115_33:
	s_or_b64 exec, exec, s[0:1]
	v_mov_b32_e32 v16, v12
	v_mov_b32_e32 v14, v10
	;; [unrolled: 1-line block ×4, first 2 shown]
.LBB115_34:
	v_cmp_gt_u32_e32 vcc, 20, v0
	s_and_b64 exec, exec, vcc
	s_cbranch_execz .LBB115_39
; %bb.35:
	v_mul_f64 v[9:10], v[15:16], -v[7:8]
	v_mul_f64 v[11:12], v[5:6], v[15:16]
	v_cmp_eq_f64_e32 vcc, 0, v[1:2]
	v_cmp_eq_f64_e64 s[0:1], 0, v[3:4]
	v_fma_f64 v[5:6], v[5:6], v[13:14], v[9:10]
	v_fma_f64 v[7:8], v[7:8], v[13:14], v[11:12]
	s_and_b64 s[0:1], vcc, s[0:1]
	s_and_saveexec_b64 s[2:3], s[0:1]
	s_xor_b64 s[0:1], exec, s[2:3]
	s_cbranch_execz .LBB115_37
; %bb.36:
	v_mad_u64_u32 v[0:1], s[2:3], s6, 20, v[0:1]
	v_mov_b32_e32 v1, 0
	v_mov_b32_e32 v2, s9
	v_lshlrev_b64 v[0:1], 4, v[0:1]
	v_add_co_u32_e32 v0, vcc, s8, v0
	v_addc_co_u32_e32 v1, vcc, v2, v1, vcc
	global_store_dwordx4 v[0:1], v[5:8], off
                                        ; implicit-def: $vgpr0
                                        ; implicit-def: $vgpr1_vgpr2
                                        ; implicit-def: $vgpr5_vgpr6
.LBB115_37:
	s_andn2_saveexec_b64 s[0:1], s[0:1]
	s_cbranch_execz .LBB115_39
; %bb.38:
	v_mad_u64_u32 v[9:10], s[0:1], s6, 20, v[0:1]
	v_mov_b32_e32 v10, 0
	v_mov_b32_e32 v0, s9
	v_lshlrev_b64 v[9:10], 4, v[9:10]
	v_add_co_u32_e32 v13, vcc, s8, v9
	v_addc_co_u32_e32 v14, vcc, v0, v10, vcc
	global_load_dwordx4 v[9:12], v[13:14], off
	s_waitcnt vmcnt(0)
	v_fma_f64 v[5:6], v[1:2], v[9:10], v[5:6]
	v_fma_f64 v[7:8], v[3:4], v[9:10], v[7:8]
	v_fma_f64 v[3:4], -v[3:4], v[11:12], v[5:6]
	v_fma_f64 v[5:6], v[1:2], v[11:12], v[7:8]
	global_store_dwordx4 v[13:14], v[3:6], off
.LBB115_39:
	s_endpgm
	.section	.rodata,"a",@progbits
	.p2align	6, 0x0
	.amdhsa_kernel _ZN9rocsparseL20bsrxmvn_17_32_kernelILj20E21rocsparse_complex_numIdEliS2_S2_S2_EEvT2_20rocsparse_direction_NS_24const_host_device_scalarIT0_EES3_PKS3_PKT1_SC_S9_PKT3_PKT4_S7_PT5_21rocsparse_index_base_b
		.amdhsa_group_segment_fixed_size 6400
		.amdhsa_private_segment_fixed_size 0
		.amdhsa_kernarg_size 112
		.amdhsa_user_sgpr_count 6
		.amdhsa_user_sgpr_private_segment_buffer 1
		.amdhsa_user_sgpr_dispatch_ptr 0
		.amdhsa_user_sgpr_queue_ptr 0
		.amdhsa_user_sgpr_kernarg_segment_ptr 1
		.amdhsa_user_sgpr_dispatch_id 0
		.amdhsa_user_sgpr_flat_scratch_init 0
		.amdhsa_user_sgpr_private_segment_size 0
		.amdhsa_uses_dynamic_stack 0
		.amdhsa_system_sgpr_private_segment_wavefront_offset 0
		.amdhsa_system_sgpr_workgroup_id_x 1
		.amdhsa_system_sgpr_workgroup_id_y 0
		.amdhsa_system_sgpr_workgroup_id_z 0
		.amdhsa_system_sgpr_workgroup_info 0
		.amdhsa_system_vgpr_workitem_id 0
		.amdhsa_next_free_vgpr 31
		.amdhsa_next_free_sgpr 61
		.amdhsa_reserve_vcc 1
		.amdhsa_reserve_flat_scratch 0
		.amdhsa_float_round_mode_32 0
		.amdhsa_float_round_mode_16_64 0
		.amdhsa_float_denorm_mode_32 3
		.amdhsa_float_denorm_mode_16_64 3
		.amdhsa_dx10_clamp 1
		.amdhsa_ieee_mode 1
		.amdhsa_fp16_overflow 0
		.amdhsa_exception_fp_ieee_invalid_op 0
		.amdhsa_exception_fp_denorm_src 0
		.amdhsa_exception_fp_ieee_div_zero 0
		.amdhsa_exception_fp_ieee_overflow 0
		.amdhsa_exception_fp_ieee_underflow 0
		.amdhsa_exception_fp_ieee_inexact 0
		.amdhsa_exception_int_div_zero 0
	.end_amdhsa_kernel
	.section	.text._ZN9rocsparseL20bsrxmvn_17_32_kernelILj20E21rocsparse_complex_numIdEliS2_S2_S2_EEvT2_20rocsparse_direction_NS_24const_host_device_scalarIT0_EES3_PKS3_PKT1_SC_S9_PKT3_PKT4_S7_PT5_21rocsparse_index_base_b,"axG",@progbits,_ZN9rocsparseL20bsrxmvn_17_32_kernelILj20E21rocsparse_complex_numIdEliS2_S2_S2_EEvT2_20rocsparse_direction_NS_24const_host_device_scalarIT0_EES3_PKS3_PKT1_SC_S9_PKT3_PKT4_S7_PT5_21rocsparse_index_base_b,comdat
.Lfunc_end115:
	.size	_ZN9rocsparseL20bsrxmvn_17_32_kernelILj20E21rocsparse_complex_numIdEliS2_S2_S2_EEvT2_20rocsparse_direction_NS_24const_host_device_scalarIT0_EES3_PKS3_PKT1_SC_S9_PKT3_PKT4_S7_PT5_21rocsparse_index_base_b, .Lfunc_end115-_ZN9rocsparseL20bsrxmvn_17_32_kernelILj20E21rocsparse_complex_numIdEliS2_S2_S2_EEvT2_20rocsparse_direction_NS_24const_host_device_scalarIT0_EES3_PKS3_PKT1_SC_S9_PKT3_PKT4_S7_PT5_21rocsparse_index_base_b
                                        ; -- End function
	.set _ZN9rocsparseL20bsrxmvn_17_32_kernelILj20E21rocsparse_complex_numIdEliS2_S2_S2_EEvT2_20rocsparse_direction_NS_24const_host_device_scalarIT0_EES3_PKS3_PKT1_SC_S9_PKT3_PKT4_S7_PT5_21rocsparse_index_base_b.num_vgpr, 31
	.set _ZN9rocsparseL20bsrxmvn_17_32_kernelILj20E21rocsparse_complex_numIdEliS2_S2_S2_EEvT2_20rocsparse_direction_NS_24const_host_device_scalarIT0_EES3_PKS3_PKT1_SC_S9_PKT3_PKT4_S7_PT5_21rocsparse_index_base_b.num_agpr, 0
	.set _ZN9rocsparseL20bsrxmvn_17_32_kernelILj20E21rocsparse_complex_numIdEliS2_S2_S2_EEvT2_20rocsparse_direction_NS_24const_host_device_scalarIT0_EES3_PKS3_PKT1_SC_S9_PKT3_PKT4_S7_PT5_21rocsparse_index_base_b.numbered_sgpr, 24
	.set _ZN9rocsparseL20bsrxmvn_17_32_kernelILj20E21rocsparse_complex_numIdEliS2_S2_S2_EEvT2_20rocsparse_direction_NS_24const_host_device_scalarIT0_EES3_PKS3_PKT1_SC_S9_PKT3_PKT4_S7_PT5_21rocsparse_index_base_b.num_named_barrier, 0
	.set _ZN9rocsparseL20bsrxmvn_17_32_kernelILj20E21rocsparse_complex_numIdEliS2_S2_S2_EEvT2_20rocsparse_direction_NS_24const_host_device_scalarIT0_EES3_PKS3_PKT1_SC_S9_PKT3_PKT4_S7_PT5_21rocsparse_index_base_b.private_seg_size, 0
	.set _ZN9rocsparseL20bsrxmvn_17_32_kernelILj20E21rocsparse_complex_numIdEliS2_S2_S2_EEvT2_20rocsparse_direction_NS_24const_host_device_scalarIT0_EES3_PKS3_PKT1_SC_S9_PKT3_PKT4_S7_PT5_21rocsparse_index_base_b.uses_vcc, 1
	.set _ZN9rocsparseL20bsrxmvn_17_32_kernelILj20E21rocsparse_complex_numIdEliS2_S2_S2_EEvT2_20rocsparse_direction_NS_24const_host_device_scalarIT0_EES3_PKS3_PKT1_SC_S9_PKT3_PKT4_S7_PT5_21rocsparse_index_base_b.uses_flat_scratch, 0
	.set _ZN9rocsparseL20bsrxmvn_17_32_kernelILj20E21rocsparse_complex_numIdEliS2_S2_S2_EEvT2_20rocsparse_direction_NS_24const_host_device_scalarIT0_EES3_PKS3_PKT1_SC_S9_PKT3_PKT4_S7_PT5_21rocsparse_index_base_b.has_dyn_sized_stack, 0
	.set _ZN9rocsparseL20bsrxmvn_17_32_kernelILj20E21rocsparse_complex_numIdEliS2_S2_S2_EEvT2_20rocsparse_direction_NS_24const_host_device_scalarIT0_EES3_PKS3_PKT1_SC_S9_PKT3_PKT4_S7_PT5_21rocsparse_index_base_b.has_recursion, 0
	.set _ZN9rocsparseL20bsrxmvn_17_32_kernelILj20E21rocsparse_complex_numIdEliS2_S2_S2_EEvT2_20rocsparse_direction_NS_24const_host_device_scalarIT0_EES3_PKS3_PKT1_SC_S9_PKT3_PKT4_S7_PT5_21rocsparse_index_base_b.has_indirect_call, 0
	.section	.AMDGPU.csdata,"",@progbits
; Kernel info:
; codeLenInByte = 1716
; TotalNumSgprs: 28
; NumVgprs: 31
; ScratchSize: 0
; MemoryBound: 0
; FloatMode: 240
; IeeeMode: 1
; LDSByteSize: 6400 bytes/workgroup (compile time only)
; SGPRBlocks: 8
; VGPRBlocks: 7
; NumSGPRsForWavesPerEU: 65
; NumVGPRsForWavesPerEU: 31
; Occupancy: 8
; WaveLimiterHint : 1
; COMPUTE_PGM_RSRC2:SCRATCH_EN: 0
; COMPUTE_PGM_RSRC2:USER_SGPR: 6
; COMPUTE_PGM_RSRC2:TRAP_HANDLER: 0
; COMPUTE_PGM_RSRC2:TGID_X_EN: 1
; COMPUTE_PGM_RSRC2:TGID_Y_EN: 0
; COMPUTE_PGM_RSRC2:TGID_Z_EN: 0
; COMPUTE_PGM_RSRC2:TIDIG_COMP_CNT: 0
	.section	.text._ZN9rocsparseL20bsrxmvn_17_32_kernelILj21E21rocsparse_complex_numIdEliS2_S2_S2_EEvT2_20rocsparse_direction_NS_24const_host_device_scalarIT0_EES3_PKS3_PKT1_SC_S9_PKT3_PKT4_S7_PT5_21rocsparse_index_base_b,"axG",@progbits,_ZN9rocsparseL20bsrxmvn_17_32_kernelILj21E21rocsparse_complex_numIdEliS2_S2_S2_EEvT2_20rocsparse_direction_NS_24const_host_device_scalarIT0_EES3_PKS3_PKT1_SC_S9_PKT3_PKT4_S7_PT5_21rocsparse_index_base_b,comdat
	.globl	_ZN9rocsparseL20bsrxmvn_17_32_kernelILj21E21rocsparse_complex_numIdEliS2_S2_S2_EEvT2_20rocsparse_direction_NS_24const_host_device_scalarIT0_EES3_PKS3_PKT1_SC_S9_PKT3_PKT4_S7_PT5_21rocsparse_index_base_b ; -- Begin function _ZN9rocsparseL20bsrxmvn_17_32_kernelILj21E21rocsparse_complex_numIdEliS2_S2_S2_EEvT2_20rocsparse_direction_NS_24const_host_device_scalarIT0_EES3_PKS3_PKT1_SC_S9_PKT3_PKT4_S7_PT5_21rocsparse_index_base_b
	.p2align	8
	.type	_ZN9rocsparseL20bsrxmvn_17_32_kernelILj21E21rocsparse_complex_numIdEliS2_S2_S2_EEvT2_20rocsparse_direction_NS_24const_host_device_scalarIT0_EES3_PKS3_PKT1_SC_S9_PKT3_PKT4_S7_PT5_21rocsparse_index_base_b,@function
_ZN9rocsparseL20bsrxmvn_17_32_kernelILj21E21rocsparse_complex_numIdEliS2_S2_S2_EEvT2_20rocsparse_direction_NS_24const_host_device_scalarIT0_EES3_PKS3_PKT1_SC_S9_PKT3_PKT4_S7_PT5_21rocsparse_index_base_b: ; @_ZN9rocsparseL20bsrxmvn_17_32_kernelILj21E21rocsparse_complex_numIdEliS2_S2_S2_EEvT2_20rocsparse_direction_NS_24const_host_device_scalarIT0_EES3_PKS3_PKT1_SC_S9_PKT3_PKT4_S7_PT5_21rocsparse_index_base_b
; %bb.0:
	s_load_dwordx2 s[0:1], s[4:5], 0x8
	s_load_dwordx2 s[10:11], s[4:5], 0x68
	s_add_u32 s7, s4, 8
	s_addc_u32 s8, s5, 0
	s_add_u32 s9, s4, 0x50
	s_addc_u32 s12, s5, 0
	s_waitcnt lgkmcnt(0)
	s_bitcmp1_b32 s11, 0
	s_cselect_b32 s1, s8, s1
	s_cselect_b32 s0, s7, s0
	v_mov_b32_e32 v1, s0
	v_mov_b32_e32 v2, s1
	flat_load_dwordx4 v[5:8], v[1:2]
	s_load_dwordx2 s[2:3], s[4:5], 0x50
	s_waitcnt lgkmcnt(0)
	s_cselect_b32 s0, s12, s3
	s_cselect_b32 s1, s9, s2
	v_mov_b32_e32 v1, s1
	v_mov_b32_e32 v2, s0
	flat_load_dwordx4 v[1:4], v[1:2]
	s_waitcnt vmcnt(0)
	v_cmp_eq_f64_e32 vcc, 0, v[5:6]
	v_cmp_eq_f64_e64 s[0:1], 0, v[7:8]
	s_and_b64 s[8:9], vcc, s[0:1]
	s_mov_b64 s[0:1], -1
	s_and_saveexec_b64 s[2:3], s[8:9]
	s_cbranch_execz .LBB116_2
; %bb.1:
	s_waitcnt lgkmcnt(0)
	v_cmp_neq_f64_e32 vcc, 1.0, v[1:2]
	v_cmp_neq_f64_e64 s[0:1], 0, v[3:4]
	s_or_b64 s[0:1], vcc, s[0:1]
	s_orn2_b64 s[0:1], s[0:1], exec
.LBB116_2:
	s_or_b64 exec, exec, s[2:3]
	s_and_saveexec_b64 s[2:3], s[0:1]
	s_cbranch_execz .LBB116_39
; %bb.3:
	s_load_dwordx4 s[0:3], s[4:5], 0x20
	s_load_dwordx2 s[14:15], s[4:5], 0x30
	s_waitcnt lgkmcnt(0)
	s_cmp_eq_u64 s[0:1], 0
	s_cbranch_scc1 .LBB116_5
; %bb.4:
	s_ashr_i32 s7, s6, 31
	s_lshl_b64 s[6:7], s[6:7], 2
	s_add_u32 s0, s0, s6
	s_addc_u32 s1, s1, s7
	s_load_dword s0, s[0:1], 0x0
	s_waitcnt lgkmcnt(0)
	s_sub_i32 s6, s0, s10
.LBB116_5:
	s_load_dword s7, s[4:5], 0x4
	s_load_dwordx2 s[8:9], s[4:5], 0x60
	v_mul_u32_u24_e32 v13, 0xc31, v0
	v_mov_b32_e32 v9, 21
	v_mul_lo_u16_sdwa v9, v13, v9 dst_sel:DWORD dst_unused:UNUSED_PAD src0_sel:WORD_1 src1_sel:DWORD
	s_waitcnt lgkmcnt(0)
	s_cmp_eq_u32 s7, 1
	s_cselect_b64 s[0:1], -1, 0
	s_cmp_lg_u32 s7, 1
	s_cselect_b64 s[12:13], -1, 0
	s_ashr_i32 s7, s6, 31
	s_lshl_b64 s[16:17], s[6:7], 3
	s_add_u32 s2, s2, s16
	s_addc_u32 s3, s3, s17
	s_add_u32 s7, s2, 8
	s_addc_u32 s11, s3, 0
	;; [unrolled: 2-line block ×3, first 2 shown]
	s_cmp_eq_u64 s[14:15], 0
	s_cselect_b32 s19, s11, s17
	s_cselect_b32 s18, s7, s16
	s_load_dwordx2 s[14:15], s[18:19], 0x0
	s_load_dwordx2 s[16:17], s[2:3], 0x0
	v_sub_u16_e32 v21, v0, v9
	v_mov_b32_e32 v11, 0
	v_mov_b32_e32 v12, 0
	s_waitcnt lgkmcnt(0)
	v_mov_b32_e32 v9, s14
	v_mov_b32_e32 v10, s15
	v_cmp_ge_i64_e32 vcc, s[16:17], v[9:10]
	v_mov_b32_e32 v9, 0
	v_lshlrev_b32_e32 v20, 4, v0
	v_mov_b32_e32 v10, 0
	s_cbranch_vccnz .LBB116_10
; %bb.6:
	v_mov_b32_e32 v9, 25
	v_mul_lo_u16_sdwa v9, v13, v9 dst_sel:DWORD dst_unused:UNUSED_PAD src0_sel:WORD_1 src1_sel:DWORD
	s_load_dwordx2 s[2:3], s[4:5], 0x48
	s_load_dwordx4 s[20:23], s[4:5], 0x38
	s_sub_u32 s4, s14, s10
	v_lshrrev_b16_e32 v9, 9, v9
	s_subb_u32 s5, s15, 0
	v_mul_lo_u16_e32 v9, 21, v9
	v_sub_u16_sdwa v9, v13, v9 dst_sel:DWORD dst_unused:UNUSED_PAD src0_sel:WORD_1 src1_sel:DWORD
	s_sub_u32 s14, s16, s10
	v_and_b32_e32 v9, 0xff, v9
	s_subb_u32 s15, s17, 0
	v_cndmask_b32_e64 v13, v21, v9, s[0:1]
	s_mul_i32 s0, s15, 0x1b90
	s_mul_hi_u32 s1, s14, 0x1b90
	s_add_i32 s1, s1, s0
	s_mul_i32 s0, s14, 0x1b90
	s_waitcnt lgkmcnt(0)
	s_add_u32 s0, s22, s0
	s_addc_u32 s1, s23, s1
	v_mov_b32_e32 v9, s1
	v_add_co_u32_e32 v14, vcc, s0, v20
	s_movk_i32 s0, 0x253
	v_addc_co_u32_e32 v15, vcc, 0, v9, vcc
	v_mul_u32_u24_sdwa v9, v0, s0 dst_sel:DWORD dst_unused:UNUSED_PAD src0_sel:WORD_0 src1_sel:DWORD
	v_lshrrev_b32_e32 v22, 18, v9
	v_mov_b32_e32 v9, s17
	v_add_co_u32_e32 v10, vcc, s16, v22
	v_addc_co_u32_e32 v11, vcc, 0, v9, vcc
	v_subrev_co_u32_e32 v9, vcc, s10, v10
	v_subbrev_co_u32_e32 v10, vcc, 0, v11, vcc
	v_lshlrev_b64 v[9:10], 2, v[9:10]
	v_mov_b32_e32 v11, s21
	v_add_co_u32_e32 v16, vcc, s20, v9
	v_addc_co_u32_e32 v17, vcc, v11, v10, vcc
	v_mov_b32_e32 v11, 0
	v_mov_b32_e32 v12, 0
	;; [unrolled: 1-line block ×6, first 2 shown]
	s_branch .LBB116_8
.LBB116_7:                              ;   in Loop: Header=BB116_8 Depth=1
	s_or_b64 exec, exec, s[0:1]
	s_add_u32 s14, s14, 1
	s_addc_u32 s15, s15, 0
	v_cmp_lt_i64_e32 vcc, s[14:15], v[18:19]
	v_add_co_u32_e64 v16, s[0:1], 4, v16
	v_addc_co_u32_e64 v17, s[0:1], 0, v17, s[0:1]
	s_cbranch_vccz .LBB116_10
.LBB116_8:                              ; =>This Inner Loop Header: Depth=1
	v_mov_b32_e32 v24, s15
	v_add_co_u32_e32 v23, vcc, s14, v22
	v_addc_co_u32_e32 v24, vcc, 0, v24, vcc
	v_cmp_gt_i64_e32 vcc, s[4:5], v[23:24]
	s_and_saveexec_b64 s[0:1], vcc
	s_cbranch_execz .LBB116_7
; %bb.9:                                ;   in Loop: Header=BB116_8 Depth=1
	global_load_dword v23, v[16:17], off
	v_mov_b32_e32 v29, s3
	s_waitcnt vmcnt(0)
	v_subrev_u32_e32 v23, s10, v23
	v_mad_u64_u32 v[27:28], s[16:17], v23, 21, v[13:14]
	global_load_dwordx4 v[23:26], v[14:15], off
	v_ashrrev_i32_e32 v28, 31, v27
	v_lshlrev_b64 v[27:28], 4, v[27:28]
	v_add_co_u32_e32 v27, vcc, s2, v27
	v_addc_co_u32_e32 v28, vcc, v29, v28, vcc
	global_load_dwordx4 v[27:30], v[27:28], off
	v_add_co_u32_e32 v14, vcc, 0x1b90, v14
	v_addc_co_u32_e32 v15, vcc, 0, v15, vcc
	s_waitcnt vmcnt(0)
	v_fma_f64 v[9:10], v[23:24], v[27:28], v[9:10]
	v_fma_f64 v[11:12], v[25:26], v[27:28], v[11:12]
	v_fma_f64 v[9:10], -v[25:26], v[29:30], v[9:10]
	v_fma_f64 v[11:12], v[23:24], v[29:30], v[11:12]
	s_branch .LBB116_7
.LBB116_10:
	s_and_b64 vcc, exec, s[12:13]
	ds_write_b128 v20, v[9:12]
	s_waitcnt lgkmcnt(0)
	s_barrier
	s_cbranch_vccz .LBB116_22
; %bb.11:
	v_cmp_gt_u16_e32 vcc, 5, v21
	s_and_saveexec_b64 s[0:1], vcc
	s_cbranch_execz .LBB116_13
; %bb.12:
	ds_read_b128 v[13:16], v20 offset:256
	ds_read_b128 v[22:25], v20
	s_waitcnt lgkmcnt(0)
	v_add_f64 v[13:14], v[13:14], v[22:23]
	v_add_f64 v[15:16], v[15:16], v[24:25]
	ds_write_b128 v20, v[13:16]
.LBB116_13:
	s_or_b64 exec, exec, s[0:1]
	v_cmp_gt_u16_e32 vcc, 8, v21
	s_waitcnt lgkmcnt(0)
	s_barrier
	s_and_saveexec_b64 s[0:1], vcc
	s_cbranch_execz .LBB116_15
; %bb.14:
	ds_read_b128 v[13:16], v20 offset:128
	ds_read_b128 v[22:25], v20
	s_waitcnt lgkmcnt(0)
	v_add_f64 v[13:14], v[13:14], v[22:23]
	v_add_f64 v[15:16], v[15:16], v[24:25]
	ds_write_b128 v20, v[13:16]
.LBB116_15:
	s_or_b64 exec, exec, s[0:1]
	v_cmp_gt_u16_e32 vcc, 4, v21
	s_waitcnt lgkmcnt(0)
	s_barrier
	;; [unrolled: 14-line block ×3, first 2 shown]
	s_and_saveexec_b64 s[0:1], vcc
	s_cbranch_execz .LBB116_19
; %bb.18:
	ds_read_b128 v[13:16], v20
	ds_read_b128 v[21:24], v20 offset:32
	s_waitcnt lgkmcnt(0)
	v_add_f64 v[13:14], v[21:22], v[13:14]
	v_add_f64 v[15:16], v[23:24], v[15:16]
	ds_write_b128 v20, v[13:16]
.LBB116_19:
	s_or_b64 exec, exec, s[0:1]
	v_mov_b32_e32 v16, v12
	v_mov_b32_e32 v14, v10
	v_cmp_gt_u32_e32 vcc, 21, v0
	v_mov_b32_e32 v15, v11
	v_mov_b32_e32 v13, v9
	s_waitcnt lgkmcnt(0)
	s_barrier
	s_and_saveexec_b64 s[0:1], vcc
	s_cbranch_execz .LBB116_21
; %bb.20:
	s_movk_i32 s2, 0x140
	v_mad_u32_u24 v17, v0, s2, v20
	ds_read_b128 v[13:16], v17
	ds_read_b128 v[21:24], v17 offset:16
	s_waitcnt lgkmcnt(0)
	v_add_f64 v[13:14], v[21:22], v[13:14]
	v_add_f64 v[15:16], v[23:24], v[15:16]
.LBB116_21:
	s_or_b64 exec, exec, s[0:1]
	s_branch .LBB116_34
.LBB116_22:
                                        ; implicit-def: $vgpr15_vgpr16
                                        ; implicit-def: $vgpr13_vgpr14
	s_cbranch_execz .LBB116_34
; %bb.23:
	s_movk_i32 s0, 0x69
	v_cmp_gt_u32_e32 vcc, s0, v0
	s_and_saveexec_b64 s[0:1], vcc
	s_cbranch_execz .LBB116_25
; %bb.24:
	ds_read_b128 v[13:16], v20 offset:5376
	ds_read_b128 v[21:24], v20
	s_waitcnt lgkmcnt(0)
	v_add_f64 v[13:14], v[13:14], v[21:22]
	v_add_f64 v[15:16], v[15:16], v[23:24]
	ds_write_b128 v20, v[13:16]
.LBB116_25:
	s_or_b64 exec, exec, s[0:1]
	s_movk_i32 s0, 0xa8
	v_cmp_gt_u32_e32 vcc, s0, v0
	s_waitcnt lgkmcnt(0)
	s_barrier
	s_and_saveexec_b64 s[0:1], vcc
	s_cbranch_execz .LBB116_27
; %bb.26:
	ds_read_b128 v[13:16], v20 offset:2688
	ds_read_b128 v[21:24], v20
	s_waitcnt lgkmcnt(0)
	v_add_f64 v[13:14], v[13:14], v[21:22]
	v_add_f64 v[15:16], v[15:16], v[23:24]
	ds_write_b128 v20, v[13:16]
.LBB116_27:
	s_or_b64 exec, exec, s[0:1]
	s_movk_i32 s0, 0x54
	v_cmp_gt_u32_e32 vcc, s0, v0
	s_waitcnt lgkmcnt(0)
	s_barrier
	s_and_saveexec_b64 s[0:1], vcc
	s_cbranch_execz .LBB116_29
; %bb.28:
	ds_read_b128 v[13:16], v20 offset:1344
	ds_read_b128 v[21:24], v20
	s_waitcnt lgkmcnt(0)
	v_add_f64 v[13:14], v[13:14], v[21:22]
	v_add_f64 v[15:16], v[15:16], v[23:24]
	ds_write_b128 v20, v[13:16]
.LBB116_29:
	s_or_b64 exec, exec, s[0:1]
	v_cmp_gt_u32_e32 vcc, 42, v0
	s_waitcnt lgkmcnt(0)
	s_barrier
	s_and_saveexec_b64 s[0:1], vcc
	s_cbranch_execz .LBB116_31
; %bb.30:
	ds_read_b128 v[13:16], v20 offset:672
	ds_read_b128 v[21:24], v20
	s_waitcnt lgkmcnt(0)
	v_add_f64 v[13:14], v[13:14], v[21:22]
	v_add_f64 v[15:16], v[15:16], v[23:24]
	ds_write_b128 v20, v[13:16]
.LBB116_31:
	s_or_b64 exec, exec, s[0:1]
	v_cmp_gt_u32_e32 vcc, 21, v0
	s_waitcnt lgkmcnt(0)
	s_and_saveexec_b64 s[0:1], vcc
	s_cbranch_execz .LBB116_33
; %bb.32:
	ds_read_b128 v[9:12], v20 offset:336
	ds_read_b128 v[13:16], v20
	s_waitcnt lgkmcnt(0)
	v_add_f64 v[9:10], v[9:10], v[13:14]
	v_add_f64 v[11:12], v[11:12], v[15:16]
.LBB116_33:
	s_or_b64 exec, exec, s[0:1]
	v_mov_b32_e32 v16, v12
	v_mov_b32_e32 v14, v10
	;; [unrolled: 1-line block ×4, first 2 shown]
.LBB116_34:
	v_cmp_gt_u32_e32 vcc, 21, v0
	s_and_b64 exec, exec, vcc
	s_cbranch_execz .LBB116_39
; %bb.35:
	v_mul_f64 v[9:10], v[15:16], -v[7:8]
	v_mul_f64 v[11:12], v[5:6], v[15:16]
	v_cmp_eq_f64_e32 vcc, 0, v[1:2]
	v_cmp_eq_f64_e64 s[0:1], 0, v[3:4]
	v_fma_f64 v[5:6], v[5:6], v[13:14], v[9:10]
	v_fma_f64 v[7:8], v[7:8], v[13:14], v[11:12]
	s_and_b64 s[0:1], vcc, s[0:1]
	s_and_saveexec_b64 s[2:3], s[0:1]
	s_xor_b64 s[0:1], exec, s[2:3]
	s_cbranch_execz .LBB116_37
; %bb.36:
	v_mad_u64_u32 v[0:1], s[2:3], s6, 21, v[0:1]
	v_mov_b32_e32 v1, 0
	v_mov_b32_e32 v2, s9
	v_lshlrev_b64 v[0:1], 4, v[0:1]
	v_add_co_u32_e32 v0, vcc, s8, v0
	v_addc_co_u32_e32 v1, vcc, v2, v1, vcc
	global_store_dwordx4 v[0:1], v[5:8], off
                                        ; implicit-def: $vgpr0
                                        ; implicit-def: $vgpr1_vgpr2
                                        ; implicit-def: $vgpr5_vgpr6
.LBB116_37:
	s_andn2_saveexec_b64 s[0:1], s[0:1]
	s_cbranch_execz .LBB116_39
; %bb.38:
	v_mad_u64_u32 v[9:10], s[0:1], s6, 21, v[0:1]
	v_mov_b32_e32 v10, 0
	v_mov_b32_e32 v0, s9
	v_lshlrev_b64 v[9:10], 4, v[9:10]
	v_add_co_u32_e32 v13, vcc, s8, v9
	v_addc_co_u32_e32 v14, vcc, v0, v10, vcc
	global_load_dwordx4 v[9:12], v[13:14], off
	s_waitcnt vmcnt(0)
	v_fma_f64 v[5:6], v[1:2], v[9:10], v[5:6]
	v_fma_f64 v[7:8], v[3:4], v[9:10], v[7:8]
	v_fma_f64 v[3:4], -v[3:4], v[11:12], v[5:6]
	v_fma_f64 v[5:6], v[1:2], v[11:12], v[7:8]
	global_store_dwordx4 v[13:14], v[3:6], off
.LBB116_39:
	s_endpgm
	.section	.rodata,"a",@progbits
	.p2align	6, 0x0
	.amdhsa_kernel _ZN9rocsparseL20bsrxmvn_17_32_kernelILj21E21rocsparse_complex_numIdEliS2_S2_S2_EEvT2_20rocsparse_direction_NS_24const_host_device_scalarIT0_EES3_PKS3_PKT1_SC_S9_PKT3_PKT4_S7_PT5_21rocsparse_index_base_b
		.amdhsa_group_segment_fixed_size 7056
		.amdhsa_private_segment_fixed_size 0
		.amdhsa_kernarg_size 112
		.amdhsa_user_sgpr_count 6
		.amdhsa_user_sgpr_private_segment_buffer 1
		.amdhsa_user_sgpr_dispatch_ptr 0
		.amdhsa_user_sgpr_queue_ptr 0
		.amdhsa_user_sgpr_kernarg_segment_ptr 1
		.amdhsa_user_sgpr_dispatch_id 0
		.amdhsa_user_sgpr_flat_scratch_init 0
		.amdhsa_user_sgpr_private_segment_size 0
		.amdhsa_uses_dynamic_stack 0
		.amdhsa_system_sgpr_private_segment_wavefront_offset 0
		.amdhsa_system_sgpr_workgroup_id_x 1
		.amdhsa_system_sgpr_workgroup_id_y 0
		.amdhsa_system_sgpr_workgroup_id_z 0
		.amdhsa_system_sgpr_workgroup_info 0
		.amdhsa_system_vgpr_workitem_id 0
		.amdhsa_next_free_vgpr 31
		.amdhsa_next_free_sgpr 61
		.amdhsa_reserve_vcc 1
		.amdhsa_reserve_flat_scratch 0
		.amdhsa_float_round_mode_32 0
		.amdhsa_float_round_mode_16_64 0
		.amdhsa_float_denorm_mode_32 3
		.amdhsa_float_denorm_mode_16_64 3
		.amdhsa_dx10_clamp 1
		.amdhsa_ieee_mode 1
		.amdhsa_fp16_overflow 0
		.amdhsa_exception_fp_ieee_invalid_op 0
		.amdhsa_exception_fp_denorm_src 0
		.amdhsa_exception_fp_ieee_div_zero 0
		.amdhsa_exception_fp_ieee_overflow 0
		.amdhsa_exception_fp_ieee_underflow 0
		.amdhsa_exception_fp_ieee_inexact 0
		.amdhsa_exception_int_div_zero 0
	.end_amdhsa_kernel
	.section	.text._ZN9rocsparseL20bsrxmvn_17_32_kernelILj21E21rocsparse_complex_numIdEliS2_S2_S2_EEvT2_20rocsparse_direction_NS_24const_host_device_scalarIT0_EES3_PKS3_PKT1_SC_S9_PKT3_PKT4_S7_PT5_21rocsparse_index_base_b,"axG",@progbits,_ZN9rocsparseL20bsrxmvn_17_32_kernelILj21E21rocsparse_complex_numIdEliS2_S2_S2_EEvT2_20rocsparse_direction_NS_24const_host_device_scalarIT0_EES3_PKS3_PKT1_SC_S9_PKT3_PKT4_S7_PT5_21rocsparse_index_base_b,comdat
.Lfunc_end116:
	.size	_ZN9rocsparseL20bsrxmvn_17_32_kernelILj21E21rocsparse_complex_numIdEliS2_S2_S2_EEvT2_20rocsparse_direction_NS_24const_host_device_scalarIT0_EES3_PKS3_PKT1_SC_S9_PKT3_PKT4_S7_PT5_21rocsparse_index_base_b, .Lfunc_end116-_ZN9rocsparseL20bsrxmvn_17_32_kernelILj21E21rocsparse_complex_numIdEliS2_S2_S2_EEvT2_20rocsparse_direction_NS_24const_host_device_scalarIT0_EES3_PKS3_PKT1_SC_S9_PKT3_PKT4_S7_PT5_21rocsparse_index_base_b
                                        ; -- End function
	.set _ZN9rocsparseL20bsrxmvn_17_32_kernelILj21E21rocsparse_complex_numIdEliS2_S2_S2_EEvT2_20rocsparse_direction_NS_24const_host_device_scalarIT0_EES3_PKS3_PKT1_SC_S9_PKT3_PKT4_S7_PT5_21rocsparse_index_base_b.num_vgpr, 31
	.set _ZN9rocsparseL20bsrxmvn_17_32_kernelILj21E21rocsparse_complex_numIdEliS2_S2_S2_EEvT2_20rocsparse_direction_NS_24const_host_device_scalarIT0_EES3_PKS3_PKT1_SC_S9_PKT3_PKT4_S7_PT5_21rocsparse_index_base_b.num_agpr, 0
	.set _ZN9rocsparseL20bsrxmvn_17_32_kernelILj21E21rocsparse_complex_numIdEliS2_S2_S2_EEvT2_20rocsparse_direction_NS_24const_host_device_scalarIT0_EES3_PKS3_PKT1_SC_S9_PKT3_PKT4_S7_PT5_21rocsparse_index_base_b.numbered_sgpr, 24
	.set _ZN9rocsparseL20bsrxmvn_17_32_kernelILj21E21rocsparse_complex_numIdEliS2_S2_S2_EEvT2_20rocsparse_direction_NS_24const_host_device_scalarIT0_EES3_PKS3_PKT1_SC_S9_PKT3_PKT4_S7_PT5_21rocsparse_index_base_b.num_named_barrier, 0
	.set _ZN9rocsparseL20bsrxmvn_17_32_kernelILj21E21rocsparse_complex_numIdEliS2_S2_S2_EEvT2_20rocsparse_direction_NS_24const_host_device_scalarIT0_EES3_PKS3_PKT1_SC_S9_PKT3_PKT4_S7_PT5_21rocsparse_index_base_b.private_seg_size, 0
	.set _ZN9rocsparseL20bsrxmvn_17_32_kernelILj21E21rocsparse_complex_numIdEliS2_S2_S2_EEvT2_20rocsparse_direction_NS_24const_host_device_scalarIT0_EES3_PKS3_PKT1_SC_S9_PKT3_PKT4_S7_PT5_21rocsparse_index_base_b.uses_vcc, 1
	.set _ZN9rocsparseL20bsrxmvn_17_32_kernelILj21E21rocsparse_complex_numIdEliS2_S2_S2_EEvT2_20rocsparse_direction_NS_24const_host_device_scalarIT0_EES3_PKS3_PKT1_SC_S9_PKT3_PKT4_S7_PT5_21rocsparse_index_base_b.uses_flat_scratch, 0
	.set _ZN9rocsparseL20bsrxmvn_17_32_kernelILj21E21rocsparse_complex_numIdEliS2_S2_S2_EEvT2_20rocsparse_direction_NS_24const_host_device_scalarIT0_EES3_PKS3_PKT1_SC_S9_PKT3_PKT4_S7_PT5_21rocsparse_index_base_b.has_dyn_sized_stack, 0
	.set _ZN9rocsparseL20bsrxmvn_17_32_kernelILj21E21rocsparse_complex_numIdEliS2_S2_S2_EEvT2_20rocsparse_direction_NS_24const_host_device_scalarIT0_EES3_PKS3_PKT1_SC_S9_PKT3_PKT4_S7_PT5_21rocsparse_index_base_b.has_recursion, 0
	.set _ZN9rocsparseL20bsrxmvn_17_32_kernelILj21E21rocsparse_complex_numIdEliS2_S2_S2_EEvT2_20rocsparse_direction_NS_24const_host_device_scalarIT0_EES3_PKS3_PKT1_SC_S9_PKT3_PKT4_S7_PT5_21rocsparse_index_base_b.has_indirect_call, 0
	.section	.AMDGPU.csdata,"",@progbits
; Kernel info:
; codeLenInByte = 1720
; TotalNumSgprs: 28
; NumVgprs: 31
; ScratchSize: 0
; MemoryBound: 0
; FloatMode: 240
; IeeeMode: 1
; LDSByteSize: 7056 bytes/workgroup (compile time only)
; SGPRBlocks: 8
; VGPRBlocks: 7
; NumSGPRsForWavesPerEU: 65
; NumVGPRsForWavesPerEU: 31
; Occupancy: 8
; WaveLimiterHint : 1
; COMPUTE_PGM_RSRC2:SCRATCH_EN: 0
; COMPUTE_PGM_RSRC2:USER_SGPR: 6
; COMPUTE_PGM_RSRC2:TRAP_HANDLER: 0
; COMPUTE_PGM_RSRC2:TGID_X_EN: 1
; COMPUTE_PGM_RSRC2:TGID_Y_EN: 0
; COMPUTE_PGM_RSRC2:TGID_Z_EN: 0
; COMPUTE_PGM_RSRC2:TIDIG_COMP_CNT: 0
	.section	.text._ZN9rocsparseL20bsrxmvn_17_32_kernelILj22E21rocsparse_complex_numIdEliS2_S2_S2_EEvT2_20rocsparse_direction_NS_24const_host_device_scalarIT0_EES3_PKS3_PKT1_SC_S9_PKT3_PKT4_S7_PT5_21rocsparse_index_base_b,"axG",@progbits,_ZN9rocsparseL20bsrxmvn_17_32_kernelILj22E21rocsparse_complex_numIdEliS2_S2_S2_EEvT2_20rocsparse_direction_NS_24const_host_device_scalarIT0_EES3_PKS3_PKT1_SC_S9_PKT3_PKT4_S7_PT5_21rocsparse_index_base_b,comdat
	.globl	_ZN9rocsparseL20bsrxmvn_17_32_kernelILj22E21rocsparse_complex_numIdEliS2_S2_S2_EEvT2_20rocsparse_direction_NS_24const_host_device_scalarIT0_EES3_PKS3_PKT1_SC_S9_PKT3_PKT4_S7_PT5_21rocsparse_index_base_b ; -- Begin function _ZN9rocsparseL20bsrxmvn_17_32_kernelILj22E21rocsparse_complex_numIdEliS2_S2_S2_EEvT2_20rocsparse_direction_NS_24const_host_device_scalarIT0_EES3_PKS3_PKT1_SC_S9_PKT3_PKT4_S7_PT5_21rocsparse_index_base_b
	.p2align	8
	.type	_ZN9rocsparseL20bsrxmvn_17_32_kernelILj22E21rocsparse_complex_numIdEliS2_S2_S2_EEvT2_20rocsparse_direction_NS_24const_host_device_scalarIT0_EES3_PKS3_PKT1_SC_S9_PKT3_PKT4_S7_PT5_21rocsparse_index_base_b,@function
_ZN9rocsparseL20bsrxmvn_17_32_kernelILj22E21rocsparse_complex_numIdEliS2_S2_S2_EEvT2_20rocsparse_direction_NS_24const_host_device_scalarIT0_EES3_PKS3_PKT1_SC_S9_PKT3_PKT4_S7_PT5_21rocsparse_index_base_b: ; @_ZN9rocsparseL20bsrxmvn_17_32_kernelILj22E21rocsparse_complex_numIdEliS2_S2_S2_EEvT2_20rocsparse_direction_NS_24const_host_device_scalarIT0_EES3_PKS3_PKT1_SC_S9_PKT3_PKT4_S7_PT5_21rocsparse_index_base_b
; %bb.0:
	s_load_dwordx2 s[0:1], s[4:5], 0x8
	s_load_dwordx2 s[10:11], s[4:5], 0x68
	s_add_u32 s7, s4, 8
	s_addc_u32 s8, s5, 0
	s_add_u32 s9, s4, 0x50
	s_addc_u32 s12, s5, 0
	s_waitcnt lgkmcnt(0)
	s_bitcmp1_b32 s11, 0
	s_cselect_b32 s1, s8, s1
	s_cselect_b32 s0, s7, s0
	v_mov_b32_e32 v1, s0
	v_mov_b32_e32 v2, s1
	flat_load_dwordx4 v[5:8], v[1:2]
	s_load_dwordx2 s[2:3], s[4:5], 0x50
	s_waitcnt lgkmcnt(0)
	s_cselect_b32 s0, s12, s3
	s_cselect_b32 s1, s9, s2
	v_mov_b32_e32 v1, s1
	v_mov_b32_e32 v2, s0
	flat_load_dwordx4 v[1:4], v[1:2]
	s_waitcnt vmcnt(0)
	v_cmp_eq_f64_e32 vcc, 0, v[5:6]
	v_cmp_eq_f64_e64 s[0:1], 0, v[7:8]
	s_and_b64 s[8:9], vcc, s[0:1]
	s_mov_b64 s[0:1], -1
	s_and_saveexec_b64 s[2:3], s[8:9]
	s_cbranch_execz .LBB117_2
; %bb.1:
	s_waitcnt lgkmcnt(0)
	v_cmp_neq_f64_e32 vcc, 1.0, v[1:2]
	v_cmp_neq_f64_e64 s[0:1], 0, v[3:4]
	s_or_b64 s[0:1], vcc, s[0:1]
	s_orn2_b64 s[0:1], s[0:1], exec
.LBB117_2:
	s_or_b64 exec, exec, s[2:3]
	s_and_saveexec_b64 s[2:3], s[0:1]
	s_cbranch_execz .LBB117_39
; %bb.3:
	s_load_dwordx4 s[0:3], s[4:5], 0x20
	s_load_dwordx2 s[14:15], s[4:5], 0x30
	s_waitcnt lgkmcnt(0)
	s_cmp_eq_u64 s[0:1], 0
	s_cbranch_scc1 .LBB117_5
; %bb.4:
	s_ashr_i32 s7, s6, 31
	s_lshl_b64 s[6:7], s[6:7], 2
	s_add_u32 s0, s0, s6
	s_addc_u32 s1, s1, s7
	s_load_dword s0, s[0:1], 0x0
	s_waitcnt lgkmcnt(0)
	s_sub_i32 s6, s0, s10
.LBB117_5:
	s_load_dword s7, s[4:5], 0x4
	s_load_dwordx2 s[8:9], s[4:5], 0x60
	v_mul_u32_u24_e32 v13, 0xba3, v0
	v_mov_b32_e32 v14, 22
	v_mul_lo_u16_sdwa v9, v13, v14 dst_sel:DWORD dst_unused:UNUSED_PAD src0_sel:WORD_1 src1_sel:DWORD
	s_waitcnt lgkmcnt(0)
	s_cmp_eq_u32 s7, 1
	s_cselect_b64 s[0:1], -1, 0
	s_cmp_lg_u32 s7, 1
	s_cselect_b64 s[12:13], -1, 0
	s_ashr_i32 s7, s6, 31
	s_lshl_b64 s[16:17], s[6:7], 3
	s_add_u32 s2, s2, s16
	s_addc_u32 s3, s3, s17
	s_add_u32 s7, s2, 8
	s_addc_u32 s11, s3, 0
	;; [unrolled: 2-line block ×3, first 2 shown]
	s_cmp_eq_u64 s[14:15], 0
	s_cselect_b32 s19, s11, s17
	s_cselect_b32 s18, s7, s16
	s_load_dwordx2 s[14:15], s[18:19], 0x0
	s_load_dwordx2 s[16:17], s[2:3], 0x0
	v_sub_u16_e32 v21, v0, v9
	v_mov_b32_e32 v11, 0
	v_mov_b32_e32 v12, 0
	s_waitcnt lgkmcnt(0)
	v_mov_b32_e32 v9, s14
	v_mov_b32_e32 v10, s15
	v_cmp_ge_i64_e32 vcc, s[16:17], v[9:10]
	v_mov_b32_e32 v9, 0
	v_lshlrev_b32_e32 v20, 4, v0
	v_mov_b32_e32 v10, 0
	s_cbranch_vccnz .LBB117_10
; %bb.6:
	v_mov_b32_e32 v9, 12
	s_load_dwordx2 s[2:3], s[4:5], 0x48
	s_load_dwordx4 s[20:23], s[4:5], 0x38
	s_sub_u32 s4, s14, s10
	v_mul_lo_u16_sdwa v9, v13, v9 dst_sel:DWORD dst_unused:UNUSED_PAD src0_sel:WORD_1 src1_sel:DWORD
	s_subb_u32 s5, s15, 0
	v_mul_lo_u16_sdwa v9, v9, v14 dst_sel:DWORD dst_unused:UNUSED_PAD src0_sel:BYTE_1 src1_sel:DWORD
	v_sub_u16_sdwa v9, v13, v9 dst_sel:DWORD dst_unused:UNUSED_PAD src0_sel:WORD_1 src1_sel:DWORD
	s_sub_u32 s14, s16, s10
	v_and_b32_e32 v9, 0xff, v9
	s_subb_u32 s15, s17, 0
	v_cndmask_b32_e64 v13, v21, v9, s[0:1]
	s_mul_i32 s0, s15, 0x1e40
	s_mul_hi_u32 s1, s14, 0x1e40
	s_add_i32 s1, s1, s0
	s_mul_i32 s0, s14, 0x1e40
	s_waitcnt lgkmcnt(0)
	s_add_u32 s0, s22, s0
	s_addc_u32 s1, s23, s1
	v_mov_b32_e32 v9, s1
	v_add_co_u32_e32 v14, vcc, s0, v20
	s_movk_i32 s0, 0x10f
	v_addc_co_u32_e32 v15, vcc, 0, v9, vcc
	v_mul_u32_u24_sdwa v9, v0, s0 dst_sel:DWORD dst_unused:UNUSED_PAD src0_sel:WORD_0 src1_sel:DWORD
	v_lshrrev_b32_e32 v22, 17, v9
	v_mov_b32_e32 v9, s17
	v_add_co_u32_e32 v10, vcc, s16, v22
	v_addc_co_u32_e32 v11, vcc, 0, v9, vcc
	v_subrev_co_u32_e32 v9, vcc, s10, v10
	v_subbrev_co_u32_e32 v10, vcc, 0, v11, vcc
	v_lshlrev_b64 v[9:10], 2, v[9:10]
	v_mov_b32_e32 v11, s21
	v_add_co_u32_e32 v16, vcc, s20, v9
	v_addc_co_u32_e32 v17, vcc, v11, v10, vcc
	v_mov_b32_e32 v11, 0
	v_mov_b32_e32 v12, 0
	v_mov_b32_e32 v19, s5
	v_mov_b32_e32 v9, v11
	v_mov_b32_e32 v18, s4
	v_mov_b32_e32 v10, v12
	s_branch .LBB117_8
.LBB117_7:                              ;   in Loop: Header=BB117_8 Depth=1
	s_or_b64 exec, exec, s[0:1]
	s_add_u32 s14, s14, 1
	s_addc_u32 s15, s15, 0
	v_cmp_lt_i64_e32 vcc, s[14:15], v[18:19]
	v_add_co_u32_e64 v16, s[0:1], 4, v16
	v_addc_co_u32_e64 v17, s[0:1], 0, v17, s[0:1]
	s_cbranch_vccz .LBB117_10
.LBB117_8:                              ; =>This Inner Loop Header: Depth=1
	v_mov_b32_e32 v24, s15
	v_add_co_u32_e32 v23, vcc, s14, v22
	v_addc_co_u32_e32 v24, vcc, 0, v24, vcc
	v_cmp_gt_i64_e32 vcc, s[4:5], v[23:24]
	s_and_saveexec_b64 s[0:1], vcc
	s_cbranch_execz .LBB117_7
; %bb.9:                                ;   in Loop: Header=BB117_8 Depth=1
	global_load_dword v23, v[16:17], off
	v_mov_b32_e32 v29, s3
	s_waitcnt vmcnt(0)
	v_subrev_u32_e32 v23, s10, v23
	v_mad_u64_u32 v[27:28], s[16:17], v23, 22, v[13:14]
	global_load_dwordx4 v[23:26], v[14:15], off
	v_ashrrev_i32_e32 v28, 31, v27
	v_lshlrev_b64 v[27:28], 4, v[27:28]
	v_add_co_u32_e32 v27, vcc, s2, v27
	v_addc_co_u32_e32 v28, vcc, v29, v28, vcc
	global_load_dwordx4 v[27:30], v[27:28], off
	v_add_co_u32_e32 v14, vcc, 0x1e40, v14
	v_addc_co_u32_e32 v15, vcc, 0, v15, vcc
	s_waitcnt vmcnt(0)
	v_fma_f64 v[9:10], v[23:24], v[27:28], v[9:10]
	v_fma_f64 v[11:12], v[25:26], v[27:28], v[11:12]
	v_fma_f64 v[9:10], -v[25:26], v[29:30], v[9:10]
	v_fma_f64 v[11:12], v[23:24], v[29:30], v[11:12]
	s_branch .LBB117_7
.LBB117_10:
	s_and_b64 vcc, exec, s[12:13]
	ds_write_b128 v20, v[9:12]
	s_waitcnt lgkmcnt(0)
	s_barrier
	s_cbranch_vccz .LBB117_22
; %bb.11:
	v_cmp_gt_u16_e32 vcc, 6, v21
	s_and_saveexec_b64 s[0:1], vcc
	s_cbranch_execz .LBB117_13
; %bb.12:
	ds_read_b128 v[13:16], v20 offset:256
	ds_read_b128 v[22:25], v20
	s_waitcnt lgkmcnt(0)
	v_add_f64 v[13:14], v[13:14], v[22:23]
	v_add_f64 v[15:16], v[15:16], v[24:25]
	ds_write_b128 v20, v[13:16]
.LBB117_13:
	s_or_b64 exec, exec, s[0:1]
	v_cmp_gt_u16_e32 vcc, 8, v21
	s_waitcnt lgkmcnt(0)
	s_barrier
	s_and_saveexec_b64 s[0:1], vcc
	s_cbranch_execz .LBB117_15
; %bb.14:
	ds_read_b128 v[13:16], v20 offset:128
	ds_read_b128 v[22:25], v20
	s_waitcnt lgkmcnt(0)
	v_add_f64 v[13:14], v[13:14], v[22:23]
	v_add_f64 v[15:16], v[15:16], v[24:25]
	ds_write_b128 v20, v[13:16]
.LBB117_15:
	s_or_b64 exec, exec, s[0:1]
	v_cmp_gt_u16_e32 vcc, 4, v21
	s_waitcnt lgkmcnt(0)
	s_barrier
	;; [unrolled: 14-line block ×3, first 2 shown]
	s_and_saveexec_b64 s[0:1], vcc
	s_cbranch_execz .LBB117_19
; %bb.18:
	ds_read_b128 v[13:16], v20
	ds_read_b128 v[21:24], v20 offset:32
	s_waitcnt lgkmcnt(0)
	v_add_f64 v[13:14], v[21:22], v[13:14]
	v_add_f64 v[15:16], v[23:24], v[15:16]
	ds_write_b128 v20, v[13:16]
.LBB117_19:
	s_or_b64 exec, exec, s[0:1]
	v_mov_b32_e32 v16, v12
	v_mov_b32_e32 v14, v10
	v_cmp_gt_u32_e32 vcc, 22, v0
	v_mov_b32_e32 v15, v11
	v_mov_b32_e32 v13, v9
	s_waitcnt lgkmcnt(0)
	s_barrier
	s_and_saveexec_b64 s[0:1], vcc
	s_cbranch_execz .LBB117_21
; %bb.20:
	s_movk_i32 s2, 0x150
	v_mad_u32_u24 v17, v0, s2, v20
	ds_read_b128 v[13:16], v17
	ds_read_b128 v[21:24], v17 offset:16
	s_waitcnt lgkmcnt(0)
	v_add_f64 v[13:14], v[21:22], v[13:14]
	v_add_f64 v[15:16], v[23:24], v[15:16]
.LBB117_21:
	s_or_b64 exec, exec, s[0:1]
	s_branch .LBB117_34
.LBB117_22:
                                        ; implicit-def: $vgpr15_vgpr16
                                        ; implicit-def: $vgpr13_vgpr14
	s_cbranch_execz .LBB117_34
; %bb.23:
	s_movk_i32 s0, 0x84
	v_cmp_gt_u32_e32 vcc, s0, v0
	s_and_saveexec_b64 s[0:1], vcc
	s_cbranch_execz .LBB117_25
; %bb.24:
	ds_read_b128 v[13:16], v20 offset:5632
	ds_read_b128 v[21:24], v20
	s_waitcnt lgkmcnt(0)
	v_add_f64 v[13:14], v[13:14], v[21:22]
	v_add_f64 v[15:16], v[15:16], v[23:24]
	ds_write_b128 v20, v[13:16]
.LBB117_25:
	s_or_b64 exec, exec, s[0:1]
	s_movk_i32 s0, 0xb0
	v_cmp_gt_u32_e32 vcc, s0, v0
	s_waitcnt lgkmcnt(0)
	s_barrier
	s_and_saveexec_b64 s[0:1], vcc
	s_cbranch_execz .LBB117_27
; %bb.26:
	ds_read_b128 v[13:16], v20 offset:2816
	ds_read_b128 v[21:24], v20
	s_waitcnt lgkmcnt(0)
	v_add_f64 v[13:14], v[13:14], v[21:22]
	v_add_f64 v[15:16], v[15:16], v[23:24]
	ds_write_b128 v20, v[13:16]
.LBB117_27:
	s_or_b64 exec, exec, s[0:1]
	s_movk_i32 s0, 0x58
	v_cmp_gt_u32_e32 vcc, s0, v0
	s_waitcnt lgkmcnt(0)
	s_barrier
	s_and_saveexec_b64 s[0:1], vcc
	s_cbranch_execz .LBB117_29
; %bb.28:
	ds_read_b128 v[13:16], v20 offset:1408
	ds_read_b128 v[21:24], v20
	s_waitcnt lgkmcnt(0)
	v_add_f64 v[13:14], v[13:14], v[21:22]
	v_add_f64 v[15:16], v[15:16], v[23:24]
	ds_write_b128 v20, v[13:16]
.LBB117_29:
	s_or_b64 exec, exec, s[0:1]
	v_cmp_gt_u32_e32 vcc, 44, v0
	s_waitcnt lgkmcnt(0)
	s_barrier
	s_and_saveexec_b64 s[0:1], vcc
	s_cbranch_execz .LBB117_31
; %bb.30:
	ds_read_b128 v[13:16], v20 offset:704
	ds_read_b128 v[21:24], v20
	s_waitcnt lgkmcnt(0)
	v_add_f64 v[13:14], v[13:14], v[21:22]
	v_add_f64 v[15:16], v[15:16], v[23:24]
	ds_write_b128 v20, v[13:16]
.LBB117_31:
	s_or_b64 exec, exec, s[0:1]
	v_cmp_gt_u32_e32 vcc, 22, v0
	s_waitcnt lgkmcnt(0)
	s_and_saveexec_b64 s[0:1], vcc
	s_cbranch_execz .LBB117_33
; %bb.32:
	ds_read_b128 v[9:12], v20 offset:352
	ds_read_b128 v[13:16], v20
	s_waitcnt lgkmcnt(0)
	v_add_f64 v[9:10], v[9:10], v[13:14]
	v_add_f64 v[11:12], v[11:12], v[15:16]
.LBB117_33:
	s_or_b64 exec, exec, s[0:1]
	v_mov_b32_e32 v16, v12
	v_mov_b32_e32 v14, v10
	;; [unrolled: 1-line block ×4, first 2 shown]
.LBB117_34:
	v_cmp_gt_u32_e32 vcc, 22, v0
	s_and_b64 exec, exec, vcc
	s_cbranch_execz .LBB117_39
; %bb.35:
	v_mul_f64 v[9:10], v[15:16], -v[7:8]
	v_mul_f64 v[11:12], v[5:6], v[15:16]
	v_cmp_eq_f64_e32 vcc, 0, v[1:2]
	v_cmp_eq_f64_e64 s[0:1], 0, v[3:4]
	v_fma_f64 v[5:6], v[5:6], v[13:14], v[9:10]
	v_fma_f64 v[7:8], v[7:8], v[13:14], v[11:12]
	s_and_b64 s[0:1], vcc, s[0:1]
	s_and_saveexec_b64 s[2:3], s[0:1]
	s_xor_b64 s[0:1], exec, s[2:3]
	s_cbranch_execz .LBB117_37
; %bb.36:
	v_mad_u64_u32 v[0:1], s[2:3], s6, 22, v[0:1]
	v_mov_b32_e32 v1, 0
	v_mov_b32_e32 v2, s9
	v_lshlrev_b64 v[0:1], 4, v[0:1]
	v_add_co_u32_e32 v0, vcc, s8, v0
	v_addc_co_u32_e32 v1, vcc, v2, v1, vcc
	global_store_dwordx4 v[0:1], v[5:8], off
                                        ; implicit-def: $vgpr0
                                        ; implicit-def: $vgpr1_vgpr2
                                        ; implicit-def: $vgpr5_vgpr6
.LBB117_37:
	s_andn2_saveexec_b64 s[0:1], s[0:1]
	s_cbranch_execz .LBB117_39
; %bb.38:
	v_mad_u64_u32 v[9:10], s[0:1], s6, 22, v[0:1]
	v_mov_b32_e32 v10, 0
	v_mov_b32_e32 v0, s9
	v_lshlrev_b64 v[9:10], 4, v[9:10]
	v_add_co_u32_e32 v13, vcc, s8, v9
	v_addc_co_u32_e32 v14, vcc, v0, v10, vcc
	global_load_dwordx4 v[9:12], v[13:14], off
	s_waitcnt vmcnt(0)
	v_fma_f64 v[5:6], v[1:2], v[9:10], v[5:6]
	v_fma_f64 v[7:8], v[3:4], v[9:10], v[7:8]
	v_fma_f64 v[3:4], -v[3:4], v[11:12], v[5:6]
	v_fma_f64 v[5:6], v[1:2], v[11:12], v[7:8]
	global_store_dwordx4 v[13:14], v[3:6], off
.LBB117_39:
	s_endpgm
	.section	.rodata,"a",@progbits
	.p2align	6, 0x0
	.amdhsa_kernel _ZN9rocsparseL20bsrxmvn_17_32_kernelILj22E21rocsparse_complex_numIdEliS2_S2_S2_EEvT2_20rocsparse_direction_NS_24const_host_device_scalarIT0_EES3_PKS3_PKT1_SC_S9_PKT3_PKT4_S7_PT5_21rocsparse_index_base_b
		.amdhsa_group_segment_fixed_size 7744
		.amdhsa_private_segment_fixed_size 0
		.amdhsa_kernarg_size 112
		.amdhsa_user_sgpr_count 6
		.amdhsa_user_sgpr_private_segment_buffer 1
		.amdhsa_user_sgpr_dispatch_ptr 0
		.amdhsa_user_sgpr_queue_ptr 0
		.amdhsa_user_sgpr_kernarg_segment_ptr 1
		.amdhsa_user_sgpr_dispatch_id 0
		.amdhsa_user_sgpr_flat_scratch_init 0
		.amdhsa_user_sgpr_private_segment_size 0
		.amdhsa_uses_dynamic_stack 0
		.amdhsa_system_sgpr_private_segment_wavefront_offset 0
		.amdhsa_system_sgpr_workgroup_id_x 1
		.amdhsa_system_sgpr_workgroup_id_y 0
		.amdhsa_system_sgpr_workgroup_id_z 0
		.amdhsa_system_sgpr_workgroup_info 0
		.amdhsa_system_vgpr_workitem_id 0
		.amdhsa_next_free_vgpr 31
		.amdhsa_next_free_sgpr 24
		.amdhsa_reserve_vcc 1
		.amdhsa_reserve_flat_scratch 0
		.amdhsa_float_round_mode_32 0
		.amdhsa_float_round_mode_16_64 0
		.amdhsa_float_denorm_mode_32 3
		.amdhsa_float_denorm_mode_16_64 3
		.amdhsa_dx10_clamp 1
		.amdhsa_ieee_mode 1
		.amdhsa_fp16_overflow 0
		.amdhsa_exception_fp_ieee_invalid_op 0
		.amdhsa_exception_fp_denorm_src 0
		.amdhsa_exception_fp_ieee_div_zero 0
		.amdhsa_exception_fp_ieee_overflow 0
		.amdhsa_exception_fp_ieee_underflow 0
		.amdhsa_exception_fp_ieee_inexact 0
		.amdhsa_exception_int_div_zero 0
	.end_amdhsa_kernel
	.section	.text._ZN9rocsparseL20bsrxmvn_17_32_kernelILj22E21rocsparse_complex_numIdEliS2_S2_S2_EEvT2_20rocsparse_direction_NS_24const_host_device_scalarIT0_EES3_PKS3_PKT1_SC_S9_PKT3_PKT4_S7_PT5_21rocsparse_index_base_b,"axG",@progbits,_ZN9rocsparseL20bsrxmvn_17_32_kernelILj22E21rocsparse_complex_numIdEliS2_S2_S2_EEvT2_20rocsparse_direction_NS_24const_host_device_scalarIT0_EES3_PKS3_PKT1_SC_S9_PKT3_PKT4_S7_PT5_21rocsparse_index_base_b,comdat
.Lfunc_end117:
	.size	_ZN9rocsparseL20bsrxmvn_17_32_kernelILj22E21rocsparse_complex_numIdEliS2_S2_S2_EEvT2_20rocsparse_direction_NS_24const_host_device_scalarIT0_EES3_PKS3_PKT1_SC_S9_PKT3_PKT4_S7_PT5_21rocsparse_index_base_b, .Lfunc_end117-_ZN9rocsparseL20bsrxmvn_17_32_kernelILj22E21rocsparse_complex_numIdEliS2_S2_S2_EEvT2_20rocsparse_direction_NS_24const_host_device_scalarIT0_EES3_PKS3_PKT1_SC_S9_PKT3_PKT4_S7_PT5_21rocsparse_index_base_b
                                        ; -- End function
	.set _ZN9rocsparseL20bsrxmvn_17_32_kernelILj22E21rocsparse_complex_numIdEliS2_S2_S2_EEvT2_20rocsparse_direction_NS_24const_host_device_scalarIT0_EES3_PKS3_PKT1_SC_S9_PKT3_PKT4_S7_PT5_21rocsparse_index_base_b.num_vgpr, 31
	.set _ZN9rocsparseL20bsrxmvn_17_32_kernelILj22E21rocsparse_complex_numIdEliS2_S2_S2_EEvT2_20rocsparse_direction_NS_24const_host_device_scalarIT0_EES3_PKS3_PKT1_SC_S9_PKT3_PKT4_S7_PT5_21rocsparse_index_base_b.num_agpr, 0
	.set _ZN9rocsparseL20bsrxmvn_17_32_kernelILj22E21rocsparse_complex_numIdEliS2_S2_S2_EEvT2_20rocsparse_direction_NS_24const_host_device_scalarIT0_EES3_PKS3_PKT1_SC_S9_PKT3_PKT4_S7_PT5_21rocsparse_index_base_b.numbered_sgpr, 24
	.set _ZN9rocsparseL20bsrxmvn_17_32_kernelILj22E21rocsparse_complex_numIdEliS2_S2_S2_EEvT2_20rocsparse_direction_NS_24const_host_device_scalarIT0_EES3_PKS3_PKT1_SC_S9_PKT3_PKT4_S7_PT5_21rocsparse_index_base_b.num_named_barrier, 0
	.set _ZN9rocsparseL20bsrxmvn_17_32_kernelILj22E21rocsparse_complex_numIdEliS2_S2_S2_EEvT2_20rocsparse_direction_NS_24const_host_device_scalarIT0_EES3_PKS3_PKT1_SC_S9_PKT3_PKT4_S7_PT5_21rocsparse_index_base_b.private_seg_size, 0
	.set _ZN9rocsparseL20bsrxmvn_17_32_kernelILj22E21rocsparse_complex_numIdEliS2_S2_S2_EEvT2_20rocsparse_direction_NS_24const_host_device_scalarIT0_EES3_PKS3_PKT1_SC_S9_PKT3_PKT4_S7_PT5_21rocsparse_index_base_b.uses_vcc, 1
	.set _ZN9rocsparseL20bsrxmvn_17_32_kernelILj22E21rocsparse_complex_numIdEliS2_S2_S2_EEvT2_20rocsparse_direction_NS_24const_host_device_scalarIT0_EES3_PKS3_PKT1_SC_S9_PKT3_PKT4_S7_PT5_21rocsparse_index_base_b.uses_flat_scratch, 0
	.set _ZN9rocsparseL20bsrxmvn_17_32_kernelILj22E21rocsparse_complex_numIdEliS2_S2_S2_EEvT2_20rocsparse_direction_NS_24const_host_device_scalarIT0_EES3_PKS3_PKT1_SC_S9_PKT3_PKT4_S7_PT5_21rocsparse_index_base_b.has_dyn_sized_stack, 0
	.set _ZN9rocsparseL20bsrxmvn_17_32_kernelILj22E21rocsparse_complex_numIdEliS2_S2_S2_EEvT2_20rocsparse_direction_NS_24const_host_device_scalarIT0_EES3_PKS3_PKT1_SC_S9_PKT3_PKT4_S7_PT5_21rocsparse_index_base_b.has_recursion, 0
	.set _ZN9rocsparseL20bsrxmvn_17_32_kernelILj22E21rocsparse_complex_numIdEliS2_S2_S2_EEvT2_20rocsparse_direction_NS_24const_host_device_scalarIT0_EES3_PKS3_PKT1_SC_S9_PKT3_PKT4_S7_PT5_21rocsparse_index_base_b.has_indirect_call, 0
	.section	.AMDGPU.csdata,"",@progbits
; Kernel info:
; codeLenInByte = 1720
; TotalNumSgprs: 28
; NumVgprs: 31
; ScratchSize: 0
; MemoryBound: 0
; FloatMode: 240
; IeeeMode: 1
; LDSByteSize: 7744 bytes/workgroup (compile time only)
; SGPRBlocks: 3
; VGPRBlocks: 7
; NumSGPRsForWavesPerEU: 28
; NumVGPRsForWavesPerEU: 31
; Occupancy: 8
; WaveLimiterHint : 1
; COMPUTE_PGM_RSRC2:SCRATCH_EN: 0
; COMPUTE_PGM_RSRC2:USER_SGPR: 6
; COMPUTE_PGM_RSRC2:TRAP_HANDLER: 0
; COMPUTE_PGM_RSRC2:TGID_X_EN: 1
; COMPUTE_PGM_RSRC2:TGID_Y_EN: 0
; COMPUTE_PGM_RSRC2:TGID_Z_EN: 0
; COMPUTE_PGM_RSRC2:TIDIG_COMP_CNT: 0
	.section	.text._ZN9rocsparseL20bsrxmvn_17_32_kernelILj23E21rocsparse_complex_numIdEliS2_S2_S2_EEvT2_20rocsparse_direction_NS_24const_host_device_scalarIT0_EES3_PKS3_PKT1_SC_S9_PKT3_PKT4_S7_PT5_21rocsparse_index_base_b,"axG",@progbits,_ZN9rocsparseL20bsrxmvn_17_32_kernelILj23E21rocsparse_complex_numIdEliS2_S2_S2_EEvT2_20rocsparse_direction_NS_24const_host_device_scalarIT0_EES3_PKS3_PKT1_SC_S9_PKT3_PKT4_S7_PT5_21rocsparse_index_base_b,comdat
	.globl	_ZN9rocsparseL20bsrxmvn_17_32_kernelILj23E21rocsparse_complex_numIdEliS2_S2_S2_EEvT2_20rocsparse_direction_NS_24const_host_device_scalarIT0_EES3_PKS3_PKT1_SC_S9_PKT3_PKT4_S7_PT5_21rocsparse_index_base_b ; -- Begin function _ZN9rocsparseL20bsrxmvn_17_32_kernelILj23E21rocsparse_complex_numIdEliS2_S2_S2_EEvT2_20rocsparse_direction_NS_24const_host_device_scalarIT0_EES3_PKS3_PKT1_SC_S9_PKT3_PKT4_S7_PT5_21rocsparse_index_base_b
	.p2align	8
	.type	_ZN9rocsparseL20bsrxmvn_17_32_kernelILj23E21rocsparse_complex_numIdEliS2_S2_S2_EEvT2_20rocsparse_direction_NS_24const_host_device_scalarIT0_EES3_PKS3_PKT1_SC_S9_PKT3_PKT4_S7_PT5_21rocsparse_index_base_b,@function
_ZN9rocsparseL20bsrxmvn_17_32_kernelILj23E21rocsparse_complex_numIdEliS2_S2_S2_EEvT2_20rocsparse_direction_NS_24const_host_device_scalarIT0_EES3_PKS3_PKT1_SC_S9_PKT3_PKT4_S7_PT5_21rocsparse_index_base_b: ; @_ZN9rocsparseL20bsrxmvn_17_32_kernelILj23E21rocsparse_complex_numIdEliS2_S2_S2_EEvT2_20rocsparse_direction_NS_24const_host_device_scalarIT0_EES3_PKS3_PKT1_SC_S9_PKT3_PKT4_S7_PT5_21rocsparse_index_base_b
; %bb.0:
	s_load_dwordx2 s[0:1], s[4:5], 0x8
	s_load_dwordx2 s[14:15], s[4:5], 0x68
	s_add_u32 s7, s4, 8
	s_addc_u32 s8, s5, 0
	s_add_u32 s9, s4, 0x50
	s_addc_u32 s10, s5, 0
	s_waitcnt lgkmcnt(0)
	s_bitcmp1_b32 s15, 0
	s_cselect_b32 s1, s8, s1
	s_cselect_b32 s0, s7, s0
	v_mov_b32_e32 v1, s0
	v_mov_b32_e32 v2, s1
	flat_load_dwordx4 v[5:8], v[1:2]
	s_load_dwordx2 s[2:3], s[4:5], 0x50
	s_waitcnt lgkmcnt(0)
	s_cselect_b32 s0, s10, s3
	s_cselect_b32 s1, s9, s2
	v_mov_b32_e32 v1, s1
	v_mov_b32_e32 v2, s0
	flat_load_dwordx4 v[1:4], v[1:2]
	s_waitcnt vmcnt(0)
	v_cmp_eq_f64_e32 vcc, 0, v[5:6]
	v_cmp_eq_f64_e64 s[0:1], 0, v[7:8]
	s_and_b64 s[8:9], vcc, s[0:1]
	s_mov_b64 s[0:1], -1
	s_and_saveexec_b64 s[2:3], s[8:9]
	s_cbranch_execz .LBB118_2
; %bb.1:
	s_waitcnt lgkmcnt(0)
	v_cmp_neq_f64_e32 vcc, 1.0, v[1:2]
	v_cmp_neq_f64_e64 s[0:1], 0, v[3:4]
	s_or_b64 s[0:1], vcc, s[0:1]
	s_orn2_b64 s[0:1], s[0:1], exec
.LBB118_2:
	s_or_b64 exec, exec, s[2:3]
	s_and_saveexec_b64 s[2:3], s[0:1]
	s_cbranch_execz .LBB118_39
; %bb.3:
	s_load_dwordx4 s[0:3], s[4:5], 0x20
	s_load_dwordx2 s[8:9], s[4:5], 0x30
	s_waitcnt lgkmcnt(0)
	s_cmp_eq_u64 s[0:1], 0
	s_cbranch_scc1 .LBB118_5
; %bb.4:
	s_ashr_i32 s7, s6, 31
	s_lshl_b64 s[6:7], s[6:7], 2
	s_add_u32 s0, s0, s6
	s_addc_u32 s1, s1, s7
	s_load_dword s0, s[0:1], 0x0
	s_waitcnt lgkmcnt(0)
	s_sub_i32 s6, s0, s14
.LBB118_5:
	s_load_dword s7, s[4:5], 0x4
	s_load_dwordx2 s[12:13], s[4:5], 0x60
	v_mul_u32_u24_e32 v13, 0xb22, v0
	v_mov_b32_e32 v9, 23
	v_mul_lo_u16_sdwa v9, v13, v9 dst_sel:DWORD dst_unused:UNUSED_PAD src0_sel:WORD_1 src1_sel:DWORD
	s_waitcnt lgkmcnt(0)
	s_cmp_eq_u32 s7, 1
	s_cselect_b64 s[0:1], -1, 0
	s_cmp_lg_u32 s7, 1
	s_cselect_b64 s[16:17], -1, 0
	s_ashr_i32 s7, s6, 31
	s_lshl_b64 s[10:11], s[6:7], 3
	s_add_u32 s2, s2, s10
	s_addc_u32 s3, s3, s11
	s_add_u32 s7, s2, 8
	s_addc_u32 s15, s3, 0
	;; [unrolled: 2-line block ×3, first 2 shown]
	s_cmp_eq_u64 s[8:9], 0
	s_cselect_b32 s9, s15, s11
	s_cselect_b32 s8, s7, s10
	s_load_dwordx2 s[18:19], s[8:9], 0x0
	s_load_dwordx2 s[20:21], s[2:3], 0x0
	v_sub_u16_e32 v21, v0, v9
	v_mov_b32_e32 v11, 0
	v_mov_b32_e32 v12, 0
	s_waitcnt lgkmcnt(0)
	v_mov_b32_e32 v9, s18
	v_mov_b32_e32 v10, s19
	v_cmp_ge_i64_e32 vcc, s[20:21], v[9:10]
	v_mov_b32_e32 v9, 0
	v_lshlrev_b32_e32 v20, 4, v0
	v_mov_b32_e32 v10, 0
	s_cbranch_vccnz .LBB118_10
; %bb.6:
	s_load_dwordx2 s[2:3], s[4:5], 0x48
	s_load_dwordx4 s[8:11], s[4:5], 0x38
	s_sub_u32 s4, s18, s14
	s_mov_b32 s7, 0xffff
	s_subb_u32 s5, s19, 0
	s_movk_i32 s15, 0x211
	v_and_b32_sdwa v9, s7, v13 dst_sel:DWORD dst_unused:UNUSED_PAD src0_sel:DWORD src1_sel:WORD_1
	v_subrev_u32_e32 v10, 23, v9
	v_cmp_gt_u32_e32 vcc, s15, v0
	s_sub_u32 s18, s20, s14
	v_cndmask_b32_e32 v9, v10, v9, vcc
	s_subb_u32 s19, s21, 0
	v_cndmask_b32_e64 v13, v21, v9, s[0:1]
	s_mul_i32 s0, s19, 0x2110
	s_mul_hi_u32 s1, s18, 0x2110
	s_add_i32 s1, s1, s0
	s_mul_i32 s0, s18, 0x2110
	s_waitcnt lgkmcnt(0)
	s_add_u32 s0, s10, s0
	s_addc_u32 s1, s11, s1
	v_mov_b32_e32 v9, s1
	v_add_co_u32_e32 v14, vcc, s0, v20
	v_addc_co_u32_e32 v15, vcc, 0, v9, vcc
	s_movk_i32 s0, 0x210
	v_cmp_lt_u32_e32 vcc, s0, v0
	v_cndmask_b32_e64 v22, 0, 1, vcc
	v_mov_b32_e32 v9, s21
	v_add_co_u32_e32 v10, vcc, s20, v22
	v_addc_co_u32_e32 v11, vcc, 0, v9, vcc
	v_subrev_co_u32_e32 v9, vcc, s14, v10
	v_subbrev_co_u32_e32 v10, vcc, 0, v11, vcc
	v_lshlrev_b64 v[9:10], 2, v[9:10]
	v_mov_b32_e32 v11, s9
	v_add_co_u32_e32 v16, vcc, s8, v9
	v_addc_co_u32_e32 v17, vcc, v11, v10, vcc
	v_mov_b32_e32 v11, 0
	v_mov_b32_e32 v12, 0
	;; [unrolled: 1-line block ×6, first 2 shown]
	s_branch .LBB118_8
.LBB118_7:                              ;   in Loop: Header=BB118_8 Depth=1
	s_or_b64 exec, exec, s[0:1]
	s_add_u32 s18, s18, 1
	s_addc_u32 s19, s19, 0
	v_cmp_lt_i64_e32 vcc, s[18:19], v[18:19]
	v_add_co_u32_e64 v16, s[0:1], 4, v16
	v_addc_co_u32_e64 v17, s[0:1], 0, v17, s[0:1]
	s_cbranch_vccz .LBB118_10
.LBB118_8:                              ; =>This Inner Loop Header: Depth=1
	v_mov_b32_e32 v24, s19
	v_add_co_u32_e32 v23, vcc, s18, v22
	v_addc_co_u32_e32 v24, vcc, 0, v24, vcc
	v_cmp_gt_i64_e32 vcc, s[4:5], v[23:24]
	s_and_saveexec_b64 s[0:1], vcc
	s_cbranch_execz .LBB118_7
; %bb.9:                                ;   in Loop: Header=BB118_8 Depth=1
	global_load_dword v23, v[16:17], off
	v_mov_b32_e32 v29, s3
	s_waitcnt vmcnt(0)
	v_subrev_u32_e32 v23, s14, v23
	v_mad_u64_u32 v[27:28], s[8:9], v23, 23, v[13:14]
	global_load_dwordx4 v[23:26], v[14:15], off
	v_ashrrev_i32_e32 v28, 31, v27
	v_lshlrev_b64 v[27:28], 4, v[27:28]
	v_add_co_u32_e32 v27, vcc, s2, v27
	v_addc_co_u32_e32 v28, vcc, v29, v28, vcc
	global_load_dwordx4 v[27:30], v[27:28], off
	v_add_co_u32_e32 v14, vcc, 0x2110, v14
	v_addc_co_u32_e32 v15, vcc, 0, v15, vcc
	s_waitcnt vmcnt(0)
	v_fma_f64 v[9:10], v[23:24], v[27:28], v[9:10]
	v_fma_f64 v[11:12], v[25:26], v[27:28], v[11:12]
	v_fma_f64 v[9:10], -v[25:26], v[29:30], v[9:10]
	v_fma_f64 v[11:12], v[23:24], v[29:30], v[11:12]
	s_branch .LBB118_7
.LBB118_10:
	s_and_b64 vcc, exec, s[16:17]
	ds_write_b128 v20, v[9:12]
	s_waitcnt lgkmcnt(0)
	s_barrier
	s_cbranch_vccz .LBB118_22
; %bb.11:
	v_cmp_gt_u16_e32 vcc, 7, v21
	s_and_saveexec_b64 s[0:1], vcc
	s_cbranch_execz .LBB118_13
; %bb.12:
	ds_read_b128 v[13:16], v20 offset:256
	ds_read_b128 v[22:25], v20
	s_waitcnt lgkmcnt(0)
	v_add_f64 v[13:14], v[13:14], v[22:23]
	v_add_f64 v[15:16], v[15:16], v[24:25]
	ds_write_b128 v20, v[13:16]
.LBB118_13:
	s_or_b64 exec, exec, s[0:1]
	v_cmp_gt_u16_e32 vcc, 8, v21
	s_waitcnt lgkmcnt(0)
	s_barrier
	s_and_saveexec_b64 s[0:1], vcc
	s_cbranch_execz .LBB118_15
; %bb.14:
	ds_read_b128 v[13:16], v20 offset:128
	ds_read_b128 v[22:25], v20
	s_waitcnt lgkmcnt(0)
	v_add_f64 v[13:14], v[13:14], v[22:23]
	v_add_f64 v[15:16], v[15:16], v[24:25]
	ds_write_b128 v20, v[13:16]
.LBB118_15:
	s_or_b64 exec, exec, s[0:1]
	v_cmp_gt_u16_e32 vcc, 4, v21
	s_waitcnt lgkmcnt(0)
	s_barrier
	;; [unrolled: 14-line block ×3, first 2 shown]
	s_and_saveexec_b64 s[0:1], vcc
	s_cbranch_execz .LBB118_19
; %bb.18:
	ds_read_b128 v[13:16], v20
	ds_read_b128 v[21:24], v20 offset:32
	s_waitcnt lgkmcnt(0)
	v_add_f64 v[13:14], v[21:22], v[13:14]
	v_add_f64 v[15:16], v[23:24], v[15:16]
	ds_write_b128 v20, v[13:16]
.LBB118_19:
	s_or_b64 exec, exec, s[0:1]
	v_mov_b32_e32 v16, v12
	v_mov_b32_e32 v14, v10
	v_cmp_gt_u32_e32 vcc, 23, v0
	v_mov_b32_e32 v15, v11
	v_mov_b32_e32 v13, v9
	s_waitcnt lgkmcnt(0)
	s_barrier
	s_and_saveexec_b64 s[0:1], vcc
	s_cbranch_execz .LBB118_21
; %bb.20:
	s_movk_i32 s2, 0x160
	v_mad_u32_u24 v17, v0, s2, v20
	ds_read_b128 v[13:16], v17
	ds_read_b128 v[21:24], v17 offset:16
	s_waitcnt lgkmcnt(0)
	v_add_f64 v[13:14], v[21:22], v[13:14]
	v_add_f64 v[15:16], v[23:24], v[15:16]
.LBB118_21:
	s_or_b64 exec, exec, s[0:1]
	s_branch .LBB118_34
.LBB118_22:
                                        ; implicit-def: $vgpr15_vgpr16
                                        ; implicit-def: $vgpr13_vgpr14
	s_cbranch_execz .LBB118_34
; %bb.23:
	s_movk_i32 s0, 0xa1
	v_cmp_gt_u32_e32 vcc, s0, v0
	s_and_saveexec_b64 s[0:1], vcc
	s_cbranch_execz .LBB118_25
; %bb.24:
	ds_read_b128 v[13:16], v20 offset:5888
	ds_read_b128 v[21:24], v20
	s_waitcnt lgkmcnt(0)
	v_add_f64 v[13:14], v[13:14], v[21:22]
	v_add_f64 v[15:16], v[15:16], v[23:24]
	ds_write_b128 v20, v[13:16]
.LBB118_25:
	s_or_b64 exec, exec, s[0:1]
	s_movk_i32 s0, 0xb8
	v_cmp_gt_u32_e32 vcc, s0, v0
	s_waitcnt lgkmcnt(0)
	s_barrier
	s_and_saveexec_b64 s[0:1], vcc
	s_cbranch_execz .LBB118_27
; %bb.26:
	ds_read_b128 v[13:16], v20 offset:2944
	ds_read_b128 v[21:24], v20
	s_waitcnt lgkmcnt(0)
	v_add_f64 v[13:14], v[13:14], v[21:22]
	v_add_f64 v[15:16], v[15:16], v[23:24]
	ds_write_b128 v20, v[13:16]
.LBB118_27:
	s_or_b64 exec, exec, s[0:1]
	s_movk_i32 s0, 0x5c
	v_cmp_gt_u32_e32 vcc, s0, v0
	s_waitcnt lgkmcnt(0)
	s_barrier
	s_and_saveexec_b64 s[0:1], vcc
	s_cbranch_execz .LBB118_29
; %bb.28:
	ds_read_b128 v[13:16], v20 offset:1472
	ds_read_b128 v[21:24], v20
	s_waitcnt lgkmcnt(0)
	v_add_f64 v[13:14], v[13:14], v[21:22]
	v_add_f64 v[15:16], v[15:16], v[23:24]
	ds_write_b128 v20, v[13:16]
.LBB118_29:
	s_or_b64 exec, exec, s[0:1]
	v_cmp_gt_u32_e32 vcc, 46, v0
	s_waitcnt lgkmcnt(0)
	s_barrier
	s_and_saveexec_b64 s[0:1], vcc
	s_cbranch_execz .LBB118_31
; %bb.30:
	ds_read_b128 v[13:16], v20 offset:736
	ds_read_b128 v[21:24], v20
	s_waitcnt lgkmcnt(0)
	v_add_f64 v[13:14], v[13:14], v[21:22]
	v_add_f64 v[15:16], v[15:16], v[23:24]
	ds_write_b128 v20, v[13:16]
.LBB118_31:
	s_or_b64 exec, exec, s[0:1]
	v_cmp_gt_u32_e32 vcc, 23, v0
	s_waitcnt lgkmcnt(0)
	s_and_saveexec_b64 s[0:1], vcc
	s_cbranch_execz .LBB118_33
; %bb.32:
	ds_read_b128 v[9:12], v20 offset:368
	ds_read_b128 v[13:16], v20
	s_waitcnt lgkmcnt(0)
	v_add_f64 v[9:10], v[9:10], v[13:14]
	v_add_f64 v[11:12], v[11:12], v[15:16]
.LBB118_33:
	s_or_b64 exec, exec, s[0:1]
	v_mov_b32_e32 v16, v12
	v_mov_b32_e32 v14, v10
	;; [unrolled: 1-line block ×4, first 2 shown]
.LBB118_34:
	v_cmp_gt_u32_e32 vcc, 23, v0
	s_and_b64 exec, exec, vcc
	s_cbranch_execz .LBB118_39
; %bb.35:
	v_mul_f64 v[9:10], v[15:16], -v[7:8]
	v_mul_f64 v[11:12], v[5:6], v[15:16]
	v_cmp_eq_f64_e32 vcc, 0, v[1:2]
	v_cmp_eq_f64_e64 s[0:1], 0, v[3:4]
	v_fma_f64 v[5:6], v[5:6], v[13:14], v[9:10]
	v_fma_f64 v[7:8], v[7:8], v[13:14], v[11:12]
	s_and_b64 s[0:1], vcc, s[0:1]
	s_and_saveexec_b64 s[2:3], s[0:1]
	s_xor_b64 s[0:1], exec, s[2:3]
	s_cbranch_execz .LBB118_37
; %bb.36:
	v_mad_u64_u32 v[0:1], s[2:3], s6, 23, v[0:1]
	v_mov_b32_e32 v1, 0
	v_mov_b32_e32 v2, s13
	v_lshlrev_b64 v[0:1], 4, v[0:1]
	v_add_co_u32_e32 v0, vcc, s12, v0
	v_addc_co_u32_e32 v1, vcc, v2, v1, vcc
	global_store_dwordx4 v[0:1], v[5:8], off
                                        ; implicit-def: $vgpr0
                                        ; implicit-def: $vgpr1_vgpr2
                                        ; implicit-def: $vgpr5_vgpr6
.LBB118_37:
	s_andn2_saveexec_b64 s[0:1], s[0:1]
	s_cbranch_execz .LBB118_39
; %bb.38:
	v_mad_u64_u32 v[9:10], s[0:1], s6, 23, v[0:1]
	v_mov_b32_e32 v10, 0
	v_mov_b32_e32 v0, s13
	v_lshlrev_b64 v[9:10], 4, v[9:10]
	v_add_co_u32_e32 v13, vcc, s12, v9
	v_addc_co_u32_e32 v14, vcc, v0, v10, vcc
	global_load_dwordx4 v[9:12], v[13:14], off
	s_waitcnt vmcnt(0)
	v_fma_f64 v[5:6], v[1:2], v[9:10], v[5:6]
	v_fma_f64 v[7:8], v[3:4], v[9:10], v[7:8]
	v_fma_f64 v[3:4], -v[3:4], v[11:12], v[5:6]
	v_fma_f64 v[5:6], v[1:2], v[11:12], v[7:8]
	global_store_dwordx4 v[13:14], v[3:6], off
.LBB118_39:
	s_endpgm
	.section	.rodata,"a",@progbits
	.p2align	6, 0x0
	.amdhsa_kernel _ZN9rocsparseL20bsrxmvn_17_32_kernelILj23E21rocsparse_complex_numIdEliS2_S2_S2_EEvT2_20rocsparse_direction_NS_24const_host_device_scalarIT0_EES3_PKS3_PKT1_SC_S9_PKT3_PKT4_S7_PT5_21rocsparse_index_base_b
		.amdhsa_group_segment_fixed_size 8464
		.amdhsa_private_segment_fixed_size 0
		.amdhsa_kernarg_size 112
		.amdhsa_user_sgpr_count 6
		.amdhsa_user_sgpr_private_segment_buffer 1
		.amdhsa_user_sgpr_dispatch_ptr 0
		.amdhsa_user_sgpr_queue_ptr 0
		.amdhsa_user_sgpr_kernarg_segment_ptr 1
		.amdhsa_user_sgpr_dispatch_id 0
		.amdhsa_user_sgpr_flat_scratch_init 0
		.amdhsa_user_sgpr_private_segment_size 0
		.amdhsa_uses_dynamic_stack 0
		.amdhsa_system_sgpr_private_segment_wavefront_offset 0
		.amdhsa_system_sgpr_workgroup_id_x 1
		.amdhsa_system_sgpr_workgroup_id_y 0
		.amdhsa_system_sgpr_workgroup_id_z 0
		.amdhsa_system_sgpr_workgroup_info 0
		.amdhsa_system_vgpr_workitem_id 0
		.amdhsa_next_free_vgpr 31
		.amdhsa_next_free_sgpr 61
		.amdhsa_reserve_vcc 1
		.amdhsa_reserve_flat_scratch 0
		.amdhsa_float_round_mode_32 0
		.amdhsa_float_round_mode_16_64 0
		.amdhsa_float_denorm_mode_32 3
		.amdhsa_float_denorm_mode_16_64 3
		.amdhsa_dx10_clamp 1
		.amdhsa_ieee_mode 1
		.amdhsa_fp16_overflow 0
		.amdhsa_exception_fp_ieee_invalid_op 0
		.amdhsa_exception_fp_denorm_src 0
		.amdhsa_exception_fp_ieee_div_zero 0
		.amdhsa_exception_fp_ieee_overflow 0
		.amdhsa_exception_fp_ieee_underflow 0
		.amdhsa_exception_fp_ieee_inexact 0
		.amdhsa_exception_int_div_zero 0
	.end_amdhsa_kernel
	.section	.text._ZN9rocsparseL20bsrxmvn_17_32_kernelILj23E21rocsparse_complex_numIdEliS2_S2_S2_EEvT2_20rocsparse_direction_NS_24const_host_device_scalarIT0_EES3_PKS3_PKT1_SC_S9_PKT3_PKT4_S7_PT5_21rocsparse_index_base_b,"axG",@progbits,_ZN9rocsparseL20bsrxmvn_17_32_kernelILj23E21rocsparse_complex_numIdEliS2_S2_S2_EEvT2_20rocsparse_direction_NS_24const_host_device_scalarIT0_EES3_PKS3_PKT1_SC_S9_PKT3_PKT4_S7_PT5_21rocsparse_index_base_b,comdat
.Lfunc_end118:
	.size	_ZN9rocsparseL20bsrxmvn_17_32_kernelILj23E21rocsparse_complex_numIdEliS2_S2_S2_EEvT2_20rocsparse_direction_NS_24const_host_device_scalarIT0_EES3_PKS3_PKT1_SC_S9_PKT3_PKT4_S7_PT5_21rocsparse_index_base_b, .Lfunc_end118-_ZN9rocsparseL20bsrxmvn_17_32_kernelILj23E21rocsparse_complex_numIdEliS2_S2_S2_EEvT2_20rocsparse_direction_NS_24const_host_device_scalarIT0_EES3_PKS3_PKT1_SC_S9_PKT3_PKT4_S7_PT5_21rocsparse_index_base_b
                                        ; -- End function
	.set _ZN9rocsparseL20bsrxmvn_17_32_kernelILj23E21rocsparse_complex_numIdEliS2_S2_S2_EEvT2_20rocsparse_direction_NS_24const_host_device_scalarIT0_EES3_PKS3_PKT1_SC_S9_PKT3_PKT4_S7_PT5_21rocsparse_index_base_b.num_vgpr, 31
	.set _ZN9rocsparseL20bsrxmvn_17_32_kernelILj23E21rocsparse_complex_numIdEliS2_S2_S2_EEvT2_20rocsparse_direction_NS_24const_host_device_scalarIT0_EES3_PKS3_PKT1_SC_S9_PKT3_PKT4_S7_PT5_21rocsparse_index_base_b.num_agpr, 0
	.set _ZN9rocsparseL20bsrxmvn_17_32_kernelILj23E21rocsparse_complex_numIdEliS2_S2_S2_EEvT2_20rocsparse_direction_NS_24const_host_device_scalarIT0_EES3_PKS3_PKT1_SC_S9_PKT3_PKT4_S7_PT5_21rocsparse_index_base_b.numbered_sgpr, 22
	.set _ZN9rocsparseL20bsrxmvn_17_32_kernelILj23E21rocsparse_complex_numIdEliS2_S2_S2_EEvT2_20rocsparse_direction_NS_24const_host_device_scalarIT0_EES3_PKS3_PKT1_SC_S9_PKT3_PKT4_S7_PT5_21rocsparse_index_base_b.num_named_barrier, 0
	.set _ZN9rocsparseL20bsrxmvn_17_32_kernelILj23E21rocsparse_complex_numIdEliS2_S2_S2_EEvT2_20rocsparse_direction_NS_24const_host_device_scalarIT0_EES3_PKS3_PKT1_SC_S9_PKT3_PKT4_S7_PT5_21rocsparse_index_base_b.private_seg_size, 0
	.set _ZN9rocsparseL20bsrxmvn_17_32_kernelILj23E21rocsparse_complex_numIdEliS2_S2_S2_EEvT2_20rocsparse_direction_NS_24const_host_device_scalarIT0_EES3_PKS3_PKT1_SC_S9_PKT3_PKT4_S7_PT5_21rocsparse_index_base_b.uses_vcc, 1
	.set _ZN9rocsparseL20bsrxmvn_17_32_kernelILj23E21rocsparse_complex_numIdEliS2_S2_S2_EEvT2_20rocsparse_direction_NS_24const_host_device_scalarIT0_EES3_PKS3_PKT1_SC_S9_PKT3_PKT4_S7_PT5_21rocsparse_index_base_b.uses_flat_scratch, 0
	.set _ZN9rocsparseL20bsrxmvn_17_32_kernelILj23E21rocsparse_complex_numIdEliS2_S2_S2_EEvT2_20rocsparse_direction_NS_24const_host_device_scalarIT0_EES3_PKS3_PKT1_SC_S9_PKT3_PKT4_S7_PT5_21rocsparse_index_base_b.has_dyn_sized_stack, 0
	.set _ZN9rocsparseL20bsrxmvn_17_32_kernelILj23E21rocsparse_complex_numIdEliS2_S2_S2_EEvT2_20rocsparse_direction_NS_24const_host_device_scalarIT0_EES3_PKS3_PKT1_SC_S9_PKT3_PKT4_S7_PT5_21rocsparse_index_base_b.has_recursion, 0
	.set _ZN9rocsparseL20bsrxmvn_17_32_kernelILj23E21rocsparse_complex_numIdEliS2_S2_S2_EEvT2_20rocsparse_direction_NS_24const_host_device_scalarIT0_EES3_PKS3_PKT1_SC_S9_PKT3_PKT4_S7_PT5_21rocsparse_index_base_b.has_indirect_call, 0
	.section	.AMDGPU.csdata,"",@progbits
; Kernel info:
; codeLenInByte = 1716
; TotalNumSgprs: 26
; NumVgprs: 31
; ScratchSize: 0
; MemoryBound: 0
; FloatMode: 240
; IeeeMode: 1
; LDSByteSize: 8464 bytes/workgroup (compile time only)
; SGPRBlocks: 8
; VGPRBlocks: 7
; NumSGPRsForWavesPerEU: 65
; NumVGPRsForWavesPerEU: 31
; Occupancy: 8
; WaveLimiterHint : 1
; COMPUTE_PGM_RSRC2:SCRATCH_EN: 0
; COMPUTE_PGM_RSRC2:USER_SGPR: 6
; COMPUTE_PGM_RSRC2:TRAP_HANDLER: 0
; COMPUTE_PGM_RSRC2:TGID_X_EN: 1
; COMPUTE_PGM_RSRC2:TGID_Y_EN: 0
; COMPUTE_PGM_RSRC2:TGID_Z_EN: 0
; COMPUTE_PGM_RSRC2:TIDIG_COMP_CNT: 0
	.section	.text._ZN9rocsparseL20bsrxmvn_17_32_kernelILj24E21rocsparse_complex_numIdEliS2_S2_S2_EEvT2_20rocsparse_direction_NS_24const_host_device_scalarIT0_EES3_PKS3_PKT1_SC_S9_PKT3_PKT4_S7_PT5_21rocsparse_index_base_b,"axG",@progbits,_ZN9rocsparseL20bsrxmvn_17_32_kernelILj24E21rocsparse_complex_numIdEliS2_S2_S2_EEvT2_20rocsparse_direction_NS_24const_host_device_scalarIT0_EES3_PKS3_PKT1_SC_S9_PKT3_PKT4_S7_PT5_21rocsparse_index_base_b,comdat
	.globl	_ZN9rocsparseL20bsrxmvn_17_32_kernelILj24E21rocsparse_complex_numIdEliS2_S2_S2_EEvT2_20rocsparse_direction_NS_24const_host_device_scalarIT0_EES3_PKS3_PKT1_SC_S9_PKT3_PKT4_S7_PT5_21rocsparse_index_base_b ; -- Begin function _ZN9rocsparseL20bsrxmvn_17_32_kernelILj24E21rocsparse_complex_numIdEliS2_S2_S2_EEvT2_20rocsparse_direction_NS_24const_host_device_scalarIT0_EES3_PKS3_PKT1_SC_S9_PKT3_PKT4_S7_PT5_21rocsparse_index_base_b
	.p2align	8
	.type	_ZN9rocsparseL20bsrxmvn_17_32_kernelILj24E21rocsparse_complex_numIdEliS2_S2_S2_EEvT2_20rocsparse_direction_NS_24const_host_device_scalarIT0_EES3_PKS3_PKT1_SC_S9_PKT3_PKT4_S7_PT5_21rocsparse_index_base_b,@function
_ZN9rocsparseL20bsrxmvn_17_32_kernelILj24E21rocsparse_complex_numIdEliS2_S2_S2_EEvT2_20rocsparse_direction_NS_24const_host_device_scalarIT0_EES3_PKS3_PKT1_SC_S9_PKT3_PKT4_S7_PT5_21rocsparse_index_base_b: ; @_ZN9rocsparseL20bsrxmvn_17_32_kernelILj24E21rocsparse_complex_numIdEliS2_S2_S2_EEvT2_20rocsparse_direction_NS_24const_host_device_scalarIT0_EES3_PKS3_PKT1_SC_S9_PKT3_PKT4_S7_PT5_21rocsparse_index_base_b
; %bb.0:
	s_load_dwordx2 s[0:1], s[4:5], 0x8
	s_load_dwordx2 s[14:15], s[4:5], 0x68
	s_add_u32 s7, s4, 8
	s_addc_u32 s8, s5, 0
	s_add_u32 s9, s4, 0x50
	s_addc_u32 s10, s5, 0
	s_waitcnt lgkmcnt(0)
	s_bitcmp1_b32 s15, 0
	s_cselect_b32 s1, s8, s1
	s_cselect_b32 s0, s7, s0
	v_mov_b32_e32 v1, s0
	v_mov_b32_e32 v2, s1
	flat_load_dwordx4 v[5:8], v[1:2]
	s_load_dwordx2 s[2:3], s[4:5], 0x50
	s_waitcnt lgkmcnt(0)
	s_cselect_b32 s0, s10, s3
	s_cselect_b32 s1, s9, s2
	v_mov_b32_e32 v1, s1
	v_mov_b32_e32 v2, s0
	flat_load_dwordx4 v[1:4], v[1:2]
	s_waitcnt vmcnt(0)
	v_cmp_eq_f64_e32 vcc, 0, v[5:6]
	v_cmp_eq_f64_e64 s[0:1], 0, v[7:8]
	s_and_b64 s[8:9], vcc, s[0:1]
	s_mov_b64 s[0:1], -1
	s_and_saveexec_b64 s[2:3], s[8:9]
	s_cbranch_execz .LBB119_2
; %bb.1:
	s_waitcnt lgkmcnt(0)
	v_cmp_neq_f64_e32 vcc, 1.0, v[1:2]
	v_cmp_neq_f64_e64 s[0:1], 0, v[3:4]
	s_or_b64 s[0:1], vcc, s[0:1]
	s_orn2_b64 s[0:1], s[0:1], exec
.LBB119_2:
	s_or_b64 exec, exec, s[2:3]
	s_and_saveexec_b64 s[2:3], s[0:1]
	s_cbranch_execz .LBB119_39
; %bb.3:
	s_load_dwordx4 s[0:3], s[4:5], 0x20
	s_load_dwordx2 s[8:9], s[4:5], 0x30
	s_waitcnt lgkmcnt(0)
	s_cmp_eq_u64 s[0:1], 0
	s_cbranch_scc1 .LBB119_5
; %bb.4:
	s_ashr_i32 s7, s6, 31
	s_lshl_b64 s[6:7], s[6:7], 2
	s_add_u32 s0, s0, s6
	s_addc_u32 s1, s1, s7
	s_load_dword s0, s[0:1], 0x0
	s_waitcnt lgkmcnt(0)
	s_sub_i32 s6, s0, s14
.LBB119_5:
	s_load_dword s7, s[4:5], 0x4
	s_load_dwordx2 s[12:13], s[4:5], 0x60
	v_mul_u32_u24_e32 v13, 0xaab, v0
	v_mov_b32_e32 v9, 24
	v_mul_lo_u16_sdwa v9, v13, v9 dst_sel:DWORD dst_unused:UNUSED_PAD src0_sel:WORD_1 src1_sel:DWORD
	s_waitcnt lgkmcnt(0)
	s_cmp_eq_u32 s7, 1
	s_cselect_b64 s[0:1], -1, 0
	s_cmp_lg_u32 s7, 1
	s_cselect_b64 s[16:17], -1, 0
	s_ashr_i32 s7, s6, 31
	s_lshl_b64 s[10:11], s[6:7], 3
	s_add_u32 s2, s2, s10
	s_addc_u32 s3, s3, s11
	s_add_u32 s7, s2, 8
	s_addc_u32 s15, s3, 0
	;; [unrolled: 2-line block ×3, first 2 shown]
	s_cmp_eq_u64 s[8:9], 0
	s_cselect_b32 s9, s15, s11
	s_cselect_b32 s8, s7, s10
	s_load_dwordx2 s[18:19], s[8:9], 0x0
	s_load_dwordx2 s[20:21], s[2:3], 0x0
	v_sub_u16_e32 v21, v0, v9
	v_mov_b32_e32 v11, 0
	v_mov_b32_e32 v12, 0
	s_waitcnt lgkmcnt(0)
	v_mov_b32_e32 v9, s18
	v_mov_b32_e32 v10, s19
	v_cmp_ge_i64_e32 vcc, s[20:21], v[9:10]
	v_mov_b32_e32 v9, 0
	v_lshlrev_b32_e32 v20, 4, v0
	v_mov_b32_e32 v10, 0
	s_cbranch_vccnz .LBB119_10
; %bb.6:
	s_load_dwordx2 s[2:3], s[4:5], 0x48
	s_load_dwordx4 s[8:11], s[4:5], 0x38
	s_sub_u32 s4, s18, s14
	s_mov_b32 s7, 0xffff
	s_subb_u32 s5, s19, 0
	s_movk_i32 s15, 0x240
	v_and_b32_sdwa v9, s7, v13 dst_sel:DWORD dst_unused:UNUSED_PAD src0_sel:DWORD src1_sel:WORD_1
	v_subrev_u32_e32 v10, 24, v9
	v_cmp_gt_u32_e32 vcc, s15, v0
	s_sub_u32 s18, s20, s14
	v_cndmask_b32_e32 v9, v10, v9, vcc
	s_subb_u32 s19, s21, 0
	v_cndmask_b32_e64 v13, v21, v9, s[0:1]
	s_mul_i32 s0, s19, 0x2400
	s_mul_hi_u32 s1, s18, 0x2400
	s_add_i32 s1, s1, s0
	s_mul_i32 s0, s18, 0x2400
	s_waitcnt lgkmcnt(0)
	s_add_u32 s0, s10, s0
	s_addc_u32 s1, s11, s1
	v_mov_b32_e32 v9, s1
	v_add_co_u32_e32 v14, vcc, s0, v20
	v_addc_co_u32_e32 v15, vcc, 0, v9, vcc
	s_movk_i32 s0, 0x23f
	v_cmp_lt_u32_e32 vcc, s0, v0
	v_cndmask_b32_e64 v22, 0, 1, vcc
	v_mov_b32_e32 v9, s21
	v_add_co_u32_e32 v10, vcc, s20, v22
	v_addc_co_u32_e32 v11, vcc, 0, v9, vcc
	v_subrev_co_u32_e32 v9, vcc, s14, v10
	v_subbrev_co_u32_e32 v10, vcc, 0, v11, vcc
	v_lshlrev_b64 v[9:10], 2, v[9:10]
	v_mov_b32_e32 v11, s9
	v_add_co_u32_e32 v16, vcc, s8, v9
	v_addc_co_u32_e32 v17, vcc, v11, v10, vcc
	v_mov_b32_e32 v11, 0
	v_mov_b32_e32 v12, 0
	;; [unrolled: 1-line block ×6, first 2 shown]
	s_branch .LBB119_8
.LBB119_7:                              ;   in Loop: Header=BB119_8 Depth=1
	s_or_b64 exec, exec, s[0:1]
	s_add_u32 s18, s18, 1
	s_addc_u32 s19, s19, 0
	v_cmp_lt_i64_e32 vcc, s[18:19], v[18:19]
	v_add_co_u32_e64 v16, s[0:1], 4, v16
	v_addc_co_u32_e64 v17, s[0:1], 0, v17, s[0:1]
	s_cbranch_vccz .LBB119_10
.LBB119_8:                              ; =>This Inner Loop Header: Depth=1
	v_mov_b32_e32 v24, s19
	v_add_co_u32_e32 v23, vcc, s18, v22
	v_addc_co_u32_e32 v24, vcc, 0, v24, vcc
	v_cmp_gt_i64_e32 vcc, s[4:5], v[23:24]
	s_and_saveexec_b64 s[0:1], vcc
	s_cbranch_execz .LBB119_7
; %bb.9:                                ;   in Loop: Header=BB119_8 Depth=1
	global_load_dword v23, v[16:17], off
	v_mov_b32_e32 v29, s3
	s_waitcnt vmcnt(0)
	v_subrev_u32_e32 v23, s14, v23
	v_mad_u64_u32 v[27:28], s[8:9], v23, 24, v[13:14]
	global_load_dwordx4 v[23:26], v[14:15], off
	v_ashrrev_i32_e32 v28, 31, v27
	v_lshlrev_b64 v[27:28], 4, v[27:28]
	v_add_co_u32_e32 v27, vcc, s2, v27
	v_addc_co_u32_e32 v28, vcc, v29, v28, vcc
	global_load_dwordx4 v[27:30], v[27:28], off
	v_add_co_u32_e32 v14, vcc, 0x2400, v14
	v_addc_co_u32_e32 v15, vcc, 0, v15, vcc
	s_waitcnt vmcnt(0)
	v_fma_f64 v[9:10], v[23:24], v[27:28], v[9:10]
	v_fma_f64 v[11:12], v[25:26], v[27:28], v[11:12]
	v_fma_f64 v[9:10], -v[25:26], v[29:30], v[9:10]
	v_fma_f64 v[11:12], v[23:24], v[29:30], v[11:12]
	s_branch .LBB119_7
.LBB119_10:
	s_and_b64 vcc, exec, s[16:17]
	ds_write_b128 v20, v[9:12]
	s_waitcnt lgkmcnt(0)
	s_barrier
	s_cbranch_vccz .LBB119_22
; %bb.11:
	v_cmp_gt_u16_e32 vcc, 8, v21
	s_and_saveexec_b64 s[0:1], vcc
	s_cbranch_execz .LBB119_13
; %bb.12:
	ds_read_b128 v[13:16], v20 offset:256
	ds_read_b128 v[22:25], v20
	s_waitcnt lgkmcnt(0)
	v_add_f64 v[13:14], v[13:14], v[22:23]
	v_add_f64 v[15:16], v[15:16], v[24:25]
	ds_write_b128 v20, v[13:16]
.LBB119_13:
	s_or_b64 exec, exec, s[0:1]
	s_waitcnt lgkmcnt(0)
	s_barrier
	s_and_saveexec_b64 s[0:1], vcc
	s_cbranch_execz .LBB119_15
; %bb.14:
	ds_read_b128 v[13:16], v20 offset:128
	ds_read_b128 v[22:25], v20
	s_waitcnt lgkmcnt(0)
	v_add_f64 v[13:14], v[13:14], v[22:23]
	v_add_f64 v[15:16], v[15:16], v[24:25]
	ds_write_b128 v20, v[13:16]
.LBB119_15:
	s_or_b64 exec, exec, s[0:1]
	v_cmp_gt_u16_e32 vcc, 4, v21
	s_waitcnt lgkmcnt(0)
	s_barrier
	s_and_saveexec_b64 s[0:1], vcc
	s_cbranch_execz .LBB119_17
; %bb.16:
	ds_read_b128 v[13:16], v20 offset:64
	ds_read_b128 v[22:25], v20
	s_waitcnt lgkmcnt(0)
	v_add_f64 v[13:14], v[13:14], v[22:23]
	v_add_f64 v[15:16], v[15:16], v[24:25]
	ds_write_b128 v20, v[13:16]
.LBB119_17:
	s_or_b64 exec, exec, s[0:1]
	v_cmp_gt_u16_e32 vcc, 2, v21
	s_waitcnt lgkmcnt(0)
	s_barrier
	s_and_saveexec_b64 s[0:1], vcc
	s_cbranch_execz .LBB119_19
; %bb.18:
	ds_read_b128 v[13:16], v20
	ds_read_b128 v[21:24], v20 offset:32
	s_waitcnt lgkmcnt(0)
	v_add_f64 v[13:14], v[21:22], v[13:14]
	v_add_f64 v[15:16], v[23:24], v[15:16]
	ds_write_b128 v20, v[13:16]
.LBB119_19:
	s_or_b64 exec, exec, s[0:1]
	v_mov_b32_e32 v16, v12
	v_mov_b32_e32 v14, v10
	v_cmp_gt_u32_e32 vcc, 24, v0
	v_mov_b32_e32 v15, v11
	v_mov_b32_e32 v13, v9
	s_waitcnt lgkmcnt(0)
	s_barrier
	s_and_saveexec_b64 s[0:1], vcc
	s_cbranch_execz .LBB119_21
; %bb.20:
	s_movk_i32 s2, 0x170
	v_mad_u32_u24 v17, v0, s2, v20
	ds_read_b128 v[13:16], v17
	ds_read_b128 v[21:24], v17 offset:16
	s_waitcnt lgkmcnt(0)
	v_add_f64 v[13:14], v[21:22], v[13:14]
	v_add_f64 v[15:16], v[23:24], v[15:16]
.LBB119_21:
	s_or_b64 exec, exec, s[0:1]
	s_branch .LBB119_34
.LBB119_22:
                                        ; implicit-def: $vgpr15_vgpr16
                                        ; implicit-def: $vgpr13_vgpr14
	s_cbranch_execz .LBB119_34
; %bb.23:
	s_movk_i32 s0, 0xc0
	v_cmp_gt_u32_e32 vcc, s0, v0
	s_and_saveexec_b64 s[0:1], vcc
	s_cbranch_execz .LBB119_25
; %bb.24:
	ds_read_b128 v[13:16], v20 offset:6144
	ds_read_b128 v[21:24], v20
	s_waitcnt lgkmcnt(0)
	v_add_f64 v[13:14], v[13:14], v[21:22]
	v_add_f64 v[15:16], v[15:16], v[23:24]
	ds_write_b128 v20, v[13:16]
.LBB119_25:
	s_or_b64 exec, exec, s[0:1]
	s_waitcnt lgkmcnt(0)
	s_barrier
	s_and_saveexec_b64 s[0:1], vcc
	s_cbranch_execz .LBB119_27
; %bb.26:
	ds_read_b128 v[13:16], v20 offset:3072
	ds_read_b128 v[21:24], v20
	s_waitcnt lgkmcnt(0)
	v_add_f64 v[13:14], v[13:14], v[21:22]
	v_add_f64 v[15:16], v[15:16], v[23:24]
	ds_write_b128 v20, v[13:16]
.LBB119_27:
	s_or_b64 exec, exec, s[0:1]
	s_movk_i32 s0, 0x60
	v_cmp_gt_u32_e32 vcc, s0, v0
	s_waitcnt lgkmcnt(0)
	s_barrier
	s_and_saveexec_b64 s[0:1], vcc
	s_cbranch_execz .LBB119_29
; %bb.28:
	ds_read_b128 v[13:16], v20 offset:1536
	ds_read_b128 v[21:24], v20
	s_waitcnt lgkmcnt(0)
	v_add_f64 v[13:14], v[13:14], v[21:22]
	v_add_f64 v[15:16], v[15:16], v[23:24]
	ds_write_b128 v20, v[13:16]
.LBB119_29:
	s_or_b64 exec, exec, s[0:1]
	v_cmp_gt_u32_e32 vcc, 48, v0
	s_waitcnt lgkmcnt(0)
	s_barrier
	s_and_saveexec_b64 s[0:1], vcc
	s_cbranch_execz .LBB119_31
; %bb.30:
	ds_read_b128 v[13:16], v20 offset:768
	ds_read_b128 v[21:24], v20
	s_waitcnt lgkmcnt(0)
	v_add_f64 v[13:14], v[13:14], v[21:22]
	v_add_f64 v[15:16], v[15:16], v[23:24]
	ds_write_b128 v20, v[13:16]
.LBB119_31:
	s_or_b64 exec, exec, s[0:1]
	v_cmp_gt_u32_e32 vcc, 24, v0
	s_waitcnt lgkmcnt(0)
	s_and_saveexec_b64 s[0:1], vcc
	s_cbranch_execz .LBB119_33
; %bb.32:
	ds_read_b128 v[9:12], v20 offset:384
	ds_read_b128 v[13:16], v20
	s_waitcnt lgkmcnt(0)
	v_add_f64 v[9:10], v[9:10], v[13:14]
	v_add_f64 v[11:12], v[11:12], v[15:16]
.LBB119_33:
	s_or_b64 exec, exec, s[0:1]
	v_mov_b32_e32 v16, v12
	v_mov_b32_e32 v14, v10
	;; [unrolled: 1-line block ×4, first 2 shown]
.LBB119_34:
	v_cmp_gt_u32_e32 vcc, 24, v0
	s_and_b64 exec, exec, vcc
	s_cbranch_execz .LBB119_39
; %bb.35:
	v_mul_f64 v[9:10], v[15:16], -v[7:8]
	v_mul_f64 v[11:12], v[5:6], v[15:16]
	v_cmp_eq_f64_e32 vcc, 0, v[1:2]
	v_cmp_eq_f64_e64 s[0:1], 0, v[3:4]
	v_fma_f64 v[5:6], v[5:6], v[13:14], v[9:10]
	v_fma_f64 v[7:8], v[7:8], v[13:14], v[11:12]
	s_and_b64 s[0:1], vcc, s[0:1]
	s_and_saveexec_b64 s[2:3], s[0:1]
	s_xor_b64 s[0:1], exec, s[2:3]
	s_cbranch_execz .LBB119_37
; %bb.36:
	v_mad_u64_u32 v[0:1], s[2:3], s6, 24, v[0:1]
	v_mov_b32_e32 v1, 0
	v_mov_b32_e32 v2, s13
	v_lshlrev_b64 v[0:1], 4, v[0:1]
	v_add_co_u32_e32 v0, vcc, s12, v0
	v_addc_co_u32_e32 v1, vcc, v2, v1, vcc
	global_store_dwordx4 v[0:1], v[5:8], off
                                        ; implicit-def: $vgpr0
                                        ; implicit-def: $vgpr1_vgpr2
                                        ; implicit-def: $vgpr5_vgpr6
.LBB119_37:
	s_andn2_saveexec_b64 s[0:1], s[0:1]
	s_cbranch_execz .LBB119_39
; %bb.38:
	v_mad_u64_u32 v[9:10], s[0:1], s6, 24, v[0:1]
	v_mov_b32_e32 v10, 0
	v_mov_b32_e32 v0, s13
	v_lshlrev_b64 v[9:10], 4, v[9:10]
	v_add_co_u32_e32 v13, vcc, s12, v9
	v_addc_co_u32_e32 v14, vcc, v0, v10, vcc
	global_load_dwordx4 v[9:12], v[13:14], off
	s_waitcnt vmcnt(0)
	v_fma_f64 v[5:6], v[1:2], v[9:10], v[5:6]
	v_fma_f64 v[7:8], v[3:4], v[9:10], v[7:8]
	v_fma_f64 v[3:4], -v[3:4], v[11:12], v[5:6]
	v_fma_f64 v[5:6], v[1:2], v[11:12], v[7:8]
	global_store_dwordx4 v[13:14], v[3:6], off
.LBB119_39:
	s_endpgm
	.section	.rodata,"a",@progbits
	.p2align	6, 0x0
	.amdhsa_kernel _ZN9rocsparseL20bsrxmvn_17_32_kernelILj24E21rocsparse_complex_numIdEliS2_S2_S2_EEvT2_20rocsparse_direction_NS_24const_host_device_scalarIT0_EES3_PKS3_PKT1_SC_S9_PKT3_PKT4_S7_PT5_21rocsparse_index_base_b
		.amdhsa_group_segment_fixed_size 9216
		.amdhsa_private_segment_fixed_size 0
		.amdhsa_kernarg_size 112
		.amdhsa_user_sgpr_count 6
		.amdhsa_user_sgpr_private_segment_buffer 1
		.amdhsa_user_sgpr_dispatch_ptr 0
		.amdhsa_user_sgpr_queue_ptr 0
		.amdhsa_user_sgpr_kernarg_segment_ptr 1
		.amdhsa_user_sgpr_dispatch_id 0
		.amdhsa_user_sgpr_flat_scratch_init 0
		.amdhsa_user_sgpr_private_segment_size 0
		.amdhsa_uses_dynamic_stack 0
		.amdhsa_system_sgpr_private_segment_wavefront_offset 0
		.amdhsa_system_sgpr_workgroup_id_x 1
		.amdhsa_system_sgpr_workgroup_id_y 0
		.amdhsa_system_sgpr_workgroup_id_z 0
		.amdhsa_system_sgpr_workgroup_info 0
		.amdhsa_system_vgpr_workitem_id 0
		.amdhsa_next_free_vgpr 31
		.amdhsa_next_free_sgpr 61
		.amdhsa_reserve_vcc 1
		.amdhsa_reserve_flat_scratch 0
		.amdhsa_float_round_mode_32 0
		.amdhsa_float_round_mode_16_64 0
		.amdhsa_float_denorm_mode_32 3
		.amdhsa_float_denorm_mode_16_64 3
		.amdhsa_dx10_clamp 1
		.amdhsa_ieee_mode 1
		.amdhsa_fp16_overflow 0
		.amdhsa_exception_fp_ieee_invalid_op 0
		.amdhsa_exception_fp_denorm_src 0
		.amdhsa_exception_fp_ieee_div_zero 0
		.amdhsa_exception_fp_ieee_overflow 0
		.amdhsa_exception_fp_ieee_underflow 0
		.amdhsa_exception_fp_ieee_inexact 0
		.amdhsa_exception_int_div_zero 0
	.end_amdhsa_kernel
	.section	.text._ZN9rocsparseL20bsrxmvn_17_32_kernelILj24E21rocsparse_complex_numIdEliS2_S2_S2_EEvT2_20rocsparse_direction_NS_24const_host_device_scalarIT0_EES3_PKS3_PKT1_SC_S9_PKT3_PKT4_S7_PT5_21rocsparse_index_base_b,"axG",@progbits,_ZN9rocsparseL20bsrxmvn_17_32_kernelILj24E21rocsparse_complex_numIdEliS2_S2_S2_EEvT2_20rocsparse_direction_NS_24const_host_device_scalarIT0_EES3_PKS3_PKT1_SC_S9_PKT3_PKT4_S7_PT5_21rocsparse_index_base_b,comdat
.Lfunc_end119:
	.size	_ZN9rocsparseL20bsrxmvn_17_32_kernelILj24E21rocsparse_complex_numIdEliS2_S2_S2_EEvT2_20rocsparse_direction_NS_24const_host_device_scalarIT0_EES3_PKS3_PKT1_SC_S9_PKT3_PKT4_S7_PT5_21rocsparse_index_base_b, .Lfunc_end119-_ZN9rocsparseL20bsrxmvn_17_32_kernelILj24E21rocsparse_complex_numIdEliS2_S2_S2_EEvT2_20rocsparse_direction_NS_24const_host_device_scalarIT0_EES3_PKS3_PKT1_SC_S9_PKT3_PKT4_S7_PT5_21rocsparse_index_base_b
                                        ; -- End function
	.set _ZN9rocsparseL20bsrxmvn_17_32_kernelILj24E21rocsparse_complex_numIdEliS2_S2_S2_EEvT2_20rocsparse_direction_NS_24const_host_device_scalarIT0_EES3_PKS3_PKT1_SC_S9_PKT3_PKT4_S7_PT5_21rocsparse_index_base_b.num_vgpr, 31
	.set _ZN9rocsparseL20bsrxmvn_17_32_kernelILj24E21rocsparse_complex_numIdEliS2_S2_S2_EEvT2_20rocsparse_direction_NS_24const_host_device_scalarIT0_EES3_PKS3_PKT1_SC_S9_PKT3_PKT4_S7_PT5_21rocsparse_index_base_b.num_agpr, 0
	.set _ZN9rocsparseL20bsrxmvn_17_32_kernelILj24E21rocsparse_complex_numIdEliS2_S2_S2_EEvT2_20rocsparse_direction_NS_24const_host_device_scalarIT0_EES3_PKS3_PKT1_SC_S9_PKT3_PKT4_S7_PT5_21rocsparse_index_base_b.numbered_sgpr, 22
	.set _ZN9rocsparseL20bsrxmvn_17_32_kernelILj24E21rocsparse_complex_numIdEliS2_S2_S2_EEvT2_20rocsparse_direction_NS_24const_host_device_scalarIT0_EES3_PKS3_PKT1_SC_S9_PKT3_PKT4_S7_PT5_21rocsparse_index_base_b.num_named_barrier, 0
	.set _ZN9rocsparseL20bsrxmvn_17_32_kernelILj24E21rocsparse_complex_numIdEliS2_S2_S2_EEvT2_20rocsparse_direction_NS_24const_host_device_scalarIT0_EES3_PKS3_PKT1_SC_S9_PKT3_PKT4_S7_PT5_21rocsparse_index_base_b.private_seg_size, 0
	.set _ZN9rocsparseL20bsrxmvn_17_32_kernelILj24E21rocsparse_complex_numIdEliS2_S2_S2_EEvT2_20rocsparse_direction_NS_24const_host_device_scalarIT0_EES3_PKS3_PKT1_SC_S9_PKT3_PKT4_S7_PT5_21rocsparse_index_base_b.uses_vcc, 1
	.set _ZN9rocsparseL20bsrxmvn_17_32_kernelILj24E21rocsparse_complex_numIdEliS2_S2_S2_EEvT2_20rocsparse_direction_NS_24const_host_device_scalarIT0_EES3_PKS3_PKT1_SC_S9_PKT3_PKT4_S7_PT5_21rocsparse_index_base_b.uses_flat_scratch, 0
	.set _ZN9rocsparseL20bsrxmvn_17_32_kernelILj24E21rocsparse_complex_numIdEliS2_S2_S2_EEvT2_20rocsparse_direction_NS_24const_host_device_scalarIT0_EES3_PKS3_PKT1_SC_S9_PKT3_PKT4_S7_PT5_21rocsparse_index_base_b.has_dyn_sized_stack, 0
	.set _ZN9rocsparseL20bsrxmvn_17_32_kernelILj24E21rocsparse_complex_numIdEliS2_S2_S2_EEvT2_20rocsparse_direction_NS_24const_host_device_scalarIT0_EES3_PKS3_PKT1_SC_S9_PKT3_PKT4_S7_PT5_21rocsparse_index_base_b.has_recursion, 0
	.set _ZN9rocsparseL20bsrxmvn_17_32_kernelILj24E21rocsparse_complex_numIdEliS2_S2_S2_EEvT2_20rocsparse_direction_NS_24const_host_device_scalarIT0_EES3_PKS3_PKT1_SC_S9_PKT3_PKT4_S7_PT5_21rocsparse_index_base_b.has_indirect_call, 0
	.section	.AMDGPU.csdata,"",@progbits
; Kernel info:
; codeLenInByte = 1704
; TotalNumSgprs: 26
; NumVgprs: 31
; ScratchSize: 0
; MemoryBound: 0
; FloatMode: 240
; IeeeMode: 1
; LDSByteSize: 9216 bytes/workgroup (compile time only)
; SGPRBlocks: 8
; VGPRBlocks: 7
; NumSGPRsForWavesPerEU: 65
; NumVGPRsForWavesPerEU: 31
; Occupancy: 8
; WaveLimiterHint : 1
; COMPUTE_PGM_RSRC2:SCRATCH_EN: 0
; COMPUTE_PGM_RSRC2:USER_SGPR: 6
; COMPUTE_PGM_RSRC2:TRAP_HANDLER: 0
; COMPUTE_PGM_RSRC2:TGID_X_EN: 1
; COMPUTE_PGM_RSRC2:TGID_Y_EN: 0
; COMPUTE_PGM_RSRC2:TGID_Z_EN: 0
; COMPUTE_PGM_RSRC2:TIDIG_COMP_CNT: 0
	.section	.text._ZN9rocsparseL20bsrxmvn_17_32_kernelILj25E21rocsparse_complex_numIdEliS2_S2_S2_EEvT2_20rocsparse_direction_NS_24const_host_device_scalarIT0_EES3_PKS3_PKT1_SC_S9_PKT3_PKT4_S7_PT5_21rocsparse_index_base_b,"axG",@progbits,_ZN9rocsparseL20bsrxmvn_17_32_kernelILj25E21rocsparse_complex_numIdEliS2_S2_S2_EEvT2_20rocsparse_direction_NS_24const_host_device_scalarIT0_EES3_PKS3_PKT1_SC_S9_PKT3_PKT4_S7_PT5_21rocsparse_index_base_b,comdat
	.globl	_ZN9rocsparseL20bsrxmvn_17_32_kernelILj25E21rocsparse_complex_numIdEliS2_S2_S2_EEvT2_20rocsparse_direction_NS_24const_host_device_scalarIT0_EES3_PKS3_PKT1_SC_S9_PKT3_PKT4_S7_PT5_21rocsparse_index_base_b ; -- Begin function _ZN9rocsparseL20bsrxmvn_17_32_kernelILj25E21rocsparse_complex_numIdEliS2_S2_S2_EEvT2_20rocsparse_direction_NS_24const_host_device_scalarIT0_EES3_PKS3_PKT1_SC_S9_PKT3_PKT4_S7_PT5_21rocsparse_index_base_b
	.p2align	8
	.type	_ZN9rocsparseL20bsrxmvn_17_32_kernelILj25E21rocsparse_complex_numIdEliS2_S2_S2_EEvT2_20rocsparse_direction_NS_24const_host_device_scalarIT0_EES3_PKS3_PKT1_SC_S9_PKT3_PKT4_S7_PT5_21rocsparse_index_base_b,@function
_ZN9rocsparseL20bsrxmvn_17_32_kernelILj25E21rocsparse_complex_numIdEliS2_S2_S2_EEvT2_20rocsparse_direction_NS_24const_host_device_scalarIT0_EES3_PKS3_PKT1_SC_S9_PKT3_PKT4_S7_PT5_21rocsparse_index_base_b: ; @_ZN9rocsparseL20bsrxmvn_17_32_kernelILj25E21rocsparse_complex_numIdEliS2_S2_S2_EEvT2_20rocsparse_direction_NS_24const_host_device_scalarIT0_EES3_PKS3_PKT1_SC_S9_PKT3_PKT4_S7_PT5_21rocsparse_index_base_b
; %bb.0:
	s_load_dwordx2 s[0:1], s[4:5], 0x8
	s_load_dwordx2 s[14:15], s[4:5], 0x68
	s_add_u32 s7, s4, 8
	s_addc_u32 s8, s5, 0
	s_add_u32 s9, s4, 0x50
	s_addc_u32 s10, s5, 0
	s_waitcnt lgkmcnt(0)
	s_bitcmp1_b32 s15, 0
	s_cselect_b32 s1, s8, s1
	s_cselect_b32 s0, s7, s0
	v_mov_b32_e32 v1, s0
	v_mov_b32_e32 v2, s1
	flat_load_dwordx4 v[5:8], v[1:2]
	s_load_dwordx2 s[2:3], s[4:5], 0x50
	s_waitcnt lgkmcnt(0)
	s_cselect_b32 s0, s10, s3
	s_cselect_b32 s1, s9, s2
	v_mov_b32_e32 v1, s1
	v_mov_b32_e32 v2, s0
	flat_load_dwordx4 v[1:4], v[1:2]
	s_waitcnt vmcnt(0)
	v_cmp_eq_f64_e32 vcc, 0, v[5:6]
	v_cmp_eq_f64_e64 s[0:1], 0, v[7:8]
	s_and_b64 s[8:9], vcc, s[0:1]
	s_mov_b64 s[0:1], -1
	s_and_saveexec_b64 s[2:3], s[8:9]
	s_cbranch_execz .LBB120_2
; %bb.1:
	s_waitcnt lgkmcnt(0)
	v_cmp_neq_f64_e32 vcc, 1.0, v[1:2]
	v_cmp_neq_f64_e64 s[0:1], 0, v[3:4]
	s_or_b64 s[0:1], vcc, s[0:1]
	s_orn2_b64 s[0:1], s[0:1], exec
.LBB120_2:
	s_or_b64 exec, exec, s[2:3]
	s_and_saveexec_b64 s[2:3], s[0:1]
	s_cbranch_execz .LBB120_39
; %bb.3:
	s_load_dwordx4 s[0:3], s[4:5], 0x20
	s_load_dwordx2 s[8:9], s[4:5], 0x30
	s_waitcnt lgkmcnt(0)
	s_cmp_eq_u64 s[0:1], 0
	s_cbranch_scc1 .LBB120_5
; %bb.4:
	s_ashr_i32 s7, s6, 31
	s_lshl_b64 s[6:7], s[6:7], 2
	s_add_u32 s0, s0, s6
	s_addc_u32 s1, s1, s7
	s_load_dword s0, s[0:1], 0x0
	s_waitcnt lgkmcnt(0)
	s_sub_i32 s6, s0, s14
.LBB120_5:
	s_load_dword s7, s[4:5], 0x4
	s_load_dwordx2 s[12:13], s[4:5], 0x60
	v_mul_u32_u24_e32 v13, 0xa3e, v0
	v_mov_b32_e32 v9, 25
	v_mul_lo_u16_sdwa v9, v13, v9 dst_sel:DWORD dst_unused:UNUSED_PAD src0_sel:WORD_1 src1_sel:DWORD
	s_waitcnt lgkmcnt(0)
	s_cmp_eq_u32 s7, 1
	s_cselect_b64 s[0:1], -1, 0
	s_cmp_lg_u32 s7, 1
	s_cselect_b64 s[16:17], -1, 0
	s_ashr_i32 s7, s6, 31
	s_lshl_b64 s[10:11], s[6:7], 3
	s_add_u32 s2, s2, s10
	s_addc_u32 s3, s3, s11
	s_add_u32 s7, s2, 8
	s_addc_u32 s15, s3, 0
	;; [unrolled: 2-line block ×3, first 2 shown]
	s_cmp_eq_u64 s[8:9], 0
	s_cselect_b32 s9, s15, s11
	s_cselect_b32 s8, s7, s10
	s_load_dwordx2 s[18:19], s[8:9], 0x0
	s_load_dwordx2 s[20:21], s[2:3], 0x0
	v_sub_u16_e32 v21, v0, v9
	v_mov_b32_e32 v11, 0
	v_mov_b32_e32 v12, 0
	s_waitcnt lgkmcnt(0)
	v_mov_b32_e32 v9, s18
	v_mov_b32_e32 v10, s19
	v_cmp_ge_i64_e32 vcc, s[20:21], v[9:10]
	v_mov_b32_e32 v9, 0
	v_lshlrev_b32_e32 v20, 4, v0
	v_mov_b32_e32 v10, 0
	s_cbranch_vccnz .LBB120_10
; %bb.6:
	s_load_dwordx2 s[2:3], s[4:5], 0x48
	s_load_dwordx4 s[8:11], s[4:5], 0x38
	s_sub_u32 s4, s18, s14
	s_mov_b32 s7, 0xffff
	s_subb_u32 s5, s19, 0
	s_movk_i32 s15, 0x271
	v_and_b32_sdwa v9, s7, v13 dst_sel:DWORD dst_unused:UNUSED_PAD src0_sel:DWORD src1_sel:WORD_1
	v_subrev_u32_e32 v10, 25, v9
	v_cmp_gt_u32_e32 vcc, s15, v0
	s_sub_u32 s18, s20, s14
	v_cndmask_b32_e32 v9, v10, v9, vcc
	s_subb_u32 s19, s21, 0
	v_cndmask_b32_e64 v13, v21, v9, s[0:1]
	s_mul_i32 s0, s19, 0x2710
	s_mul_hi_u32 s1, s18, 0x2710
	s_add_i32 s1, s1, s0
	s_mul_i32 s0, s18, 0x2710
	s_waitcnt lgkmcnt(0)
	s_add_u32 s0, s10, s0
	s_addc_u32 s1, s11, s1
	v_mov_b32_e32 v9, s1
	v_add_co_u32_e32 v14, vcc, s0, v20
	v_addc_co_u32_e32 v15, vcc, 0, v9, vcc
	s_movk_i32 s0, 0x270
	v_cmp_lt_u32_e32 vcc, s0, v0
	v_cndmask_b32_e64 v22, 0, 1, vcc
	v_mov_b32_e32 v9, s21
	v_add_co_u32_e32 v10, vcc, s20, v22
	v_addc_co_u32_e32 v11, vcc, 0, v9, vcc
	v_subrev_co_u32_e32 v9, vcc, s14, v10
	v_subbrev_co_u32_e32 v10, vcc, 0, v11, vcc
	v_lshlrev_b64 v[9:10], 2, v[9:10]
	v_mov_b32_e32 v11, s9
	v_add_co_u32_e32 v16, vcc, s8, v9
	v_addc_co_u32_e32 v17, vcc, v11, v10, vcc
	v_mov_b32_e32 v11, 0
	v_mov_b32_e32 v12, 0
	;; [unrolled: 1-line block ×6, first 2 shown]
	s_branch .LBB120_8
.LBB120_7:                              ;   in Loop: Header=BB120_8 Depth=1
	s_or_b64 exec, exec, s[0:1]
	s_add_u32 s18, s18, 1
	s_addc_u32 s19, s19, 0
	v_cmp_lt_i64_e32 vcc, s[18:19], v[18:19]
	v_add_co_u32_e64 v16, s[0:1], 4, v16
	v_addc_co_u32_e64 v17, s[0:1], 0, v17, s[0:1]
	s_cbranch_vccz .LBB120_10
.LBB120_8:                              ; =>This Inner Loop Header: Depth=1
	v_mov_b32_e32 v24, s19
	v_add_co_u32_e32 v23, vcc, s18, v22
	v_addc_co_u32_e32 v24, vcc, 0, v24, vcc
	v_cmp_gt_i64_e32 vcc, s[4:5], v[23:24]
	s_and_saveexec_b64 s[0:1], vcc
	s_cbranch_execz .LBB120_7
; %bb.9:                                ;   in Loop: Header=BB120_8 Depth=1
	global_load_dword v23, v[16:17], off
	v_mov_b32_e32 v29, s3
	s_waitcnt vmcnt(0)
	v_subrev_u32_e32 v23, s14, v23
	v_mad_u64_u32 v[27:28], s[8:9], v23, 25, v[13:14]
	global_load_dwordx4 v[23:26], v[14:15], off
	v_ashrrev_i32_e32 v28, 31, v27
	v_lshlrev_b64 v[27:28], 4, v[27:28]
	v_add_co_u32_e32 v27, vcc, s2, v27
	v_addc_co_u32_e32 v28, vcc, v29, v28, vcc
	global_load_dwordx4 v[27:30], v[27:28], off
	v_add_co_u32_e32 v14, vcc, 0x2710, v14
	v_addc_co_u32_e32 v15, vcc, 0, v15, vcc
	s_waitcnt vmcnt(0)
	v_fma_f64 v[9:10], v[23:24], v[27:28], v[9:10]
	v_fma_f64 v[11:12], v[25:26], v[27:28], v[11:12]
	v_fma_f64 v[9:10], -v[25:26], v[29:30], v[9:10]
	v_fma_f64 v[11:12], v[23:24], v[29:30], v[11:12]
	s_branch .LBB120_7
.LBB120_10:
	s_and_b64 vcc, exec, s[16:17]
	ds_write_b128 v20, v[9:12]
	s_waitcnt lgkmcnt(0)
	s_barrier
	s_cbranch_vccz .LBB120_22
; %bb.11:
	v_cmp_gt_u16_e32 vcc, 9, v21
	s_and_saveexec_b64 s[0:1], vcc
	s_cbranch_execz .LBB120_13
; %bb.12:
	ds_read_b128 v[13:16], v20 offset:256
	ds_read_b128 v[22:25], v20
	s_waitcnt lgkmcnt(0)
	v_add_f64 v[13:14], v[13:14], v[22:23]
	v_add_f64 v[15:16], v[15:16], v[24:25]
	ds_write_b128 v20, v[13:16]
.LBB120_13:
	s_or_b64 exec, exec, s[0:1]
	v_cmp_gt_u16_e32 vcc, 8, v21
	s_waitcnt lgkmcnt(0)
	s_barrier
	s_and_saveexec_b64 s[0:1], vcc
	s_cbranch_execz .LBB120_15
; %bb.14:
	ds_read_b128 v[13:16], v20 offset:128
	ds_read_b128 v[22:25], v20
	s_waitcnt lgkmcnt(0)
	v_add_f64 v[13:14], v[13:14], v[22:23]
	v_add_f64 v[15:16], v[15:16], v[24:25]
	ds_write_b128 v20, v[13:16]
.LBB120_15:
	s_or_b64 exec, exec, s[0:1]
	v_cmp_gt_u16_e32 vcc, 4, v21
	s_waitcnt lgkmcnt(0)
	s_barrier
	;; [unrolled: 14-line block ×3, first 2 shown]
	s_and_saveexec_b64 s[0:1], vcc
	s_cbranch_execz .LBB120_19
; %bb.18:
	ds_read_b128 v[13:16], v20
	ds_read_b128 v[21:24], v20 offset:32
	s_waitcnt lgkmcnt(0)
	v_add_f64 v[13:14], v[21:22], v[13:14]
	v_add_f64 v[15:16], v[23:24], v[15:16]
	ds_write_b128 v20, v[13:16]
.LBB120_19:
	s_or_b64 exec, exec, s[0:1]
	v_mov_b32_e32 v16, v12
	v_mov_b32_e32 v14, v10
	v_cmp_gt_u32_e32 vcc, 25, v0
	v_mov_b32_e32 v15, v11
	v_mov_b32_e32 v13, v9
	s_waitcnt lgkmcnt(0)
	s_barrier
	s_and_saveexec_b64 s[0:1], vcc
	s_cbranch_execz .LBB120_21
; %bb.20:
	s_movk_i32 s2, 0x180
	v_mad_u32_u24 v17, v0, s2, v20
	ds_read_b128 v[13:16], v17
	ds_read_b128 v[21:24], v17 offset:16
	s_waitcnt lgkmcnt(0)
	v_add_f64 v[13:14], v[21:22], v[13:14]
	v_add_f64 v[15:16], v[23:24], v[15:16]
.LBB120_21:
	s_or_b64 exec, exec, s[0:1]
	s_branch .LBB120_34
.LBB120_22:
                                        ; implicit-def: $vgpr15_vgpr16
                                        ; implicit-def: $vgpr13_vgpr14
	s_cbranch_execz .LBB120_34
; %bb.23:
	s_movk_i32 s0, 0xe1
	v_cmp_gt_u32_e32 vcc, s0, v0
	s_and_saveexec_b64 s[0:1], vcc
	s_cbranch_execz .LBB120_25
; %bb.24:
	ds_read_b128 v[13:16], v20 offset:6400
	ds_read_b128 v[21:24], v20
	s_waitcnt lgkmcnt(0)
	v_add_f64 v[13:14], v[13:14], v[21:22]
	v_add_f64 v[15:16], v[15:16], v[23:24]
	ds_write_b128 v20, v[13:16]
.LBB120_25:
	s_or_b64 exec, exec, s[0:1]
	s_movk_i32 s0, 0xc8
	v_cmp_gt_u32_e32 vcc, s0, v0
	s_waitcnt lgkmcnt(0)
	s_barrier
	s_and_saveexec_b64 s[0:1], vcc
	s_cbranch_execz .LBB120_27
; %bb.26:
	ds_read_b128 v[13:16], v20 offset:3200
	ds_read_b128 v[21:24], v20
	s_waitcnt lgkmcnt(0)
	v_add_f64 v[13:14], v[13:14], v[21:22]
	v_add_f64 v[15:16], v[15:16], v[23:24]
	ds_write_b128 v20, v[13:16]
.LBB120_27:
	s_or_b64 exec, exec, s[0:1]
	s_movk_i32 s0, 0x64
	v_cmp_gt_u32_e32 vcc, s0, v0
	s_waitcnt lgkmcnt(0)
	s_barrier
	s_and_saveexec_b64 s[0:1], vcc
	s_cbranch_execz .LBB120_29
; %bb.28:
	ds_read_b128 v[13:16], v20 offset:1600
	ds_read_b128 v[21:24], v20
	s_waitcnt lgkmcnt(0)
	v_add_f64 v[13:14], v[13:14], v[21:22]
	v_add_f64 v[15:16], v[15:16], v[23:24]
	ds_write_b128 v20, v[13:16]
.LBB120_29:
	s_or_b64 exec, exec, s[0:1]
	v_cmp_gt_u32_e32 vcc, 50, v0
	s_waitcnt lgkmcnt(0)
	s_barrier
	s_and_saveexec_b64 s[0:1], vcc
	s_cbranch_execz .LBB120_31
; %bb.30:
	ds_read_b128 v[13:16], v20 offset:800
	ds_read_b128 v[21:24], v20
	s_waitcnt lgkmcnt(0)
	v_add_f64 v[13:14], v[13:14], v[21:22]
	v_add_f64 v[15:16], v[15:16], v[23:24]
	ds_write_b128 v20, v[13:16]
.LBB120_31:
	s_or_b64 exec, exec, s[0:1]
	v_cmp_gt_u32_e32 vcc, 25, v0
	s_waitcnt lgkmcnt(0)
	s_and_saveexec_b64 s[0:1], vcc
	s_cbranch_execz .LBB120_33
; %bb.32:
	ds_read_b128 v[9:12], v20 offset:400
	ds_read_b128 v[13:16], v20
	s_waitcnt lgkmcnt(0)
	v_add_f64 v[9:10], v[9:10], v[13:14]
	v_add_f64 v[11:12], v[11:12], v[15:16]
.LBB120_33:
	s_or_b64 exec, exec, s[0:1]
	v_mov_b32_e32 v16, v12
	v_mov_b32_e32 v14, v10
	;; [unrolled: 1-line block ×4, first 2 shown]
.LBB120_34:
	v_cmp_gt_u32_e32 vcc, 25, v0
	s_and_b64 exec, exec, vcc
	s_cbranch_execz .LBB120_39
; %bb.35:
	v_mul_f64 v[9:10], v[15:16], -v[7:8]
	v_mul_f64 v[11:12], v[5:6], v[15:16]
	v_cmp_eq_f64_e32 vcc, 0, v[1:2]
	v_cmp_eq_f64_e64 s[0:1], 0, v[3:4]
	v_fma_f64 v[5:6], v[5:6], v[13:14], v[9:10]
	v_fma_f64 v[7:8], v[7:8], v[13:14], v[11:12]
	s_and_b64 s[0:1], vcc, s[0:1]
	s_and_saveexec_b64 s[2:3], s[0:1]
	s_xor_b64 s[0:1], exec, s[2:3]
	s_cbranch_execz .LBB120_37
; %bb.36:
	v_mad_u64_u32 v[0:1], s[2:3], s6, 25, v[0:1]
	v_mov_b32_e32 v1, 0
	v_mov_b32_e32 v2, s13
	v_lshlrev_b64 v[0:1], 4, v[0:1]
	v_add_co_u32_e32 v0, vcc, s12, v0
	v_addc_co_u32_e32 v1, vcc, v2, v1, vcc
	global_store_dwordx4 v[0:1], v[5:8], off
                                        ; implicit-def: $vgpr0
                                        ; implicit-def: $vgpr1_vgpr2
                                        ; implicit-def: $vgpr5_vgpr6
.LBB120_37:
	s_andn2_saveexec_b64 s[0:1], s[0:1]
	s_cbranch_execz .LBB120_39
; %bb.38:
	v_mad_u64_u32 v[9:10], s[0:1], s6, 25, v[0:1]
	v_mov_b32_e32 v10, 0
	v_mov_b32_e32 v0, s13
	v_lshlrev_b64 v[9:10], 4, v[9:10]
	v_add_co_u32_e32 v13, vcc, s12, v9
	v_addc_co_u32_e32 v14, vcc, v0, v10, vcc
	global_load_dwordx4 v[9:12], v[13:14], off
	s_waitcnt vmcnt(0)
	v_fma_f64 v[5:6], v[1:2], v[9:10], v[5:6]
	v_fma_f64 v[7:8], v[3:4], v[9:10], v[7:8]
	v_fma_f64 v[3:4], -v[3:4], v[11:12], v[5:6]
	v_fma_f64 v[5:6], v[1:2], v[11:12], v[7:8]
	global_store_dwordx4 v[13:14], v[3:6], off
.LBB120_39:
	s_endpgm
	.section	.rodata,"a",@progbits
	.p2align	6, 0x0
	.amdhsa_kernel _ZN9rocsparseL20bsrxmvn_17_32_kernelILj25E21rocsparse_complex_numIdEliS2_S2_S2_EEvT2_20rocsparse_direction_NS_24const_host_device_scalarIT0_EES3_PKS3_PKT1_SC_S9_PKT3_PKT4_S7_PT5_21rocsparse_index_base_b
		.amdhsa_group_segment_fixed_size 10000
		.amdhsa_private_segment_fixed_size 0
		.amdhsa_kernarg_size 112
		.amdhsa_user_sgpr_count 6
		.amdhsa_user_sgpr_private_segment_buffer 1
		.amdhsa_user_sgpr_dispatch_ptr 0
		.amdhsa_user_sgpr_queue_ptr 0
		.amdhsa_user_sgpr_kernarg_segment_ptr 1
		.amdhsa_user_sgpr_dispatch_id 0
		.amdhsa_user_sgpr_flat_scratch_init 0
		.amdhsa_user_sgpr_private_segment_size 0
		.amdhsa_uses_dynamic_stack 0
		.amdhsa_system_sgpr_private_segment_wavefront_offset 0
		.amdhsa_system_sgpr_workgroup_id_x 1
		.amdhsa_system_sgpr_workgroup_id_y 0
		.amdhsa_system_sgpr_workgroup_id_z 0
		.amdhsa_system_sgpr_workgroup_info 0
		.amdhsa_system_vgpr_workitem_id 0
		.amdhsa_next_free_vgpr 31
		.amdhsa_next_free_sgpr 22
		.amdhsa_reserve_vcc 1
		.amdhsa_reserve_flat_scratch 0
		.amdhsa_float_round_mode_32 0
		.amdhsa_float_round_mode_16_64 0
		.amdhsa_float_denorm_mode_32 3
		.amdhsa_float_denorm_mode_16_64 3
		.amdhsa_dx10_clamp 1
		.amdhsa_ieee_mode 1
		.amdhsa_fp16_overflow 0
		.amdhsa_exception_fp_ieee_invalid_op 0
		.amdhsa_exception_fp_denorm_src 0
		.amdhsa_exception_fp_ieee_div_zero 0
		.amdhsa_exception_fp_ieee_overflow 0
		.amdhsa_exception_fp_ieee_underflow 0
		.amdhsa_exception_fp_ieee_inexact 0
		.amdhsa_exception_int_div_zero 0
	.end_amdhsa_kernel
	.section	.text._ZN9rocsparseL20bsrxmvn_17_32_kernelILj25E21rocsparse_complex_numIdEliS2_S2_S2_EEvT2_20rocsparse_direction_NS_24const_host_device_scalarIT0_EES3_PKS3_PKT1_SC_S9_PKT3_PKT4_S7_PT5_21rocsparse_index_base_b,"axG",@progbits,_ZN9rocsparseL20bsrxmvn_17_32_kernelILj25E21rocsparse_complex_numIdEliS2_S2_S2_EEvT2_20rocsparse_direction_NS_24const_host_device_scalarIT0_EES3_PKS3_PKT1_SC_S9_PKT3_PKT4_S7_PT5_21rocsparse_index_base_b,comdat
.Lfunc_end120:
	.size	_ZN9rocsparseL20bsrxmvn_17_32_kernelILj25E21rocsparse_complex_numIdEliS2_S2_S2_EEvT2_20rocsparse_direction_NS_24const_host_device_scalarIT0_EES3_PKS3_PKT1_SC_S9_PKT3_PKT4_S7_PT5_21rocsparse_index_base_b, .Lfunc_end120-_ZN9rocsparseL20bsrxmvn_17_32_kernelILj25E21rocsparse_complex_numIdEliS2_S2_S2_EEvT2_20rocsparse_direction_NS_24const_host_device_scalarIT0_EES3_PKS3_PKT1_SC_S9_PKT3_PKT4_S7_PT5_21rocsparse_index_base_b
                                        ; -- End function
	.set _ZN9rocsparseL20bsrxmvn_17_32_kernelILj25E21rocsparse_complex_numIdEliS2_S2_S2_EEvT2_20rocsparse_direction_NS_24const_host_device_scalarIT0_EES3_PKS3_PKT1_SC_S9_PKT3_PKT4_S7_PT5_21rocsparse_index_base_b.num_vgpr, 31
	.set _ZN9rocsparseL20bsrxmvn_17_32_kernelILj25E21rocsparse_complex_numIdEliS2_S2_S2_EEvT2_20rocsparse_direction_NS_24const_host_device_scalarIT0_EES3_PKS3_PKT1_SC_S9_PKT3_PKT4_S7_PT5_21rocsparse_index_base_b.num_agpr, 0
	.set _ZN9rocsparseL20bsrxmvn_17_32_kernelILj25E21rocsparse_complex_numIdEliS2_S2_S2_EEvT2_20rocsparse_direction_NS_24const_host_device_scalarIT0_EES3_PKS3_PKT1_SC_S9_PKT3_PKT4_S7_PT5_21rocsparse_index_base_b.numbered_sgpr, 22
	.set _ZN9rocsparseL20bsrxmvn_17_32_kernelILj25E21rocsparse_complex_numIdEliS2_S2_S2_EEvT2_20rocsparse_direction_NS_24const_host_device_scalarIT0_EES3_PKS3_PKT1_SC_S9_PKT3_PKT4_S7_PT5_21rocsparse_index_base_b.num_named_barrier, 0
	.set _ZN9rocsparseL20bsrxmvn_17_32_kernelILj25E21rocsparse_complex_numIdEliS2_S2_S2_EEvT2_20rocsparse_direction_NS_24const_host_device_scalarIT0_EES3_PKS3_PKT1_SC_S9_PKT3_PKT4_S7_PT5_21rocsparse_index_base_b.private_seg_size, 0
	.set _ZN9rocsparseL20bsrxmvn_17_32_kernelILj25E21rocsparse_complex_numIdEliS2_S2_S2_EEvT2_20rocsparse_direction_NS_24const_host_device_scalarIT0_EES3_PKS3_PKT1_SC_S9_PKT3_PKT4_S7_PT5_21rocsparse_index_base_b.uses_vcc, 1
	.set _ZN9rocsparseL20bsrxmvn_17_32_kernelILj25E21rocsparse_complex_numIdEliS2_S2_S2_EEvT2_20rocsparse_direction_NS_24const_host_device_scalarIT0_EES3_PKS3_PKT1_SC_S9_PKT3_PKT4_S7_PT5_21rocsparse_index_base_b.uses_flat_scratch, 0
	.set _ZN9rocsparseL20bsrxmvn_17_32_kernelILj25E21rocsparse_complex_numIdEliS2_S2_S2_EEvT2_20rocsparse_direction_NS_24const_host_device_scalarIT0_EES3_PKS3_PKT1_SC_S9_PKT3_PKT4_S7_PT5_21rocsparse_index_base_b.has_dyn_sized_stack, 0
	.set _ZN9rocsparseL20bsrxmvn_17_32_kernelILj25E21rocsparse_complex_numIdEliS2_S2_S2_EEvT2_20rocsparse_direction_NS_24const_host_device_scalarIT0_EES3_PKS3_PKT1_SC_S9_PKT3_PKT4_S7_PT5_21rocsparse_index_base_b.has_recursion, 0
	.set _ZN9rocsparseL20bsrxmvn_17_32_kernelILj25E21rocsparse_complex_numIdEliS2_S2_S2_EEvT2_20rocsparse_direction_NS_24const_host_device_scalarIT0_EES3_PKS3_PKT1_SC_S9_PKT3_PKT4_S7_PT5_21rocsparse_index_base_b.has_indirect_call, 0
	.section	.AMDGPU.csdata,"",@progbits
; Kernel info:
; codeLenInByte = 1716
; TotalNumSgprs: 26
; NumVgprs: 31
; ScratchSize: 0
; MemoryBound: 0
; FloatMode: 240
; IeeeMode: 1
; LDSByteSize: 10000 bytes/workgroup (compile time only)
; SGPRBlocks: 3
; VGPRBlocks: 7
; NumSGPRsForWavesPerEU: 26
; NumVGPRsForWavesPerEU: 31
; Occupancy: 8
; WaveLimiterHint : 1
; COMPUTE_PGM_RSRC2:SCRATCH_EN: 0
; COMPUTE_PGM_RSRC2:USER_SGPR: 6
; COMPUTE_PGM_RSRC2:TRAP_HANDLER: 0
; COMPUTE_PGM_RSRC2:TGID_X_EN: 1
; COMPUTE_PGM_RSRC2:TGID_Y_EN: 0
; COMPUTE_PGM_RSRC2:TGID_Z_EN: 0
; COMPUTE_PGM_RSRC2:TIDIG_COMP_CNT: 0
	.section	.text._ZN9rocsparseL20bsrxmvn_17_32_kernelILj26E21rocsparse_complex_numIdEliS2_S2_S2_EEvT2_20rocsparse_direction_NS_24const_host_device_scalarIT0_EES3_PKS3_PKT1_SC_S9_PKT3_PKT4_S7_PT5_21rocsparse_index_base_b,"axG",@progbits,_ZN9rocsparseL20bsrxmvn_17_32_kernelILj26E21rocsparse_complex_numIdEliS2_S2_S2_EEvT2_20rocsparse_direction_NS_24const_host_device_scalarIT0_EES3_PKS3_PKT1_SC_S9_PKT3_PKT4_S7_PT5_21rocsparse_index_base_b,comdat
	.globl	_ZN9rocsparseL20bsrxmvn_17_32_kernelILj26E21rocsparse_complex_numIdEliS2_S2_S2_EEvT2_20rocsparse_direction_NS_24const_host_device_scalarIT0_EES3_PKS3_PKT1_SC_S9_PKT3_PKT4_S7_PT5_21rocsparse_index_base_b ; -- Begin function _ZN9rocsparseL20bsrxmvn_17_32_kernelILj26E21rocsparse_complex_numIdEliS2_S2_S2_EEvT2_20rocsparse_direction_NS_24const_host_device_scalarIT0_EES3_PKS3_PKT1_SC_S9_PKT3_PKT4_S7_PT5_21rocsparse_index_base_b
	.p2align	8
	.type	_ZN9rocsparseL20bsrxmvn_17_32_kernelILj26E21rocsparse_complex_numIdEliS2_S2_S2_EEvT2_20rocsparse_direction_NS_24const_host_device_scalarIT0_EES3_PKS3_PKT1_SC_S9_PKT3_PKT4_S7_PT5_21rocsparse_index_base_b,@function
_ZN9rocsparseL20bsrxmvn_17_32_kernelILj26E21rocsparse_complex_numIdEliS2_S2_S2_EEvT2_20rocsparse_direction_NS_24const_host_device_scalarIT0_EES3_PKS3_PKT1_SC_S9_PKT3_PKT4_S7_PT5_21rocsparse_index_base_b: ; @_ZN9rocsparseL20bsrxmvn_17_32_kernelILj26E21rocsparse_complex_numIdEliS2_S2_S2_EEvT2_20rocsparse_direction_NS_24const_host_device_scalarIT0_EES3_PKS3_PKT1_SC_S9_PKT3_PKT4_S7_PT5_21rocsparse_index_base_b
; %bb.0:
	s_load_dwordx2 s[0:1], s[4:5], 0x8
	s_load_dwordx2 s[14:15], s[4:5], 0x68
	s_add_u32 s7, s4, 8
	s_addc_u32 s8, s5, 0
	s_add_u32 s9, s4, 0x50
	s_addc_u32 s10, s5, 0
	s_waitcnt lgkmcnt(0)
	s_bitcmp1_b32 s15, 0
	s_cselect_b32 s1, s8, s1
	s_cselect_b32 s0, s7, s0
	v_mov_b32_e32 v1, s0
	v_mov_b32_e32 v2, s1
	flat_load_dwordx4 v[5:8], v[1:2]
	s_load_dwordx2 s[2:3], s[4:5], 0x50
	s_waitcnt lgkmcnt(0)
	s_cselect_b32 s0, s10, s3
	s_cselect_b32 s1, s9, s2
	v_mov_b32_e32 v1, s1
	v_mov_b32_e32 v2, s0
	flat_load_dwordx4 v[1:4], v[1:2]
	s_waitcnt vmcnt(0)
	v_cmp_eq_f64_e32 vcc, 0, v[5:6]
	v_cmp_eq_f64_e64 s[0:1], 0, v[7:8]
	s_and_b64 s[8:9], vcc, s[0:1]
	s_mov_b64 s[0:1], -1
	s_and_saveexec_b64 s[2:3], s[8:9]
	s_cbranch_execz .LBB121_2
; %bb.1:
	s_waitcnt lgkmcnt(0)
	v_cmp_neq_f64_e32 vcc, 1.0, v[1:2]
	v_cmp_neq_f64_e64 s[0:1], 0, v[3:4]
	s_or_b64 s[0:1], vcc, s[0:1]
	s_orn2_b64 s[0:1], s[0:1], exec
.LBB121_2:
	s_or_b64 exec, exec, s[2:3]
	s_and_saveexec_b64 s[2:3], s[0:1]
	s_cbranch_execz .LBB121_39
; %bb.3:
	s_load_dwordx4 s[0:3], s[4:5], 0x20
	s_load_dwordx2 s[8:9], s[4:5], 0x30
	s_waitcnt lgkmcnt(0)
	s_cmp_eq_u64 s[0:1], 0
	s_cbranch_scc1 .LBB121_5
; %bb.4:
	s_ashr_i32 s7, s6, 31
	s_lshl_b64 s[6:7], s[6:7], 2
	s_add_u32 s0, s0, s6
	s_addc_u32 s1, s1, s7
	s_load_dword s0, s[0:1], 0x0
	s_waitcnt lgkmcnt(0)
	s_sub_i32 s6, s0, s14
.LBB121_5:
	s_load_dword s7, s[4:5], 0x4
	s_load_dwordx2 s[12:13], s[4:5], 0x60
	v_mul_u32_u24_e32 v13, 0x9d9, v0
	v_mov_b32_e32 v9, 26
	v_mul_lo_u16_sdwa v9, v13, v9 dst_sel:DWORD dst_unused:UNUSED_PAD src0_sel:WORD_1 src1_sel:DWORD
	s_waitcnt lgkmcnt(0)
	s_cmp_eq_u32 s7, 1
	s_cselect_b64 s[0:1], -1, 0
	s_cmp_lg_u32 s7, 1
	s_cselect_b64 s[16:17], -1, 0
	s_ashr_i32 s7, s6, 31
	s_lshl_b64 s[10:11], s[6:7], 3
	s_add_u32 s2, s2, s10
	s_addc_u32 s3, s3, s11
	s_add_u32 s7, s2, 8
	s_addc_u32 s15, s3, 0
	;; [unrolled: 2-line block ×3, first 2 shown]
	s_cmp_eq_u64 s[8:9], 0
	s_cselect_b32 s9, s15, s11
	s_cselect_b32 s8, s7, s10
	s_load_dwordx2 s[18:19], s[8:9], 0x0
	s_load_dwordx2 s[20:21], s[2:3], 0x0
	v_sub_u16_e32 v21, v0, v9
	v_mov_b32_e32 v11, 0
	v_mov_b32_e32 v12, 0
	s_waitcnt lgkmcnt(0)
	v_mov_b32_e32 v9, s18
	v_mov_b32_e32 v10, s19
	v_cmp_ge_i64_e32 vcc, s[20:21], v[9:10]
	v_mov_b32_e32 v9, 0
	v_lshlrev_b32_e32 v20, 4, v0
	v_mov_b32_e32 v10, 0
	s_cbranch_vccnz .LBB121_10
; %bb.6:
	s_load_dwordx2 s[2:3], s[4:5], 0x48
	s_load_dwordx4 s[8:11], s[4:5], 0x38
	s_sub_u32 s4, s18, s14
	s_mov_b32 s7, 0xffff
	s_subb_u32 s5, s19, 0
	s_movk_i32 s15, 0x2a4
	v_and_b32_sdwa v9, s7, v13 dst_sel:DWORD dst_unused:UNUSED_PAD src0_sel:DWORD src1_sel:WORD_1
	v_subrev_u32_e32 v10, 26, v9
	v_cmp_gt_u32_e32 vcc, s15, v0
	s_sub_u32 s18, s20, s14
	v_cndmask_b32_e32 v9, v10, v9, vcc
	s_subb_u32 s19, s21, 0
	v_cndmask_b32_e64 v13, v21, v9, s[0:1]
	s_mul_i32 s0, s19, 0x2a40
	s_mul_hi_u32 s1, s18, 0x2a40
	s_add_i32 s1, s1, s0
	s_mul_i32 s0, s18, 0x2a40
	s_waitcnt lgkmcnt(0)
	s_add_u32 s0, s10, s0
	s_addc_u32 s1, s11, s1
	v_mov_b32_e32 v9, s1
	v_add_co_u32_e32 v14, vcc, s0, v20
	v_addc_co_u32_e32 v15, vcc, 0, v9, vcc
	s_movk_i32 s0, 0x2a3
	v_cmp_lt_u32_e32 vcc, s0, v0
	v_cndmask_b32_e64 v22, 0, 1, vcc
	v_mov_b32_e32 v9, s21
	v_add_co_u32_e32 v10, vcc, s20, v22
	v_addc_co_u32_e32 v11, vcc, 0, v9, vcc
	v_subrev_co_u32_e32 v9, vcc, s14, v10
	v_subbrev_co_u32_e32 v10, vcc, 0, v11, vcc
	v_lshlrev_b64 v[9:10], 2, v[9:10]
	v_mov_b32_e32 v11, s9
	v_add_co_u32_e32 v16, vcc, s8, v9
	v_addc_co_u32_e32 v17, vcc, v11, v10, vcc
	v_mov_b32_e32 v11, 0
	v_mov_b32_e32 v12, 0
	;; [unrolled: 1-line block ×6, first 2 shown]
	s_branch .LBB121_8
.LBB121_7:                              ;   in Loop: Header=BB121_8 Depth=1
	s_or_b64 exec, exec, s[0:1]
	s_add_u32 s18, s18, 1
	s_addc_u32 s19, s19, 0
	v_cmp_lt_i64_e32 vcc, s[18:19], v[18:19]
	v_add_co_u32_e64 v16, s[0:1], 4, v16
	v_addc_co_u32_e64 v17, s[0:1], 0, v17, s[0:1]
	s_cbranch_vccz .LBB121_10
.LBB121_8:                              ; =>This Inner Loop Header: Depth=1
	v_mov_b32_e32 v24, s19
	v_add_co_u32_e32 v23, vcc, s18, v22
	v_addc_co_u32_e32 v24, vcc, 0, v24, vcc
	v_cmp_gt_i64_e32 vcc, s[4:5], v[23:24]
	s_and_saveexec_b64 s[0:1], vcc
	s_cbranch_execz .LBB121_7
; %bb.9:                                ;   in Loop: Header=BB121_8 Depth=1
	global_load_dword v23, v[16:17], off
	v_mov_b32_e32 v29, s3
	s_waitcnt vmcnt(0)
	v_subrev_u32_e32 v23, s14, v23
	v_mad_u64_u32 v[27:28], s[8:9], v23, 26, v[13:14]
	global_load_dwordx4 v[23:26], v[14:15], off
	v_ashrrev_i32_e32 v28, 31, v27
	v_lshlrev_b64 v[27:28], 4, v[27:28]
	v_add_co_u32_e32 v27, vcc, s2, v27
	v_addc_co_u32_e32 v28, vcc, v29, v28, vcc
	global_load_dwordx4 v[27:30], v[27:28], off
	v_add_co_u32_e32 v14, vcc, 0x2a40, v14
	v_addc_co_u32_e32 v15, vcc, 0, v15, vcc
	s_waitcnt vmcnt(0)
	v_fma_f64 v[9:10], v[23:24], v[27:28], v[9:10]
	v_fma_f64 v[11:12], v[25:26], v[27:28], v[11:12]
	v_fma_f64 v[9:10], -v[25:26], v[29:30], v[9:10]
	v_fma_f64 v[11:12], v[23:24], v[29:30], v[11:12]
	s_branch .LBB121_7
.LBB121_10:
	s_and_b64 vcc, exec, s[16:17]
	ds_write_b128 v20, v[9:12]
	s_waitcnt lgkmcnt(0)
	s_barrier
	s_cbranch_vccz .LBB121_22
; %bb.11:
	v_cmp_gt_u16_e32 vcc, 10, v21
	s_and_saveexec_b64 s[0:1], vcc
	s_cbranch_execz .LBB121_13
; %bb.12:
	ds_read_b128 v[13:16], v20 offset:256
	ds_read_b128 v[22:25], v20
	s_waitcnt lgkmcnt(0)
	v_add_f64 v[13:14], v[13:14], v[22:23]
	v_add_f64 v[15:16], v[15:16], v[24:25]
	ds_write_b128 v20, v[13:16]
.LBB121_13:
	s_or_b64 exec, exec, s[0:1]
	v_cmp_gt_u16_e32 vcc, 8, v21
	s_waitcnt lgkmcnt(0)
	s_barrier
	s_and_saveexec_b64 s[0:1], vcc
	s_cbranch_execz .LBB121_15
; %bb.14:
	ds_read_b128 v[13:16], v20 offset:128
	ds_read_b128 v[22:25], v20
	s_waitcnt lgkmcnt(0)
	v_add_f64 v[13:14], v[13:14], v[22:23]
	v_add_f64 v[15:16], v[15:16], v[24:25]
	ds_write_b128 v20, v[13:16]
.LBB121_15:
	s_or_b64 exec, exec, s[0:1]
	v_cmp_gt_u16_e32 vcc, 4, v21
	s_waitcnt lgkmcnt(0)
	s_barrier
	;; [unrolled: 14-line block ×3, first 2 shown]
	s_and_saveexec_b64 s[0:1], vcc
	s_cbranch_execz .LBB121_19
; %bb.18:
	ds_read_b128 v[13:16], v20
	ds_read_b128 v[21:24], v20 offset:32
	s_waitcnt lgkmcnt(0)
	v_add_f64 v[13:14], v[21:22], v[13:14]
	v_add_f64 v[15:16], v[23:24], v[15:16]
	ds_write_b128 v20, v[13:16]
.LBB121_19:
	s_or_b64 exec, exec, s[0:1]
	v_mov_b32_e32 v16, v12
	v_mov_b32_e32 v14, v10
	v_cmp_gt_u32_e32 vcc, 26, v0
	v_mov_b32_e32 v15, v11
	v_mov_b32_e32 v13, v9
	s_waitcnt lgkmcnt(0)
	s_barrier
	s_and_saveexec_b64 s[0:1], vcc
	s_cbranch_execz .LBB121_21
; %bb.20:
	s_movk_i32 s2, 0x190
	v_mad_u32_u24 v17, v0, s2, v20
	ds_read_b128 v[13:16], v17
	ds_read_b128 v[21:24], v17 offset:16
	s_waitcnt lgkmcnt(0)
	v_add_f64 v[13:14], v[21:22], v[13:14]
	v_add_f64 v[15:16], v[23:24], v[15:16]
.LBB121_21:
	s_or_b64 exec, exec, s[0:1]
	s_branch .LBB121_34
.LBB121_22:
                                        ; implicit-def: $vgpr15_vgpr16
                                        ; implicit-def: $vgpr13_vgpr14
	s_cbranch_execz .LBB121_34
; %bb.23:
	s_movk_i32 s0, 0x104
	v_cmp_gt_u32_e32 vcc, s0, v0
	s_and_saveexec_b64 s[0:1], vcc
	s_cbranch_execz .LBB121_25
; %bb.24:
	ds_read_b128 v[13:16], v20 offset:6656
	ds_read_b128 v[21:24], v20
	s_waitcnt lgkmcnt(0)
	v_add_f64 v[13:14], v[13:14], v[21:22]
	v_add_f64 v[15:16], v[15:16], v[23:24]
	ds_write_b128 v20, v[13:16]
.LBB121_25:
	s_or_b64 exec, exec, s[0:1]
	s_movk_i32 s0, 0xd0
	v_cmp_gt_u32_e32 vcc, s0, v0
	s_waitcnt lgkmcnt(0)
	s_barrier
	s_and_saveexec_b64 s[0:1], vcc
	s_cbranch_execz .LBB121_27
; %bb.26:
	ds_read_b128 v[13:16], v20 offset:3328
	ds_read_b128 v[21:24], v20
	s_waitcnt lgkmcnt(0)
	v_add_f64 v[13:14], v[13:14], v[21:22]
	v_add_f64 v[15:16], v[15:16], v[23:24]
	ds_write_b128 v20, v[13:16]
.LBB121_27:
	s_or_b64 exec, exec, s[0:1]
	s_movk_i32 s0, 0x68
	v_cmp_gt_u32_e32 vcc, s0, v0
	s_waitcnt lgkmcnt(0)
	s_barrier
	s_and_saveexec_b64 s[0:1], vcc
	s_cbranch_execz .LBB121_29
; %bb.28:
	ds_read_b128 v[13:16], v20 offset:1664
	ds_read_b128 v[21:24], v20
	s_waitcnt lgkmcnt(0)
	v_add_f64 v[13:14], v[13:14], v[21:22]
	v_add_f64 v[15:16], v[15:16], v[23:24]
	ds_write_b128 v20, v[13:16]
.LBB121_29:
	s_or_b64 exec, exec, s[0:1]
	v_cmp_gt_u32_e32 vcc, 52, v0
	s_waitcnt lgkmcnt(0)
	s_barrier
	s_and_saveexec_b64 s[0:1], vcc
	s_cbranch_execz .LBB121_31
; %bb.30:
	ds_read_b128 v[13:16], v20 offset:832
	ds_read_b128 v[21:24], v20
	s_waitcnt lgkmcnt(0)
	v_add_f64 v[13:14], v[13:14], v[21:22]
	v_add_f64 v[15:16], v[15:16], v[23:24]
	ds_write_b128 v20, v[13:16]
.LBB121_31:
	s_or_b64 exec, exec, s[0:1]
	v_cmp_gt_u32_e32 vcc, 26, v0
	s_waitcnt lgkmcnt(0)
	s_and_saveexec_b64 s[0:1], vcc
	s_cbranch_execz .LBB121_33
; %bb.32:
	ds_read_b128 v[9:12], v20 offset:416
	ds_read_b128 v[13:16], v20
	s_waitcnt lgkmcnt(0)
	v_add_f64 v[9:10], v[9:10], v[13:14]
	v_add_f64 v[11:12], v[11:12], v[15:16]
.LBB121_33:
	s_or_b64 exec, exec, s[0:1]
	v_mov_b32_e32 v16, v12
	v_mov_b32_e32 v14, v10
	;; [unrolled: 1-line block ×4, first 2 shown]
.LBB121_34:
	v_cmp_gt_u32_e32 vcc, 26, v0
	s_and_b64 exec, exec, vcc
	s_cbranch_execz .LBB121_39
; %bb.35:
	v_mul_f64 v[9:10], v[15:16], -v[7:8]
	v_mul_f64 v[11:12], v[5:6], v[15:16]
	v_cmp_eq_f64_e32 vcc, 0, v[1:2]
	v_cmp_eq_f64_e64 s[0:1], 0, v[3:4]
	v_fma_f64 v[5:6], v[5:6], v[13:14], v[9:10]
	v_fma_f64 v[7:8], v[7:8], v[13:14], v[11:12]
	s_and_b64 s[0:1], vcc, s[0:1]
	s_and_saveexec_b64 s[2:3], s[0:1]
	s_xor_b64 s[0:1], exec, s[2:3]
	s_cbranch_execz .LBB121_37
; %bb.36:
	v_mad_u64_u32 v[0:1], s[2:3], s6, 26, v[0:1]
	v_mov_b32_e32 v1, 0
	v_mov_b32_e32 v2, s13
	v_lshlrev_b64 v[0:1], 4, v[0:1]
	v_add_co_u32_e32 v0, vcc, s12, v0
	v_addc_co_u32_e32 v1, vcc, v2, v1, vcc
	global_store_dwordx4 v[0:1], v[5:8], off
                                        ; implicit-def: $vgpr0
                                        ; implicit-def: $vgpr1_vgpr2
                                        ; implicit-def: $vgpr5_vgpr6
.LBB121_37:
	s_andn2_saveexec_b64 s[0:1], s[0:1]
	s_cbranch_execz .LBB121_39
; %bb.38:
	v_mad_u64_u32 v[9:10], s[0:1], s6, 26, v[0:1]
	v_mov_b32_e32 v10, 0
	v_mov_b32_e32 v0, s13
	v_lshlrev_b64 v[9:10], 4, v[9:10]
	v_add_co_u32_e32 v13, vcc, s12, v9
	v_addc_co_u32_e32 v14, vcc, v0, v10, vcc
	global_load_dwordx4 v[9:12], v[13:14], off
	s_waitcnt vmcnt(0)
	v_fma_f64 v[5:6], v[1:2], v[9:10], v[5:6]
	v_fma_f64 v[7:8], v[3:4], v[9:10], v[7:8]
	v_fma_f64 v[3:4], -v[3:4], v[11:12], v[5:6]
	v_fma_f64 v[5:6], v[1:2], v[11:12], v[7:8]
	global_store_dwordx4 v[13:14], v[3:6], off
.LBB121_39:
	s_endpgm
	.section	.rodata,"a",@progbits
	.p2align	6, 0x0
	.amdhsa_kernel _ZN9rocsparseL20bsrxmvn_17_32_kernelILj26E21rocsparse_complex_numIdEliS2_S2_S2_EEvT2_20rocsparse_direction_NS_24const_host_device_scalarIT0_EES3_PKS3_PKT1_SC_S9_PKT3_PKT4_S7_PT5_21rocsparse_index_base_b
		.amdhsa_group_segment_fixed_size 10816
		.amdhsa_private_segment_fixed_size 0
		.amdhsa_kernarg_size 112
		.amdhsa_user_sgpr_count 6
		.amdhsa_user_sgpr_private_segment_buffer 1
		.amdhsa_user_sgpr_dispatch_ptr 0
		.amdhsa_user_sgpr_queue_ptr 0
		.amdhsa_user_sgpr_kernarg_segment_ptr 1
		.amdhsa_user_sgpr_dispatch_id 0
		.amdhsa_user_sgpr_flat_scratch_init 0
		.amdhsa_user_sgpr_private_segment_size 0
		.amdhsa_uses_dynamic_stack 0
		.amdhsa_system_sgpr_private_segment_wavefront_offset 0
		.amdhsa_system_sgpr_workgroup_id_x 1
		.amdhsa_system_sgpr_workgroup_id_y 0
		.amdhsa_system_sgpr_workgroup_id_z 0
		.amdhsa_system_sgpr_workgroup_info 0
		.amdhsa_system_vgpr_workitem_id 0
		.amdhsa_next_free_vgpr 31
		.amdhsa_next_free_sgpr 61
		.amdhsa_reserve_vcc 1
		.amdhsa_reserve_flat_scratch 0
		.amdhsa_float_round_mode_32 0
		.amdhsa_float_round_mode_16_64 0
		.amdhsa_float_denorm_mode_32 3
		.amdhsa_float_denorm_mode_16_64 3
		.amdhsa_dx10_clamp 1
		.amdhsa_ieee_mode 1
		.amdhsa_fp16_overflow 0
		.amdhsa_exception_fp_ieee_invalid_op 0
		.amdhsa_exception_fp_denorm_src 0
		.amdhsa_exception_fp_ieee_div_zero 0
		.amdhsa_exception_fp_ieee_overflow 0
		.amdhsa_exception_fp_ieee_underflow 0
		.amdhsa_exception_fp_ieee_inexact 0
		.amdhsa_exception_int_div_zero 0
	.end_amdhsa_kernel
	.section	.text._ZN9rocsparseL20bsrxmvn_17_32_kernelILj26E21rocsparse_complex_numIdEliS2_S2_S2_EEvT2_20rocsparse_direction_NS_24const_host_device_scalarIT0_EES3_PKS3_PKT1_SC_S9_PKT3_PKT4_S7_PT5_21rocsparse_index_base_b,"axG",@progbits,_ZN9rocsparseL20bsrxmvn_17_32_kernelILj26E21rocsparse_complex_numIdEliS2_S2_S2_EEvT2_20rocsparse_direction_NS_24const_host_device_scalarIT0_EES3_PKS3_PKT1_SC_S9_PKT3_PKT4_S7_PT5_21rocsparse_index_base_b,comdat
.Lfunc_end121:
	.size	_ZN9rocsparseL20bsrxmvn_17_32_kernelILj26E21rocsparse_complex_numIdEliS2_S2_S2_EEvT2_20rocsparse_direction_NS_24const_host_device_scalarIT0_EES3_PKS3_PKT1_SC_S9_PKT3_PKT4_S7_PT5_21rocsparse_index_base_b, .Lfunc_end121-_ZN9rocsparseL20bsrxmvn_17_32_kernelILj26E21rocsparse_complex_numIdEliS2_S2_S2_EEvT2_20rocsparse_direction_NS_24const_host_device_scalarIT0_EES3_PKS3_PKT1_SC_S9_PKT3_PKT4_S7_PT5_21rocsparse_index_base_b
                                        ; -- End function
	.set _ZN9rocsparseL20bsrxmvn_17_32_kernelILj26E21rocsparse_complex_numIdEliS2_S2_S2_EEvT2_20rocsparse_direction_NS_24const_host_device_scalarIT0_EES3_PKS3_PKT1_SC_S9_PKT3_PKT4_S7_PT5_21rocsparse_index_base_b.num_vgpr, 31
	.set _ZN9rocsparseL20bsrxmvn_17_32_kernelILj26E21rocsparse_complex_numIdEliS2_S2_S2_EEvT2_20rocsparse_direction_NS_24const_host_device_scalarIT0_EES3_PKS3_PKT1_SC_S9_PKT3_PKT4_S7_PT5_21rocsparse_index_base_b.num_agpr, 0
	.set _ZN9rocsparseL20bsrxmvn_17_32_kernelILj26E21rocsparse_complex_numIdEliS2_S2_S2_EEvT2_20rocsparse_direction_NS_24const_host_device_scalarIT0_EES3_PKS3_PKT1_SC_S9_PKT3_PKT4_S7_PT5_21rocsparse_index_base_b.numbered_sgpr, 22
	.set _ZN9rocsparseL20bsrxmvn_17_32_kernelILj26E21rocsparse_complex_numIdEliS2_S2_S2_EEvT2_20rocsparse_direction_NS_24const_host_device_scalarIT0_EES3_PKS3_PKT1_SC_S9_PKT3_PKT4_S7_PT5_21rocsparse_index_base_b.num_named_barrier, 0
	.set _ZN9rocsparseL20bsrxmvn_17_32_kernelILj26E21rocsparse_complex_numIdEliS2_S2_S2_EEvT2_20rocsparse_direction_NS_24const_host_device_scalarIT0_EES3_PKS3_PKT1_SC_S9_PKT3_PKT4_S7_PT5_21rocsparse_index_base_b.private_seg_size, 0
	.set _ZN9rocsparseL20bsrxmvn_17_32_kernelILj26E21rocsparse_complex_numIdEliS2_S2_S2_EEvT2_20rocsparse_direction_NS_24const_host_device_scalarIT0_EES3_PKS3_PKT1_SC_S9_PKT3_PKT4_S7_PT5_21rocsparse_index_base_b.uses_vcc, 1
	.set _ZN9rocsparseL20bsrxmvn_17_32_kernelILj26E21rocsparse_complex_numIdEliS2_S2_S2_EEvT2_20rocsparse_direction_NS_24const_host_device_scalarIT0_EES3_PKS3_PKT1_SC_S9_PKT3_PKT4_S7_PT5_21rocsparse_index_base_b.uses_flat_scratch, 0
	.set _ZN9rocsparseL20bsrxmvn_17_32_kernelILj26E21rocsparse_complex_numIdEliS2_S2_S2_EEvT2_20rocsparse_direction_NS_24const_host_device_scalarIT0_EES3_PKS3_PKT1_SC_S9_PKT3_PKT4_S7_PT5_21rocsparse_index_base_b.has_dyn_sized_stack, 0
	.set _ZN9rocsparseL20bsrxmvn_17_32_kernelILj26E21rocsparse_complex_numIdEliS2_S2_S2_EEvT2_20rocsparse_direction_NS_24const_host_device_scalarIT0_EES3_PKS3_PKT1_SC_S9_PKT3_PKT4_S7_PT5_21rocsparse_index_base_b.has_recursion, 0
	.set _ZN9rocsparseL20bsrxmvn_17_32_kernelILj26E21rocsparse_complex_numIdEliS2_S2_S2_EEvT2_20rocsparse_direction_NS_24const_host_device_scalarIT0_EES3_PKS3_PKT1_SC_S9_PKT3_PKT4_S7_PT5_21rocsparse_index_base_b.has_indirect_call, 0
	.section	.AMDGPU.csdata,"",@progbits
; Kernel info:
; codeLenInByte = 1716
; TotalNumSgprs: 26
; NumVgprs: 31
; ScratchSize: 0
; MemoryBound: 0
; FloatMode: 240
; IeeeMode: 1
; LDSByteSize: 10816 bytes/workgroup (compile time only)
; SGPRBlocks: 8
; VGPRBlocks: 7
; NumSGPRsForWavesPerEU: 65
; NumVGPRsForWavesPerEU: 31
; Occupancy: 8
; WaveLimiterHint : 1
; COMPUTE_PGM_RSRC2:SCRATCH_EN: 0
; COMPUTE_PGM_RSRC2:USER_SGPR: 6
; COMPUTE_PGM_RSRC2:TRAP_HANDLER: 0
; COMPUTE_PGM_RSRC2:TGID_X_EN: 1
; COMPUTE_PGM_RSRC2:TGID_Y_EN: 0
; COMPUTE_PGM_RSRC2:TGID_Z_EN: 0
; COMPUTE_PGM_RSRC2:TIDIG_COMP_CNT: 0
	.section	.text._ZN9rocsparseL20bsrxmvn_17_32_kernelILj27E21rocsparse_complex_numIdEliS2_S2_S2_EEvT2_20rocsparse_direction_NS_24const_host_device_scalarIT0_EES3_PKS3_PKT1_SC_S9_PKT3_PKT4_S7_PT5_21rocsparse_index_base_b,"axG",@progbits,_ZN9rocsparseL20bsrxmvn_17_32_kernelILj27E21rocsparse_complex_numIdEliS2_S2_S2_EEvT2_20rocsparse_direction_NS_24const_host_device_scalarIT0_EES3_PKS3_PKT1_SC_S9_PKT3_PKT4_S7_PT5_21rocsparse_index_base_b,comdat
	.globl	_ZN9rocsparseL20bsrxmvn_17_32_kernelILj27E21rocsparse_complex_numIdEliS2_S2_S2_EEvT2_20rocsparse_direction_NS_24const_host_device_scalarIT0_EES3_PKS3_PKT1_SC_S9_PKT3_PKT4_S7_PT5_21rocsparse_index_base_b ; -- Begin function _ZN9rocsparseL20bsrxmvn_17_32_kernelILj27E21rocsparse_complex_numIdEliS2_S2_S2_EEvT2_20rocsparse_direction_NS_24const_host_device_scalarIT0_EES3_PKS3_PKT1_SC_S9_PKT3_PKT4_S7_PT5_21rocsparse_index_base_b
	.p2align	8
	.type	_ZN9rocsparseL20bsrxmvn_17_32_kernelILj27E21rocsparse_complex_numIdEliS2_S2_S2_EEvT2_20rocsparse_direction_NS_24const_host_device_scalarIT0_EES3_PKS3_PKT1_SC_S9_PKT3_PKT4_S7_PT5_21rocsparse_index_base_b,@function
_ZN9rocsparseL20bsrxmvn_17_32_kernelILj27E21rocsparse_complex_numIdEliS2_S2_S2_EEvT2_20rocsparse_direction_NS_24const_host_device_scalarIT0_EES3_PKS3_PKT1_SC_S9_PKT3_PKT4_S7_PT5_21rocsparse_index_base_b: ; @_ZN9rocsparseL20bsrxmvn_17_32_kernelILj27E21rocsparse_complex_numIdEliS2_S2_S2_EEvT2_20rocsparse_direction_NS_24const_host_device_scalarIT0_EES3_PKS3_PKT1_SC_S9_PKT3_PKT4_S7_PT5_21rocsparse_index_base_b
; %bb.0:
	s_load_dwordx2 s[0:1], s[4:5], 0x8
	s_load_dwordx2 s[14:15], s[4:5], 0x68
	s_add_u32 s7, s4, 8
	s_addc_u32 s8, s5, 0
	s_add_u32 s9, s4, 0x50
	s_addc_u32 s10, s5, 0
	s_waitcnt lgkmcnt(0)
	s_bitcmp1_b32 s15, 0
	s_cselect_b32 s1, s8, s1
	s_cselect_b32 s0, s7, s0
	v_mov_b32_e32 v1, s0
	v_mov_b32_e32 v2, s1
	flat_load_dwordx4 v[5:8], v[1:2]
	s_load_dwordx2 s[2:3], s[4:5], 0x50
	s_waitcnt lgkmcnt(0)
	s_cselect_b32 s0, s10, s3
	s_cselect_b32 s1, s9, s2
	v_mov_b32_e32 v1, s1
	v_mov_b32_e32 v2, s0
	flat_load_dwordx4 v[1:4], v[1:2]
	s_waitcnt vmcnt(0)
	v_cmp_eq_f64_e32 vcc, 0, v[5:6]
	v_cmp_eq_f64_e64 s[0:1], 0, v[7:8]
	s_and_b64 s[8:9], vcc, s[0:1]
	s_mov_b64 s[0:1], -1
	s_and_saveexec_b64 s[2:3], s[8:9]
	s_cbranch_execz .LBB122_2
; %bb.1:
	s_waitcnt lgkmcnt(0)
	v_cmp_neq_f64_e32 vcc, 1.0, v[1:2]
	v_cmp_neq_f64_e64 s[0:1], 0, v[3:4]
	s_or_b64 s[0:1], vcc, s[0:1]
	s_orn2_b64 s[0:1], s[0:1], exec
.LBB122_2:
	s_or_b64 exec, exec, s[2:3]
	s_and_saveexec_b64 s[2:3], s[0:1]
	s_cbranch_execz .LBB122_39
; %bb.3:
	s_load_dwordx4 s[0:3], s[4:5], 0x20
	s_load_dwordx2 s[8:9], s[4:5], 0x30
	s_waitcnt lgkmcnt(0)
	s_cmp_eq_u64 s[0:1], 0
	s_cbranch_scc1 .LBB122_5
; %bb.4:
	s_ashr_i32 s7, s6, 31
	s_lshl_b64 s[6:7], s[6:7], 2
	s_add_u32 s0, s0, s6
	s_addc_u32 s1, s1, s7
	s_load_dword s0, s[0:1], 0x0
	s_waitcnt lgkmcnt(0)
	s_sub_i32 s6, s0, s14
.LBB122_5:
	s_load_dword s7, s[4:5], 0x4
	s_load_dwordx2 s[12:13], s[4:5], 0x60
	v_mul_u32_u24_e32 v13, 0x97c, v0
	v_mov_b32_e32 v9, 27
	v_mul_lo_u16_sdwa v9, v13, v9 dst_sel:DWORD dst_unused:UNUSED_PAD src0_sel:WORD_1 src1_sel:DWORD
	s_waitcnt lgkmcnt(0)
	s_cmp_eq_u32 s7, 1
	s_cselect_b64 s[0:1], -1, 0
	s_cmp_lg_u32 s7, 1
	s_cselect_b64 s[16:17], -1, 0
	s_ashr_i32 s7, s6, 31
	s_lshl_b64 s[10:11], s[6:7], 3
	s_add_u32 s2, s2, s10
	s_addc_u32 s3, s3, s11
	s_add_u32 s7, s2, 8
	s_addc_u32 s15, s3, 0
	;; [unrolled: 2-line block ×3, first 2 shown]
	s_cmp_eq_u64 s[8:9], 0
	s_cselect_b32 s9, s15, s11
	s_cselect_b32 s8, s7, s10
	s_load_dwordx2 s[18:19], s[8:9], 0x0
	s_load_dwordx2 s[20:21], s[2:3], 0x0
	v_sub_u16_e32 v21, v0, v9
	v_mov_b32_e32 v11, 0
	v_mov_b32_e32 v12, 0
	s_waitcnt lgkmcnt(0)
	v_mov_b32_e32 v9, s18
	v_mov_b32_e32 v10, s19
	v_cmp_ge_i64_e32 vcc, s[20:21], v[9:10]
	v_mov_b32_e32 v9, 0
	v_lshlrev_b32_e32 v20, 4, v0
	v_mov_b32_e32 v10, 0
	s_cbranch_vccnz .LBB122_10
; %bb.6:
	s_load_dwordx2 s[2:3], s[4:5], 0x48
	s_load_dwordx4 s[8:11], s[4:5], 0x38
	s_sub_u32 s4, s18, s14
	s_mov_b32 s7, 0xffff
	s_subb_u32 s5, s19, 0
	s_movk_i32 s15, 0x2d9
	v_and_b32_sdwa v9, s7, v13 dst_sel:DWORD dst_unused:UNUSED_PAD src0_sel:DWORD src1_sel:WORD_1
	v_subrev_u32_e32 v10, 27, v9
	v_cmp_gt_u32_e32 vcc, s15, v0
	s_sub_u32 s18, s20, s14
	v_cndmask_b32_e32 v9, v10, v9, vcc
	s_subb_u32 s19, s21, 0
	v_cndmask_b32_e64 v13, v21, v9, s[0:1]
	s_mul_i32 s0, s19, 0x2d90
	s_mul_hi_u32 s1, s18, 0x2d90
	s_add_i32 s1, s1, s0
	s_mul_i32 s0, s18, 0x2d90
	s_waitcnt lgkmcnt(0)
	s_add_u32 s0, s10, s0
	s_addc_u32 s1, s11, s1
	v_mov_b32_e32 v9, s1
	v_add_co_u32_e32 v14, vcc, s0, v20
	v_addc_co_u32_e32 v15, vcc, 0, v9, vcc
	s_movk_i32 s0, 0x2d8
	v_cmp_lt_u32_e32 vcc, s0, v0
	v_cndmask_b32_e64 v22, 0, 1, vcc
	v_mov_b32_e32 v9, s21
	v_add_co_u32_e32 v10, vcc, s20, v22
	v_addc_co_u32_e32 v11, vcc, 0, v9, vcc
	v_subrev_co_u32_e32 v9, vcc, s14, v10
	v_subbrev_co_u32_e32 v10, vcc, 0, v11, vcc
	v_lshlrev_b64 v[9:10], 2, v[9:10]
	v_mov_b32_e32 v11, s9
	v_add_co_u32_e32 v16, vcc, s8, v9
	v_addc_co_u32_e32 v17, vcc, v11, v10, vcc
	v_mov_b32_e32 v11, 0
	v_mov_b32_e32 v12, 0
	v_mov_b32_e32 v19, s5
	v_mov_b32_e32 v9, v11
	v_mov_b32_e32 v18, s4
	v_mov_b32_e32 v10, v12
	s_branch .LBB122_8
.LBB122_7:                              ;   in Loop: Header=BB122_8 Depth=1
	s_or_b64 exec, exec, s[0:1]
	s_add_u32 s18, s18, 1
	s_addc_u32 s19, s19, 0
	v_cmp_lt_i64_e32 vcc, s[18:19], v[18:19]
	v_add_co_u32_e64 v16, s[0:1], 4, v16
	v_addc_co_u32_e64 v17, s[0:1], 0, v17, s[0:1]
	s_cbranch_vccz .LBB122_10
.LBB122_8:                              ; =>This Inner Loop Header: Depth=1
	v_mov_b32_e32 v24, s19
	v_add_co_u32_e32 v23, vcc, s18, v22
	v_addc_co_u32_e32 v24, vcc, 0, v24, vcc
	v_cmp_gt_i64_e32 vcc, s[4:5], v[23:24]
	s_and_saveexec_b64 s[0:1], vcc
	s_cbranch_execz .LBB122_7
; %bb.9:                                ;   in Loop: Header=BB122_8 Depth=1
	global_load_dword v23, v[16:17], off
	v_mov_b32_e32 v29, s3
	s_waitcnt vmcnt(0)
	v_subrev_u32_e32 v23, s14, v23
	v_mad_u64_u32 v[27:28], s[8:9], v23, 27, v[13:14]
	global_load_dwordx4 v[23:26], v[14:15], off
	v_ashrrev_i32_e32 v28, 31, v27
	v_lshlrev_b64 v[27:28], 4, v[27:28]
	v_add_co_u32_e32 v27, vcc, s2, v27
	v_addc_co_u32_e32 v28, vcc, v29, v28, vcc
	global_load_dwordx4 v[27:30], v[27:28], off
	v_add_co_u32_e32 v14, vcc, 0x2d90, v14
	v_addc_co_u32_e32 v15, vcc, 0, v15, vcc
	s_waitcnt vmcnt(0)
	v_fma_f64 v[9:10], v[23:24], v[27:28], v[9:10]
	v_fma_f64 v[11:12], v[25:26], v[27:28], v[11:12]
	v_fma_f64 v[9:10], -v[25:26], v[29:30], v[9:10]
	v_fma_f64 v[11:12], v[23:24], v[29:30], v[11:12]
	s_branch .LBB122_7
.LBB122_10:
	s_and_b64 vcc, exec, s[16:17]
	ds_write_b128 v20, v[9:12]
	s_waitcnt lgkmcnt(0)
	s_barrier
	s_cbranch_vccz .LBB122_22
; %bb.11:
	v_cmp_gt_u16_e32 vcc, 11, v21
	s_and_saveexec_b64 s[0:1], vcc
	s_cbranch_execz .LBB122_13
; %bb.12:
	ds_read_b128 v[13:16], v20 offset:256
	ds_read_b128 v[22:25], v20
	s_waitcnt lgkmcnt(0)
	v_add_f64 v[13:14], v[13:14], v[22:23]
	v_add_f64 v[15:16], v[15:16], v[24:25]
	ds_write_b128 v20, v[13:16]
.LBB122_13:
	s_or_b64 exec, exec, s[0:1]
	v_cmp_gt_u16_e32 vcc, 8, v21
	s_waitcnt lgkmcnt(0)
	s_barrier
	s_and_saveexec_b64 s[0:1], vcc
	s_cbranch_execz .LBB122_15
; %bb.14:
	ds_read_b128 v[13:16], v20 offset:128
	ds_read_b128 v[22:25], v20
	s_waitcnt lgkmcnt(0)
	v_add_f64 v[13:14], v[13:14], v[22:23]
	v_add_f64 v[15:16], v[15:16], v[24:25]
	ds_write_b128 v20, v[13:16]
.LBB122_15:
	s_or_b64 exec, exec, s[0:1]
	v_cmp_gt_u16_e32 vcc, 4, v21
	s_waitcnt lgkmcnt(0)
	s_barrier
	;; [unrolled: 14-line block ×3, first 2 shown]
	s_and_saveexec_b64 s[0:1], vcc
	s_cbranch_execz .LBB122_19
; %bb.18:
	ds_read_b128 v[13:16], v20
	ds_read_b128 v[21:24], v20 offset:32
	s_waitcnt lgkmcnt(0)
	v_add_f64 v[13:14], v[21:22], v[13:14]
	v_add_f64 v[15:16], v[23:24], v[15:16]
	ds_write_b128 v20, v[13:16]
.LBB122_19:
	s_or_b64 exec, exec, s[0:1]
	v_mov_b32_e32 v16, v12
	v_mov_b32_e32 v14, v10
	v_cmp_gt_u32_e32 vcc, 27, v0
	v_mov_b32_e32 v15, v11
	v_mov_b32_e32 v13, v9
	s_waitcnt lgkmcnt(0)
	s_barrier
	s_and_saveexec_b64 s[0:1], vcc
	s_cbranch_execz .LBB122_21
; %bb.20:
	s_movk_i32 s2, 0x1a0
	v_mad_u32_u24 v17, v0, s2, v20
	ds_read_b128 v[13:16], v17
	ds_read_b128 v[21:24], v17 offset:16
	s_waitcnt lgkmcnt(0)
	v_add_f64 v[13:14], v[21:22], v[13:14]
	v_add_f64 v[15:16], v[23:24], v[15:16]
.LBB122_21:
	s_or_b64 exec, exec, s[0:1]
	s_branch .LBB122_34
.LBB122_22:
                                        ; implicit-def: $vgpr15_vgpr16
                                        ; implicit-def: $vgpr13_vgpr14
	s_cbranch_execz .LBB122_34
; %bb.23:
	s_movk_i32 s0, 0x129
	v_cmp_gt_u32_e32 vcc, s0, v0
	s_and_saveexec_b64 s[0:1], vcc
	s_cbranch_execz .LBB122_25
; %bb.24:
	ds_read_b128 v[13:16], v20 offset:6912
	ds_read_b128 v[21:24], v20
	s_waitcnt lgkmcnt(0)
	v_add_f64 v[13:14], v[13:14], v[21:22]
	v_add_f64 v[15:16], v[15:16], v[23:24]
	ds_write_b128 v20, v[13:16]
.LBB122_25:
	s_or_b64 exec, exec, s[0:1]
	s_movk_i32 s0, 0xd8
	v_cmp_gt_u32_e32 vcc, s0, v0
	s_waitcnt lgkmcnt(0)
	s_barrier
	s_and_saveexec_b64 s[0:1], vcc
	s_cbranch_execz .LBB122_27
; %bb.26:
	ds_read_b128 v[13:16], v20 offset:3456
	ds_read_b128 v[21:24], v20
	s_waitcnt lgkmcnt(0)
	v_add_f64 v[13:14], v[13:14], v[21:22]
	v_add_f64 v[15:16], v[15:16], v[23:24]
	ds_write_b128 v20, v[13:16]
.LBB122_27:
	s_or_b64 exec, exec, s[0:1]
	s_movk_i32 s0, 0x6c
	v_cmp_gt_u32_e32 vcc, s0, v0
	s_waitcnt lgkmcnt(0)
	s_barrier
	s_and_saveexec_b64 s[0:1], vcc
	s_cbranch_execz .LBB122_29
; %bb.28:
	ds_read_b128 v[13:16], v20 offset:1728
	ds_read_b128 v[21:24], v20
	s_waitcnt lgkmcnt(0)
	v_add_f64 v[13:14], v[13:14], v[21:22]
	v_add_f64 v[15:16], v[15:16], v[23:24]
	ds_write_b128 v20, v[13:16]
.LBB122_29:
	s_or_b64 exec, exec, s[0:1]
	v_cmp_gt_u32_e32 vcc, 54, v0
	s_waitcnt lgkmcnt(0)
	s_barrier
	s_and_saveexec_b64 s[0:1], vcc
	s_cbranch_execz .LBB122_31
; %bb.30:
	ds_read_b128 v[13:16], v20 offset:864
	ds_read_b128 v[21:24], v20
	s_waitcnt lgkmcnt(0)
	v_add_f64 v[13:14], v[13:14], v[21:22]
	v_add_f64 v[15:16], v[15:16], v[23:24]
	ds_write_b128 v20, v[13:16]
.LBB122_31:
	s_or_b64 exec, exec, s[0:1]
	v_cmp_gt_u32_e32 vcc, 27, v0
	s_waitcnt lgkmcnt(0)
	s_and_saveexec_b64 s[0:1], vcc
	s_cbranch_execz .LBB122_33
; %bb.32:
	ds_read_b128 v[9:12], v20 offset:432
	ds_read_b128 v[13:16], v20
	s_waitcnt lgkmcnt(0)
	v_add_f64 v[9:10], v[9:10], v[13:14]
	v_add_f64 v[11:12], v[11:12], v[15:16]
.LBB122_33:
	s_or_b64 exec, exec, s[0:1]
	v_mov_b32_e32 v16, v12
	v_mov_b32_e32 v14, v10
	;; [unrolled: 1-line block ×4, first 2 shown]
.LBB122_34:
	v_cmp_gt_u32_e32 vcc, 27, v0
	s_and_b64 exec, exec, vcc
	s_cbranch_execz .LBB122_39
; %bb.35:
	v_mul_f64 v[9:10], v[15:16], -v[7:8]
	v_mul_f64 v[11:12], v[5:6], v[15:16]
	v_cmp_eq_f64_e32 vcc, 0, v[1:2]
	v_cmp_eq_f64_e64 s[0:1], 0, v[3:4]
	v_fma_f64 v[5:6], v[5:6], v[13:14], v[9:10]
	v_fma_f64 v[7:8], v[7:8], v[13:14], v[11:12]
	s_and_b64 s[0:1], vcc, s[0:1]
	s_and_saveexec_b64 s[2:3], s[0:1]
	s_xor_b64 s[0:1], exec, s[2:3]
	s_cbranch_execz .LBB122_37
; %bb.36:
	v_mad_u64_u32 v[0:1], s[2:3], s6, 27, v[0:1]
	v_mov_b32_e32 v1, 0
	v_mov_b32_e32 v2, s13
	v_lshlrev_b64 v[0:1], 4, v[0:1]
	v_add_co_u32_e32 v0, vcc, s12, v0
	v_addc_co_u32_e32 v1, vcc, v2, v1, vcc
	global_store_dwordx4 v[0:1], v[5:8], off
                                        ; implicit-def: $vgpr0
                                        ; implicit-def: $vgpr1_vgpr2
                                        ; implicit-def: $vgpr5_vgpr6
.LBB122_37:
	s_andn2_saveexec_b64 s[0:1], s[0:1]
	s_cbranch_execz .LBB122_39
; %bb.38:
	v_mad_u64_u32 v[9:10], s[0:1], s6, 27, v[0:1]
	v_mov_b32_e32 v10, 0
	v_mov_b32_e32 v0, s13
	v_lshlrev_b64 v[9:10], 4, v[9:10]
	v_add_co_u32_e32 v13, vcc, s12, v9
	v_addc_co_u32_e32 v14, vcc, v0, v10, vcc
	global_load_dwordx4 v[9:12], v[13:14], off
	s_waitcnt vmcnt(0)
	v_fma_f64 v[5:6], v[1:2], v[9:10], v[5:6]
	v_fma_f64 v[7:8], v[3:4], v[9:10], v[7:8]
	v_fma_f64 v[3:4], -v[3:4], v[11:12], v[5:6]
	v_fma_f64 v[5:6], v[1:2], v[11:12], v[7:8]
	global_store_dwordx4 v[13:14], v[3:6], off
.LBB122_39:
	s_endpgm
	.section	.rodata,"a",@progbits
	.p2align	6, 0x0
	.amdhsa_kernel _ZN9rocsparseL20bsrxmvn_17_32_kernelILj27E21rocsparse_complex_numIdEliS2_S2_S2_EEvT2_20rocsparse_direction_NS_24const_host_device_scalarIT0_EES3_PKS3_PKT1_SC_S9_PKT3_PKT4_S7_PT5_21rocsparse_index_base_b
		.amdhsa_group_segment_fixed_size 11664
		.amdhsa_private_segment_fixed_size 0
		.amdhsa_kernarg_size 112
		.amdhsa_user_sgpr_count 6
		.amdhsa_user_sgpr_private_segment_buffer 1
		.amdhsa_user_sgpr_dispatch_ptr 0
		.amdhsa_user_sgpr_queue_ptr 0
		.amdhsa_user_sgpr_kernarg_segment_ptr 1
		.amdhsa_user_sgpr_dispatch_id 0
		.amdhsa_user_sgpr_flat_scratch_init 0
		.amdhsa_user_sgpr_private_segment_size 0
		.amdhsa_uses_dynamic_stack 0
		.amdhsa_system_sgpr_private_segment_wavefront_offset 0
		.amdhsa_system_sgpr_workgroup_id_x 1
		.amdhsa_system_sgpr_workgroup_id_y 0
		.amdhsa_system_sgpr_workgroup_id_z 0
		.amdhsa_system_sgpr_workgroup_info 0
		.amdhsa_system_vgpr_workitem_id 0
		.amdhsa_next_free_vgpr 31
		.amdhsa_next_free_sgpr 61
		.amdhsa_reserve_vcc 1
		.amdhsa_reserve_flat_scratch 0
		.amdhsa_float_round_mode_32 0
		.amdhsa_float_round_mode_16_64 0
		.amdhsa_float_denorm_mode_32 3
		.amdhsa_float_denorm_mode_16_64 3
		.amdhsa_dx10_clamp 1
		.amdhsa_ieee_mode 1
		.amdhsa_fp16_overflow 0
		.amdhsa_exception_fp_ieee_invalid_op 0
		.amdhsa_exception_fp_denorm_src 0
		.amdhsa_exception_fp_ieee_div_zero 0
		.amdhsa_exception_fp_ieee_overflow 0
		.amdhsa_exception_fp_ieee_underflow 0
		.amdhsa_exception_fp_ieee_inexact 0
		.amdhsa_exception_int_div_zero 0
	.end_amdhsa_kernel
	.section	.text._ZN9rocsparseL20bsrxmvn_17_32_kernelILj27E21rocsparse_complex_numIdEliS2_S2_S2_EEvT2_20rocsparse_direction_NS_24const_host_device_scalarIT0_EES3_PKS3_PKT1_SC_S9_PKT3_PKT4_S7_PT5_21rocsparse_index_base_b,"axG",@progbits,_ZN9rocsparseL20bsrxmvn_17_32_kernelILj27E21rocsparse_complex_numIdEliS2_S2_S2_EEvT2_20rocsparse_direction_NS_24const_host_device_scalarIT0_EES3_PKS3_PKT1_SC_S9_PKT3_PKT4_S7_PT5_21rocsparse_index_base_b,comdat
.Lfunc_end122:
	.size	_ZN9rocsparseL20bsrxmvn_17_32_kernelILj27E21rocsparse_complex_numIdEliS2_S2_S2_EEvT2_20rocsparse_direction_NS_24const_host_device_scalarIT0_EES3_PKS3_PKT1_SC_S9_PKT3_PKT4_S7_PT5_21rocsparse_index_base_b, .Lfunc_end122-_ZN9rocsparseL20bsrxmvn_17_32_kernelILj27E21rocsparse_complex_numIdEliS2_S2_S2_EEvT2_20rocsparse_direction_NS_24const_host_device_scalarIT0_EES3_PKS3_PKT1_SC_S9_PKT3_PKT4_S7_PT5_21rocsparse_index_base_b
                                        ; -- End function
	.set _ZN9rocsparseL20bsrxmvn_17_32_kernelILj27E21rocsparse_complex_numIdEliS2_S2_S2_EEvT2_20rocsparse_direction_NS_24const_host_device_scalarIT0_EES3_PKS3_PKT1_SC_S9_PKT3_PKT4_S7_PT5_21rocsparse_index_base_b.num_vgpr, 31
	.set _ZN9rocsparseL20bsrxmvn_17_32_kernelILj27E21rocsparse_complex_numIdEliS2_S2_S2_EEvT2_20rocsparse_direction_NS_24const_host_device_scalarIT0_EES3_PKS3_PKT1_SC_S9_PKT3_PKT4_S7_PT5_21rocsparse_index_base_b.num_agpr, 0
	.set _ZN9rocsparseL20bsrxmvn_17_32_kernelILj27E21rocsparse_complex_numIdEliS2_S2_S2_EEvT2_20rocsparse_direction_NS_24const_host_device_scalarIT0_EES3_PKS3_PKT1_SC_S9_PKT3_PKT4_S7_PT5_21rocsparse_index_base_b.numbered_sgpr, 22
	.set _ZN9rocsparseL20bsrxmvn_17_32_kernelILj27E21rocsparse_complex_numIdEliS2_S2_S2_EEvT2_20rocsparse_direction_NS_24const_host_device_scalarIT0_EES3_PKS3_PKT1_SC_S9_PKT3_PKT4_S7_PT5_21rocsparse_index_base_b.num_named_barrier, 0
	.set _ZN9rocsparseL20bsrxmvn_17_32_kernelILj27E21rocsparse_complex_numIdEliS2_S2_S2_EEvT2_20rocsparse_direction_NS_24const_host_device_scalarIT0_EES3_PKS3_PKT1_SC_S9_PKT3_PKT4_S7_PT5_21rocsparse_index_base_b.private_seg_size, 0
	.set _ZN9rocsparseL20bsrxmvn_17_32_kernelILj27E21rocsparse_complex_numIdEliS2_S2_S2_EEvT2_20rocsparse_direction_NS_24const_host_device_scalarIT0_EES3_PKS3_PKT1_SC_S9_PKT3_PKT4_S7_PT5_21rocsparse_index_base_b.uses_vcc, 1
	.set _ZN9rocsparseL20bsrxmvn_17_32_kernelILj27E21rocsparse_complex_numIdEliS2_S2_S2_EEvT2_20rocsparse_direction_NS_24const_host_device_scalarIT0_EES3_PKS3_PKT1_SC_S9_PKT3_PKT4_S7_PT5_21rocsparse_index_base_b.uses_flat_scratch, 0
	.set _ZN9rocsparseL20bsrxmvn_17_32_kernelILj27E21rocsparse_complex_numIdEliS2_S2_S2_EEvT2_20rocsparse_direction_NS_24const_host_device_scalarIT0_EES3_PKS3_PKT1_SC_S9_PKT3_PKT4_S7_PT5_21rocsparse_index_base_b.has_dyn_sized_stack, 0
	.set _ZN9rocsparseL20bsrxmvn_17_32_kernelILj27E21rocsparse_complex_numIdEliS2_S2_S2_EEvT2_20rocsparse_direction_NS_24const_host_device_scalarIT0_EES3_PKS3_PKT1_SC_S9_PKT3_PKT4_S7_PT5_21rocsparse_index_base_b.has_recursion, 0
	.set _ZN9rocsparseL20bsrxmvn_17_32_kernelILj27E21rocsparse_complex_numIdEliS2_S2_S2_EEvT2_20rocsparse_direction_NS_24const_host_device_scalarIT0_EES3_PKS3_PKT1_SC_S9_PKT3_PKT4_S7_PT5_21rocsparse_index_base_b.has_indirect_call, 0
	.section	.AMDGPU.csdata,"",@progbits
; Kernel info:
; codeLenInByte = 1716
; TotalNumSgprs: 26
; NumVgprs: 31
; ScratchSize: 0
; MemoryBound: 0
; FloatMode: 240
; IeeeMode: 1
; LDSByteSize: 11664 bytes/workgroup (compile time only)
; SGPRBlocks: 8
; VGPRBlocks: 7
; NumSGPRsForWavesPerEU: 65
; NumVGPRsForWavesPerEU: 31
; Occupancy: 8
; WaveLimiterHint : 1
; COMPUTE_PGM_RSRC2:SCRATCH_EN: 0
; COMPUTE_PGM_RSRC2:USER_SGPR: 6
; COMPUTE_PGM_RSRC2:TRAP_HANDLER: 0
; COMPUTE_PGM_RSRC2:TGID_X_EN: 1
; COMPUTE_PGM_RSRC2:TGID_Y_EN: 0
; COMPUTE_PGM_RSRC2:TGID_Z_EN: 0
; COMPUTE_PGM_RSRC2:TIDIG_COMP_CNT: 0
	.section	.text._ZN9rocsparseL20bsrxmvn_17_32_kernelILj28E21rocsparse_complex_numIdEliS2_S2_S2_EEvT2_20rocsparse_direction_NS_24const_host_device_scalarIT0_EES3_PKS3_PKT1_SC_S9_PKT3_PKT4_S7_PT5_21rocsparse_index_base_b,"axG",@progbits,_ZN9rocsparseL20bsrxmvn_17_32_kernelILj28E21rocsparse_complex_numIdEliS2_S2_S2_EEvT2_20rocsparse_direction_NS_24const_host_device_scalarIT0_EES3_PKS3_PKT1_SC_S9_PKT3_PKT4_S7_PT5_21rocsparse_index_base_b,comdat
	.globl	_ZN9rocsparseL20bsrxmvn_17_32_kernelILj28E21rocsparse_complex_numIdEliS2_S2_S2_EEvT2_20rocsparse_direction_NS_24const_host_device_scalarIT0_EES3_PKS3_PKT1_SC_S9_PKT3_PKT4_S7_PT5_21rocsparse_index_base_b ; -- Begin function _ZN9rocsparseL20bsrxmvn_17_32_kernelILj28E21rocsparse_complex_numIdEliS2_S2_S2_EEvT2_20rocsparse_direction_NS_24const_host_device_scalarIT0_EES3_PKS3_PKT1_SC_S9_PKT3_PKT4_S7_PT5_21rocsparse_index_base_b
	.p2align	8
	.type	_ZN9rocsparseL20bsrxmvn_17_32_kernelILj28E21rocsparse_complex_numIdEliS2_S2_S2_EEvT2_20rocsparse_direction_NS_24const_host_device_scalarIT0_EES3_PKS3_PKT1_SC_S9_PKT3_PKT4_S7_PT5_21rocsparse_index_base_b,@function
_ZN9rocsparseL20bsrxmvn_17_32_kernelILj28E21rocsparse_complex_numIdEliS2_S2_S2_EEvT2_20rocsparse_direction_NS_24const_host_device_scalarIT0_EES3_PKS3_PKT1_SC_S9_PKT3_PKT4_S7_PT5_21rocsparse_index_base_b: ; @_ZN9rocsparseL20bsrxmvn_17_32_kernelILj28E21rocsparse_complex_numIdEliS2_S2_S2_EEvT2_20rocsparse_direction_NS_24const_host_device_scalarIT0_EES3_PKS3_PKT1_SC_S9_PKT3_PKT4_S7_PT5_21rocsparse_index_base_b
; %bb.0:
	s_load_dwordx2 s[0:1], s[4:5], 0x8
	s_load_dwordx2 s[14:15], s[4:5], 0x68
	s_add_u32 s7, s4, 8
	s_addc_u32 s8, s5, 0
	s_add_u32 s9, s4, 0x50
	s_addc_u32 s10, s5, 0
	s_waitcnt lgkmcnt(0)
	s_bitcmp1_b32 s15, 0
	s_cselect_b32 s1, s8, s1
	s_cselect_b32 s0, s7, s0
	v_mov_b32_e32 v1, s0
	v_mov_b32_e32 v2, s1
	flat_load_dwordx4 v[5:8], v[1:2]
	s_load_dwordx2 s[2:3], s[4:5], 0x50
	s_waitcnt lgkmcnt(0)
	s_cselect_b32 s0, s10, s3
	s_cselect_b32 s1, s9, s2
	v_mov_b32_e32 v1, s1
	v_mov_b32_e32 v2, s0
	flat_load_dwordx4 v[1:4], v[1:2]
	s_waitcnt vmcnt(0)
	v_cmp_eq_f64_e32 vcc, 0, v[5:6]
	v_cmp_eq_f64_e64 s[0:1], 0, v[7:8]
	s_and_b64 s[8:9], vcc, s[0:1]
	s_mov_b64 s[0:1], -1
	s_and_saveexec_b64 s[2:3], s[8:9]
	s_cbranch_execz .LBB123_2
; %bb.1:
	s_waitcnt lgkmcnt(0)
	v_cmp_neq_f64_e32 vcc, 1.0, v[1:2]
	v_cmp_neq_f64_e64 s[0:1], 0, v[3:4]
	s_or_b64 s[0:1], vcc, s[0:1]
	s_orn2_b64 s[0:1], s[0:1], exec
.LBB123_2:
	s_or_b64 exec, exec, s[2:3]
	s_and_saveexec_b64 s[2:3], s[0:1]
	s_cbranch_execz .LBB123_39
; %bb.3:
	s_load_dwordx4 s[0:3], s[4:5], 0x20
	s_load_dwordx2 s[8:9], s[4:5], 0x30
	s_waitcnt lgkmcnt(0)
	s_cmp_eq_u64 s[0:1], 0
	s_cbranch_scc1 .LBB123_5
; %bb.4:
	s_ashr_i32 s7, s6, 31
	s_lshl_b64 s[6:7], s[6:7], 2
	s_add_u32 s0, s0, s6
	s_addc_u32 s1, s1, s7
	s_load_dword s0, s[0:1], 0x0
	s_waitcnt lgkmcnt(0)
	s_sub_i32 s6, s0, s14
.LBB123_5:
	s_load_dword s7, s[4:5], 0x4
	s_load_dwordx2 s[12:13], s[4:5], 0x60
	v_mul_u32_u24_e32 v13, 0x925, v0
	v_mov_b32_e32 v9, 28
	v_mul_lo_u16_sdwa v9, v13, v9 dst_sel:DWORD dst_unused:UNUSED_PAD src0_sel:WORD_1 src1_sel:DWORD
	s_waitcnt lgkmcnt(0)
	s_cmp_eq_u32 s7, 1
	s_cselect_b64 s[0:1], -1, 0
	s_cmp_lg_u32 s7, 1
	s_cselect_b64 s[16:17], -1, 0
	s_ashr_i32 s7, s6, 31
	s_lshl_b64 s[10:11], s[6:7], 3
	s_add_u32 s2, s2, s10
	s_addc_u32 s3, s3, s11
	s_add_u32 s7, s2, 8
	s_addc_u32 s15, s3, 0
	;; [unrolled: 2-line block ×3, first 2 shown]
	s_cmp_eq_u64 s[8:9], 0
	s_cselect_b32 s9, s15, s11
	s_cselect_b32 s8, s7, s10
	s_load_dwordx2 s[18:19], s[8:9], 0x0
	s_load_dwordx2 s[20:21], s[2:3], 0x0
	v_sub_u16_e32 v21, v0, v9
	v_mov_b32_e32 v11, 0
	v_mov_b32_e32 v12, 0
	s_waitcnt lgkmcnt(0)
	v_mov_b32_e32 v9, s18
	v_mov_b32_e32 v10, s19
	v_cmp_ge_i64_e32 vcc, s[20:21], v[9:10]
	v_mov_b32_e32 v9, 0
	v_lshlrev_b32_e32 v20, 4, v0
	v_mov_b32_e32 v10, 0
	s_cbranch_vccnz .LBB123_10
; %bb.6:
	s_load_dwordx2 s[2:3], s[4:5], 0x48
	s_load_dwordx4 s[8:11], s[4:5], 0x38
	s_sub_u32 s4, s18, s14
	s_mov_b32 s7, 0xffff
	s_subb_u32 s5, s19, 0
	s_movk_i32 s15, 0x310
	v_and_b32_sdwa v9, s7, v13 dst_sel:DWORD dst_unused:UNUSED_PAD src0_sel:DWORD src1_sel:WORD_1
	v_subrev_u32_e32 v10, 28, v9
	v_cmp_gt_u32_e32 vcc, s15, v0
	s_sub_u32 s18, s20, s14
	v_cndmask_b32_e32 v9, v10, v9, vcc
	s_subb_u32 s19, s21, 0
	v_cndmask_b32_e64 v13, v21, v9, s[0:1]
	s_mul_i32 s0, s19, 0x3100
	s_mul_hi_u32 s1, s18, 0x3100
	s_add_i32 s1, s1, s0
	s_mul_i32 s0, s18, 0x3100
	s_waitcnt lgkmcnt(0)
	s_add_u32 s0, s10, s0
	s_addc_u32 s1, s11, s1
	v_mov_b32_e32 v9, s1
	v_add_co_u32_e32 v14, vcc, s0, v20
	v_addc_co_u32_e32 v15, vcc, 0, v9, vcc
	s_movk_i32 s0, 0x30f
	v_cmp_lt_u32_e32 vcc, s0, v0
	v_cndmask_b32_e64 v22, 0, 1, vcc
	v_mov_b32_e32 v9, s21
	v_add_co_u32_e32 v10, vcc, s20, v22
	v_addc_co_u32_e32 v11, vcc, 0, v9, vcc
	v_subrev_co_u32_e32 v9, vcc, s14, v10
	v_subbrev_co_u32_e32 v10, vcc, 0, v11, vcc
	v_lshlrev_b64 v[9:10], 2, v[9:10]
	v_mov_b32_e32 v11, s9
	v_add_co_u32_e32 v16, vcc, s8, v9
	v_addc_co_u32_e32 v17, vcc, v11, v10, vcc
	v_mov_b32_e32 v11, 0
	v_mov_b32_e32 v12, 0
	;; [unrolled: 1-line block ×6, first 2 shown]
	s_branch .LBB123_8
.LBB123_7:                              ;   in Loop: Header=BB123_8 Depth=1
	s_or_b64 exec, exec, s[0:1]
	s_add_u32 s18, s18, 1
	s_addc_u32 s19, s19, 0
	v_cmp_lt_i64_e32 vcc, s[18:19], v[18:19]
	v_add_co_u32_e64 v16, s[0:1], 4, v16
	v_addc_co_u32_e64 v17, s[0:1], 0, v17, s[0:1]
	s_cbranch_vccz .LBB123_10
.LBB123_8:                              ; =>This Inner Loop Header: Depth=1
	v_mov_b32_e32 v24, s19
	v_add_co_u32_e32 v23, vcc, s18, v22
	v_addc_co_u32_e32 v24, vcc, 0, v24, vcc
	v_cmp_gt_i64_e32 vcc, s[4:5], v[23:24]
	s_and_saveexec_b64 s[0:1], vcc
	s_cbranch_execz .LBB123_7
; %bb.9:                                ;   in Loop: Header=BB123_8 Depth=1
	global_load_dword v23, v[16:17], off
	v_mov_b32_e32 v29, s3
	s_waitcnt vmcnt(0)
	v_subrev_u32_e32 v23, s14, v23
	v_mad_u64_u32 v[27:28], s[8:9], v23, 28, v[13:14]
	global_load_dwordx4 v[23:26], v[14:15], off
	v_ashrrev_i32_e32 v28, 31, v27
	v_lshlrev_b64 v[27:28], 4, v[27:28]
	v_add_co_u32_e32 v27, vcc, s2, v27
	v_addc_co_u32_e32 v28, vcc, v29, v28, vcc
	global_load_dwordx4 v[27:30], v[27:28], off
	v_add_co_u32_e32 v14, vcc, 0x3100, v14
	v_addc_co_u32_e32 v15, vcc, 0, v15, vcc
	s_waitcnt vmcnt(0)
	v_fma_f64 v[9:10], v[23:24], v[27:28], v[9:10]
	v_fma_f64 v[11:12], v[25:26], v[27:28], v[11:12]
	v_fma_f64 v[9:10], -v[25:26], v[29:30], v[9:10]
	v_fma_f64 v[11:12], v[23:24], v[29:30], v[11:12]
	s_branch .LBB123_7
.LBB123_10:
	s_and_b64 vcc, exec, s[16:17]
	ds_write_b128 v20, v[9:12]
	s_waitcnt lgkmcnt(0)
	s_barrier
	s_cbranch_vccz .LBB123_22
; %bb.11:
	v_cmp_gt_u16_e32 vcc, 12, v21
	s_and_saveexec_b64 s[0:1], vcc
	s_cbranch_execz .LBB123_13
; %bb.12:
	ds_read_b128 v[13:16], v20 offset:256
	ds_read_b128 v[22:25], v20
	s_waitcnt lgkmcnt(0)
	v_add_f64 v[13:14], v[13:14], v[22:23]
	v_add_f64 v[15:16], v[15:16], v[24:25]
	ds_write_b128 v20, v[13:16]
.LBB123_13:
	s_or_b64 exec, exec, s[0:1]
	v_cmp_gt_u16_e32 vcc, 8, v21
	s_waitcnt lgkmcnt(0)
	s_barrier
	s_and_saveexec_b64 s[0:1], vcc
	s_cbranch_execz .LBB123_15
; %bb.14:
	ds_read_b128 v[13:16], v20 offset:128
	ds_read_b128 v[22:25], v20
	s_waitcnt lgkmcnt(0)
	v_add_f64 v[13:14], v[13:14], v[22:23]
	v_add_f64 v[15:16], v[15:16], v[24:25]
	ds_write_b128 v20, v[13:16]
.LBB123_15:
	s_or_b64 exec, exec, s[0:1]
	v_cmp_gt_u16_e32 vcc, 4, v21
	s_waitcnt lgkmcnt(0)
	s_barrier
	;; [unrolled: 14-line block ×3, first 2 shown]
	s_and_saveexec_b64 s[0:1], vcc
	s_cbranch_execz .LBB123_19
; %bb.18:
	ds_read_b128 v[13:16], v20
	ds_read_b128 v[21:24], v20 offset:32
	s_waitcnt lgkmcnt(0)
	v_add_f64 v[13:14], v[21:22], v[13:14]
	v_add_f64 v[15:16], v[23:24], v[15:16]
	ds_write_b128 v20, v[13:16]
.LBB123_19:
	s_or_b64 exec, exec, s[0:1]
	v_mov_b32_e32 v16, v12
	v_mov_b32_e32 v14, v10
	v_cmp_gt_u32_e32 vcc, 28, v0
	v_mov_b32_e32 v15, v11
	v_mov_b32_e32 v13, v9
	s_waitcnt lgkmcnt(0)
	s_barrier
	s_and_saveexec_b64 s[0:1], vcc
	s_cbranch_execz .LBB123_21
; %bb.20:
	s_movk_i32 s2, 0x1b0
	v_mad_u32_u24 v17, v0, s2, v20
	ds_read_b128 v[13:16], v17
	ds_read_b128 v[21:24], v17 offset:16
	s_waitcnt lgkmcnt(0)
	v_add_f64 v[13:14], v[21:22], v[13:14]
	v_add_f64 v[15:16], v[23:24], v[15:16]
.LBB123_21:
	s_or_b64 exec, exec, s[0:1]
	s_branch .LBB123_34
.LBB123_22:
                                        ; implicit-def: $vgpr15_vgpr16
                                        ; implicit-def: $vgpr13_vgpr14
	s_cbranch_execz .LBB123_34
; %bb.23:
	s_movk_i32 s0, 0x150
	v_cmp_gt_u32_e32 vcc, s0, v0
	s_and_saveexec_b64 s[0:1], vcc
	s_cbranch_execz .LBB123_25
; %bb.24:
	ds_read_b128 v[13:16], v20 offset:7168
	ds_read_b128 v[21:24], v20
	s_waitcnt lgkmcnt(0)
	v_add_f64 v[13:14], v[13:14], v[21:22]
	v_add_f64 v[15:16], v[15:16], v[23:24]
	ds_write_b128 v20, v[13:16]
.LBB123_25:
	s_or_b64 exec, exec, s[0:1]
	s_movk_i32 s0, 0xe0
	v_cmp_gt_u32_e32 vcc, s0, v0
	s_waitcnt lgkmcnt(0)
	s_barrier
	s_and_saveexec_b64 s[0:1], vcc
	s_cbranch_execz .LBB123_27
; %bb.26:
	ds_read_b128 v[13:16], v20 offset:3584
	ds_read_b128 v[21:24], v20
	s_waitcnt lgkmcnt(0)
	v_add_f64 v[13:14], v[13:14], v[21:22]
	v_add_f64 v[15:16], v[15:16], v[23:24]
	ds_write_b128 v20, v[13:16]
.LBB123_27:
	s_or_b64 exec, exec, s[0:1]
	s_movk_i32 s0, 0x70
	v_cmp_gt_u32_e32 vcc, s0, v0
	s_waitcnt lgkmcnt(0)
	s_barrier
	s_and_saveexec_b64 s[0:1], vcc
	s_cbranch_execz .LBB123_29
; %bb.28:
	ds_read_b128 v[13:16], v20 offset:1792
	ds_read_b128 v[21:24], v20
	s_waitcnt lgkmcnt(0)
	v_add_f64 v[13:14], v[13:14], v[21:22]
	v_add_f64 v[15:16], v[15:16], v[23:24]
	ds_write_b128 v20, v[13:16]
.LBB123_29:
	s_or_b64 exec, exec, s[0:1]
	v_cmp_gt_u32_e32 vcc, 56, v0
	s_waitcnt lgkmcnt(0)
	s_barrier
	s_and_saveexec_b64 s[0:1], vcc
	s_cbranch_execz .LBB123_31
; %bb.30:
	ds_read_b128 v[13:16], v20 offset:896
	ds_read_b128 v[21:24], v20
	s_waitcnt lgkmcnt(0)
	v_add_f64 v[13:14], v[13:14], v[21:22]
	v_add_f64 v[15:16], v[15:16], v[23:24]
	ds_write_b128 v20, v[13:16]
.LBB123_31:
	s_or_b64 exec, exec, s[0:1]
	v_cmp_gt_u32_e32 vcc, 28, v0
	s_waitcnt lgkmcnt(0)
	s_and_saveexec_b64 s[0:1], vcc
	s_cbranch_execz .LBB123_33
; %bb.32:
	ds_read_b128 v[9:12], v20 offset:448
	ds_read_b128 v[13:16], v20
	s_waitcnt lgkmcnt(0)
	v_add_f64 v[9:10], v[9:10], v[13:14]
	v_add_f64 v[11:12], v[11:12], v[15:16]
.LBB123_33:
	s_or_b64 exec, exec, s[0:1]
	v_mov_b32_e32 v16, v12
	v_mov_b32_e32 v14, v10
	;; [unrolled: 1-line block ×4, first 2 shown]
.LBB123_34:
	v_cmp_gt_u32_e32 vcc, 28, v0
	s_and_b64 exec, exec, vcc
	s_cbranch_execz .LBB123_39
; %bb.35:
	v_mul_f64 v[9:10], v[15:16], -v[7:8]
	v_mul_f64 v[11:12], v[5:6], v[15:16]
	v_cmp_eq_f64_e32 vcc, 0, v[1:2]
	v_cmp_eq_f64_e64 s[0:1], 0, v[3:4]
	v_fma_f64 v[5:6], v[5:6], v[13:14], v[9:10]
	v_fma_f64 v[7:8], v[7:8], v[13:14], v[11:12]
	s_and_b64 s[0:1], vcc, s[0:1]
	s_and_saveexec_b64 s[2:3], s[0:1]
	s_xor_b64 s[0:1], exec, s[2:3]
	s_cbranch_execz .LBB123_37
; %bb.36:
	v_mad_u64_u32 v[0:1], s[2:3], s6, 28, v[0:1]
	v_mov_b32_e32 v1, 0
	v_mov_b32_e32 v2, s13
	v_lshlrev_b64 v[0:1], 4, v[0:1]
	v_add_co_u32_e32 v0, vcc, s12, v0
	v_addc_co_u32_e32 v1, vcc, v2, v1, vcc
	global_store_dwordx4 v[0:1], v[5:8], off
                                        ; implicit-def: $vgpr0
                                        ; implicit-def: $vgpr1_vgpr2
                                        ; implicit-def: $vgpr5_vgpr6
.LBB123_37:
	s_andn2_saveexec_b64 s[0:1], s[0:1]
	s_cbranch_execz .LBB123_39
; %bb.38:
	v_mad_u64_u32 v[9:10], s[0:1], s6, 28, v[0:1]
	v_mov_b32_e32 v10, 0
	v_mov_b32_e32 v0, s13
	v_lshlrev_b64 v[9:10], 4, v[9:10]
	v_add_co_u32_e32 v13, vcc, s12, v9
	v_addc_co_u32_e32 v14, vcc, v0, v10, vcc
	global_load_dwordx4 v[9:12], v[13:14], off
	s_waitcnt vmcnt(0)
	v_fma_f64 v[5:6], v[1:2], v[9:10], v[5:6]
	v_fma_f64 v[7:8], v[3:4], v[9:10], v[7:8]
	v_fma_f64 v[3:4], -v[3:4], v[11:12], v[5:6]
	v_fma_f64 v[5:6], v[1:2], v[11:12], v[7:8]
	global_store_dwordx4 v[13:14], v[3:6], off
.LBB123_39:
	s_endpgm
	.section	.rodata,"a",@progbits
	.p2align	6, 0x0
	.amdhsa_kernel _ZN9rocsparseL20bsrxmvn_17_32_kernelILj28E21rocsparse_complex_numIdEliS2_S2_S2_EEvT2_20rocsparse_direction_NS_24const_host_device_scalarIT0_EES3_PKS3_PKT1_SC_S9_PKT3_PKT4_S7_PT5_21rocsparse_index_base_b
		.amdhsa_group_segment_fixed_size 12544
		.amdhsa_private_segment_fixed_size 0
		.amdhsa_kernarg_size 112
		.amdhsa_user_sgpr_count 6
		.amdhsa_user_sgpr_private_segment_buffer 1
		.amdhsa_user_sgpr_dispatch_ptr 0
		.amdhsa_user_sgpr_queue_ptr 0
		.amdhsa_user_sgpr_kernarg_segment_ptr 1
		.amdhsa_user_sgpr_dispatch_id 0
		.amdhsa_user_sgpr_flat_scratch_init 0
		.amdhsa_user_sgpr_private_segment_size 0
		.amdhsa_uses_dynamic_stack 0
		.amdhsa_system_sgpr_private_segment_wavefront_offset 0
		.amdhsa_system_sgpr_workgroup_id_x 1
		.amdhsa_system_sgpr_workgroup_id_y 0
		.amdhsa_system_sgpr_workgroup_id_z 0
		.amdhsa_system_sgpr_workgroup_info 0
		.amdhsa_system_vgpr_workitem_id 0
		.amdhsa_next_free_vgpr 31
		.amdhsa_next_free_sgpr 22
		.amdhsa_reserve_vcc 1
		.amdhsa_reserve_flat_scratch 0
		.amdhsa_float_round_mode_32 0
		.amdhsa_float_round_mode_16_64 0
		.amdhsa_float_denorm_mode_32 3
		.amdhsa_float_denorm_mode_16_64 3
		.amdhsa_dx10_clamp 1
		.amdhsa_ieee_mode 1
		.amdhsa_fp16_overflow 0
		.amdhsa_exception_fp_ieee_invalid_op 0
		.amdhsa_exception_fp_denorm_src 0
		.amdhsa_exception_fp_ieee_div_zero 0
		.amdhsa_exception_fp_ieee_overflow 0
		.amdhsa_exception_fp_ieee_underflow 0
		.amdhsa_exception_fp_ieee_inexact 0
		.amdhsa_exception_int_div_zero 0
	.end_amdhsa_kernel
	.section	.text._ZN9rocsparseL20bsrxmvn_17_32_kernelILj28E21rocsparse_complex_numIdEliS2_S2_S2_EEvT2_20rocsparse_direction_NS_24const_host_device_scalarIT0_EES3_PKS3_PKT1_SC_S9_PKT3_PKT4_S7_PT5_21rocsparse_index_base_b,"axG",@progbits,_ZN9rocsparseL20bsrxmvn_17_32_kernelILj28E21rocsparse_complex_numIdEliS2_S2_S2_EEvT2_20rocsparse_direction_NS_24const_host_device_scalarIT0_EES3_PKS3_PKT1_SC_S9_PKT3_PKT4_S7_PT5_21rocsparse_index_base_b,comdat
.Lfunc_end123:
	.size	_ZN9rocsparseL20bsrxmvn_17_32_kernelILj28E21rocsparse_complex_numIdEliS2_S2_S2_EEvT2_20rocsparse_direction_NS_24const_host_device_scalarIT0_EES3_PKS3_PKT1_SC_S9_PKT3_PKT4_S7_PT5_21rocsparse_index_base_b, .Lfunc_end123-_ZN9rocsparseL20bsrxmvn_17_32_kernelILj28E21rocsparse_complex_numIdEliS2_S2_S2_EEvT2_20rocsparse_direction_NS_24const_host_device_scalarIT0_EES3_PKS3_PKT1_SC_S9_PKT3_PKT4_S7_PT5_21rocsparse_index_base_b
                                        ; -- End function
	.set _ZN9rocsparseL20bsrxmvn_17_32_kernelILj28E21rocsparse_complex_numIdEliS2_S2_S2_EEvT2_20rocsparse_direction_NS_24const_host_device_scalarIT0_EES3_PKS3_PKT1_SC_S9_PKT3_PKT4_S7_PT5_21rocsparse_index_base_b.num_vgpr, 31
	.set _ZN9rocsparseL20bsrxmvn_17_32_kernelILj28E21rocsparse_complex_numIdEliS2_S2_S2_EEvT2_20rocsparse_direction_NS_24const_host_device_scalarIT0_EES3_PKS3_PKT1_SC_S9_PKT3_PKT4_S7_PT5_21rocsparse_index_base_b.num_agpr, 0
	.set _ZN9rocsparseL20bsrxmvn_17_32_kernelILj28E21rocsparse_complex_numIdEliS2_S2_S2_EEvT2_20rocsparse_direction_NS_24const_host_device_scalarIT0_EES3_PKS3_PKT1_SC_S9_PKT3_PKT4_S7_PT5_21rocsparse_index_base_b.numbered_sgpr, 22
	.set _ZN9rocsparseL20bsrxmvn_17_32_kernelILj28E21rocsparse_complex_numIdEliS2_S2_S2_EEvT2_20rocsparse_direction_NS_24const_host_device_scalarIT0_EES3_PKS3_PKT1_SC_S9_PKT3_PKT4_S7_PT5_21rocsparse_index_base_b.num_named_barrier, 0
	.set _ZN9rocsparseL20bsrxmvn_17_32_kernelILj28E21rocsparse_complex_numIdEliS2_S2_S2_EEvT2_20rocsparse_direction_NS_24const_host_device_scalarIT0_EES3_PKS3_PKT1_SC_S9_PKT3_PKT4_S7_PT5_21rocsparse_index_base_b.private_seg_size, 0
	.set _ZN9rocsparseL20bsrxmvn_17_32_kernelILj28E21rocsparse_complex_numIdEliS2_S2_S2_EEvT2_20rocsparse_direction_NS_24const_host_device_scalarIT0_EES3_PKS3_PKT1_SC_S9_PKT3_PKT4_S7_PT5_21rocsparse_index_base_b.uses_vcc, 1
	.set _ZN9rocsparseL20bsrxmvn_17_32_kernelILj28E21rocsparse_complex_numIdEliS2_S2_S2_EEvT2_20rocsparse_direction_NS_24const_host_device_scalarIT0_EES3_PKS3_PKT1_SC_S9_PKT3_PKT4_S7_PT5_21rocsparse_index_base_b.uses_flat_scratch, 0
	.set _ZN9rocsparseL20bsrxmvn_17_32_kernelILj28E21rocsparse_complex_numIdEliS2_S2_S2_EEvT2_20rocsparse_direction_NS_24const_host_device_scalarIT0_EES3_PKS3_PKT1_SC_S9_PKT3_PKT4_S7_PT5_21rocsparse_index_base_b.has_dyn_sized_stack, 0
	.set _ZN9rocsparseL20bsrxmvn_17_32_kernelILj28E21rocsparse_complex_numIdEliS2_S2_S2_EEvT2_20rocsparse_direction_NS_24const_host_device_scalarIT0_EES3_PKS3_PKT1_SC_S9_PKT3_PKT4_S7_PT5_21rocsparse_index_base_b.has_recursion, 0
	.set _ZN9rocsparseL20bsrxmvn_17_32_kernelILj28E21rocsparse_complex_numIdEliS2_S2_S2_EEvT2_20rocsparse_direction_NS_24const_host_device_scalarIT0_EES3_PKS3_PKT1_SC_S9_PKT3_PKT4_S7_PT5_21rocsparse_index_base_b.has_indirect_call, 0
	.section	.AMDGPU.csdata,"",@progbits
; Kernel info:
; codeLenInByte = 1716
; TotalNumSgprs: 26
; NumVgprs: 31
; ScratchSize: 0
; MemoryBound: 0
; FloatMode: 240
; IeeeMode: 1
; LDSByteSize: 12544 bytes/workgroup (compile time only)
; SGPRBlocks: 3
; VGPRBlocks: 7
; NumSGPRsForWavesPerEU: 26
; NumVGPRsForWavesPerEU: 31
; Occupancy: 8
; WaveLimiterHint : 1
; COMPUTE_PGM_RSRC2:SCRATCH_EN: 0
; COMPUTE_PGM_RSRC2:USER_SGPR: 6
; COMPUTE_PGM_RSRC2:TRAP_HANDLER: 0
; COMPUTE_PGM_RSRC2:TGID_X_EN: 1
; COMPUTE_PGM_RSRC2:TGID_Y_EN: 0
; COMPUTE_PGM_RSRC2:TGID_Z_EN: 0
; COMPUTE_PGM_RSRC2:TIDIG_COMP_CNT: 0
	.section	.text._ZN9rocsparseL20bsrxmvn_17_32_kernelILj29E21rocsparse_complex_numIdEliS2_S2_S2_EEvT2_20rocsparse_direction_NS_24const_host_device_scalarIT0_EES3_PKS3_PKT1_SC_S9_PKT3_PKT4_S7_PT5_21rocsparse_index_base_b,"axG",@progbits,_ZN9rocsparseL20bsrxmvn_17_32_kernelILj29E21rocsparse_complex_numIdEliS2_S2_S2_EEvT2_20rocsparse_direction_NS_24const_host_device_scalarIT0_EES3_PKS3_PKT1_SC_S9_PKT3_PKT4_S7_PT5_21rocsparse_index_base_b,comdat
	.globl	_ZN9rocsparseL20bsrxmvn_17_32_kernelILj29E21rocsparse_complex_numIdEliS2_S2_S2_EEvT2_20rocsparse_direction_NS_24const_host_device_scalarIT0_EES3_PKS3_PKT1_SC_S9_PKT3_PKT4_S7_PT5_21rocsparse_index_base_b ; -- Begin function _ZN9rocsparseL20bsrxmvn_17_32_kernelILj29E21rocsparse_complex_numIdEliS2_S2_S2_EEvT2_20rocsparse_direction_NS_24const_host_device_scalarIT0_EES3_PKS3_PKT1_SC_S9_PKT3_PKT4_S7_PT5_21rocsparse_index_base_b
	.p2align	8
	.type	_ZN9rocsparseL20bsrxmvn_17_32_kernelILj29E21rocsparse_complex_numIdEliS2_S2_S2_EEvT2_20rocsparse_direction_NS_24const_host_device_scalarIT0_EES3_PKS3_PKT1_SC_S9_PKT3_PKT4_S7_PT5_21rocsparse_index_base_b,@function
_ZN9rocsparseL20bsrxmvn_17_32_kernelILj29E21rocsparse_complex_numIdEliS2_S2_S2_EEvT2_20rocsparse_direction_NS_24const_host_device_scalarIT0_EES3_PKS3_PKT1_SC_S9_PKT3_PKT4_S7_PT5_21rocsparse_index_base_b: ; @_ZN9rocsparseL20bsrxmvn_17_32_kernelILj29E21rocsparse_complex_numIdEliS2_S2_S2_EEvT2_20rocsparse_direction_NS_24const_host_device_scalarIT0_EES3_PKS3_PKT1_SC_S9_PKT3_PKT4_S7_PT5_21rocsparse_index_base_b
; %bb.0:
	s_load_dwordx2 s[0:1], s[4:5], 0x8
	s_load_dwordx2 s[14:15], s[4:5], 0x68
	s_add_u32 s7, s4, 8
	s_addc_u32 s8, s5, 0
	s_add_u32 s9, s4, 0x50
	s_addc_u32 s10, s5, 0
	s_waitcnt lgkmcnt(0)
	s_bitcmp1_b32 s15, 0
	s_cselect_b32 s1, s8, s1
	s_cselect_b32 s0, s7, s0
	v_mov_b32_e32 v1, s0
	v_mov_b32_e32 v2, s1
	flat_load_dwordx4 v[5:8], v[1:2]
	s_load_dwordx2 s[2:3], s[4:5], 0x50
	s_waitcnt lgkmcnt(0)
	s_cselect_b32 s0, s10, s3
	s_cselect_b32 s1, s9, s2
	v_mov_b32_e32 v1, s1
	v_mov_b32_e32 v2, s0
	flat_load_dwordx4 v[1:4], v[1:2]
	s_waitcnt vmcnt(0)
	v_cmp_eq_f64_e32 vcc, 0, v[5:6]
	v_cmp_eq_f64_e64 s[0:1], 0, v[7:8]
	s_and_b64 s[8:9], vcc, s[0:1]
	s_mov_b64 s[0:1], -1
	s_and_saveexec_b64 s[2:3], s[8:9]
	s_cbranch_execz .LBB124_2
; %bb.1:
	s_waitcnt lgkmcnt(0)
	v_cmp_neq_f64_e32 vcc, 1.0, v[1:2]
	v_cmp_neq_f64_e64 s[0:1], 0, v[3:4]
	s_or_b64 s[0:1], vcc, s[0:1]
	s_orn2_b64 s[0:1], s[0:1], exec
.LBB124_2:
	s_or_b64 exec, exec, s[2:3]
	s_and_saveexec_b64 s[2:3], s[0:1]
	s_cbranch_execz .LBB124_39
; %bb.3:
	s_load_dwordx4 s[0:3], s[4:5], 0x20
	s_load_dwordx2 s[8:9], s[4:5], 0x30
	s_waitcnt lgkmcnt(0)
	s_cmp_eq_u64 s[0:1], 0
	s_cbranch_scc1 .LBB124_5
; %bb.4:
	s_ashr_i32 s7, s6, 31
	s_lshl_b64 s[6:7], s[6:7], 2
	s_add_u32 s0, s0, s6
	s_addc_u32 s1, s1, s7
	s_load_dword s0, s[0:1], 0x0
	s_waitcnt lgkmcnt(0)
	s_sub_i32 s6, s0, s14
.LBB124_5:
	s_load_dword s7, s[4:5], 0x4
	s_load_dwordx2 s[12:13], s[4:5], 0x60
	v_mul_u32_u24_e32 v13, 0x8d4, v0
	v_mov_b32_e32 v9, 29
	v_mul_lo_u16_sdwa v9, v13, v9 dst_sel:DWORD dst_unused:UNUSED_PAD src0_sel:WORD_1 src1_sel:DWORD
	s_waitcnt lgkmcnt(0)
	s_cmp_eq_u32 s7, 1
	s_cselect_b64 s[0:1], -1, 0
	s_cmp_lg_u32 s7, 1
	s_cselect_b64 s[16:17], -1, 0
	s_ashr_i32 s7, s6, 31
	s_lshl_b64 s[10:11], s[6:7], 3
	s_add_u32 s2, s2, s10
	s_addc_u32 s3, s3, s11
	s_add_u32 s7, s2, 8
	s_addc_u32 s15, s3, 0
	;; [unrolled: 2-line block ×3, first 2 shown]
	s_cmp_eq_u64 s[8:9], 0
	s_cselect_b32 s9, s15, s11
	s_cselect_b32 s8, s7, s10
	s_load_dwordx2 s[18:19], s[8:9], 0x0
	s_load_dwordx2 s[20:21], s[2:3], 0x0
	v_sub_u16_e32 v21, v0, v9
	v_mov_b32_e32 v11, 0
	v_mov_b32_e32 v12, 0
	s_waitcnt lgkmcnt(0)
	v_mov_b32_e32 v9, s18
	v_mov_b32_e32 v10, s19
	v_cmp_ge_i64_e32 vcc, s[20:21], v[9:10]
	v_mov_b32_e32 v9, 0
	v_lshlrev_b32_e32 v20, 4, v0
	v_mov_b32_e32 v10, 0
	s_cbranch_vccnz .LBB124_10
; %bb.6:
	s_load_dwordx2 s[2:3], s[4:5], 0x48
	s_load_dwordx4 s[8:11], s[4:5], 0x38
	s_sub_u32 s4, s18, s14
	s_mov_b32 s7, 0xffff
	s_subb_u32 s5, s19, 0
	s_movk_i32 s15, 0x349
	v_and_b32_sdwa v9, s7, v13 dst_sel:DWORD dst_unused:UNUSED_PAD src0_sel:DWORD src1_sel:WORD_1
	v_subrev_u32_e32 v10, 29, v9
	v_cmp_gt_u32_e32 vcc, s15, v0
	s_sub_u32 s18, s20, s14
	v_cndmask_b32_e32 v9, v10, v9, vcc
	s_subb_u32 s19, s21, 0
	v_cndmask_b32_e64 v13, v21, v9, s[0:1]
	s_mul_i32 s0, s19, 0x3490
	s_mul_hi_u32 s1, s18, 0x3490
	s_add_i32 s1, s1, s0
	s_mul_i32 s0, s18, 0x3490
	s_waitcnt lgkmcnt(0)
	s_add_u32 s0, s10, s0
	s_addc_u32 s1, s11, s1
	v_mov_b32_e32 v9, s1
	v_add_co_u32_e32 v14, vcc, s0, v20
	v_addc_co_u32_e32 v15, vcc, 0, v9, vcc
	s_movk_i32 s0, 0x348
	v_cmp_lt_u32_e32 vcc, s0, v0
	v_cndmask_b32_e64 v22, 0, 1, vcc
	v_mov_b32_e32 v9, s21
	v_add_co_u32_e32 v10, vcc, s20, v22
	v_addc_co_u32_e32 v11, vcc, 0, v9, vcc
	v_subrev_co_u32_e32 v9, vcc, s14, v10
	v_subbrev_co_u32_e32 v10, vcc, 0, v11, vcc
	v_lshlrev_b64 v[9:10], 2, v[9:10]
	v_mov_b32_e32 v11, s9
	v_add_co_u32_e32 v16, vcc, s8, v9
	v_addc_co_u32_e32 v17, vcc, v11, v10, vcc
	v_mov_b32_e32 v11, 0
	v_mov_b32_e32 v12, 0
	;; [unrolled: 1-line block ×6, first 2 shown]
	s_branch .LBB124_8
.LBB124_7:                              ;   in Loop: Header=BB124_8 Depth=1
	s_or_b64 exec, exec, s[0:1]
	s_add_u32 s18, s18, 1
	s_addc_u32 s19, s19, 0
	v_cmp_lt_i64_e32 vcc, s[18:19], v[18:19]
	v_add_co_u32_e64 v16, s[0:1], 4, v16
	v_addc_co_u32_e64 v17, s[0:1], 0, v17, s[0:1]
	s_cbranch_vccz .LBB124_10
.LBB124_8:                              ; =>This Inner Loop Header: Depth=1
	v_mov_b32_e32 v24, s19
	v_add_co_u32_e32 v23, vcc, s18, v22
	v_addc_co_u32_e32 v24, vcc, 0, v24, vcc
	v_cmp_gt_i64_e32 vcc, s[4:5], v[23:24]
	s_and_saveexec_b64 s[0:1], vcc
	s_cbranch_execz .LBB124_7
; %bb.9:                                ;   in Loop: Header=BB124_8 Depth=1
	global_load_dword v23, v[16:17], off
	v_mov_b32_e32 v29, s3
	s_waitcnt vmcnt(0)
	v_subrev_u32_e32 v23, s14, v23
	v_mad_u64_u32 v[27:28], s[8:9], v23, 29, v[13:14]
	global_load_dwordx4 v[23:26], v[14:15], off
	v_ashrrev_i32_e32 v28, 31, v27
	v_lshlrev_b64 v[27:28], 4, v[27:28]
	v_add_co_u32_e32 v27, vcc, s2, v27
	v_addc_co_u32_e32 v28, vcc, v29, v28, vcc
	global_load_dwordx4 v[27:30], v[27:28], off
	v_add_co_u32_e32 v14, vcc, 0x3490, v14
	v_addc_co_u32_e32 v15, vcc, 0, v15, vcc
	s_waitcnt vmcnt(0)
	v_fma_f64 v[9:10], v[23:24], v[27:28], v[9:10]
	v_fma_f64 v[11:12], v[25:26], v[27:28], v[11:12]
	v_fma_f64 v[9:10], -v[25:26], v[29:30], v[9:10]
	v_fma_f64 v[11:12], v[23:24], v[29:30], v[11:12]
	s_branch .LBB124_7
.LBB124_10:
	s_and_b64 vcc, exec, s[16:17]
	ds_write_b128 v20, v[9:12]
	s_waitcnt lgkmcnt(0)
	s_barrier
	s_cbranch_vccz .LBB124_22
; %bb.11:
	v_cmp_gt_u16_e32 vcc, 13, v21
	s_and_saveexec_b64 s[0:1], vcc
	s_cbranch_execz .LBB124_13
; %bb.12:
	ds_read_b128 v[13:16], v20 offset:256
	ds_read_b128 v[22:25], v20
	s_waitcnt lgkmcnt(0)
	v_add_f64 v[13:14], v[13:14], v[22:23]
	v_add_f64 v[15:16], v[15:16], v[24:25]
	ds_write_b128 v20, v[13:16]
.LBB124_13:
	s_or_b64 exec, exec, s[0:1]
	v_cmp_gt_u16_e32 vcc, 8, v21
	s_waitcnt lgkmcnt(0)
	s_barrier
	s_and_saveexec_b64 s[0:1], vcc
	s_cbranch_execz .LBB124_15
; %bb.14:
	ds_read_b128 v[13:16], v20 offset:128
	ds_read_b128 v[22:25], v20
	s_waitcnt lgkmcnt(0)
	v_add_f64 v[13:14], v[13:14], v[22:23]
	v_add_f64 v[15:16], v[15:16], v[24:25]
	ds_write_b128 v20, v[13:16]
.LBB124_15:
	s_or_b64 exec, exec, s[0:1]
	v_cmp_gt_u16_e32 vcc, 4, v21
	s_waitcnt lgkmcnt(0)
	s_barrier
	;; [unrolled: 14-line block ×3, first 2 shown]
	s_and_saveexec_b64 s[0:1], vcc
	s_cbranch_execz .LBB124_19
; %bb.18:
	ds_read_b128 v[13:16], v20
	ds_read_b128 v[21:24], v20 offset:32
	s_waitcnt lgkmcnt(0)
	v_add_f64 v[13:14], v[21:22], v[13:14]
	v_add_f64 v[15:16], v[23:24], v[15:16]
	ds_write_b128 v20, v[13:16]
.LBB124_19:
	s_or_b64 exec, exec, s[0:1]
	v_mov_b32_e32 v16, v12
	v_mov_b32_e32 v14, v10
	v_cmp_gt_u32_e32 vcc, 29, v0
	v_mov_b32_e32 v15, v11
	v_mov_b32_e32 v13, v9
	s_waitcnt lgkmcnt(0)
	s_barrier
	s_and_saveexec_b64 s[0:1], vcc
	s_cbranch_execz .LBB124_21
; %bb.20:
	s_movk_i32 s2, 0x1c0
	v_mad_u32_u24 v17, v0, s2, v20
	ds_read_b128 v[13:16], v17
	ds_read_b128 v[21:24], v17 offset:16
	s_waitcnt lgkmcnt(0)
	v_add_f64 v[13:14], v[21:22], v[13:14]
	v_add_f64 v[15:16], v[23:24], v[15:16]
.LBB124_21:
	s_or_b64 exec, exec, s[0:1]
	s_branch .LBB124_34
.LBB124_22:
                                        ; implicit-def: $vgpr15_vgpr16
                                        ; implicit-def: $vgpr13_vgpr14
	s_cbranch_execz .LBB124_34
; %bb.23:
	s_movk_i32 s0, 0x179
	v_cmp_gt_u32_e32 vcc, s0, v0
	s_and_saveexec_b64 s[0:1], vcc
	s_cbranch_execz .LBB124_25
; %bb.24:
	ds_read_b128 v[13:16], v20 offset:7424
	ds_read_b128 v[21:24], v20
	s_waitcnt lgkmcnt(0)
	v_add_f64 v[13:14], v[13:14], v[21:22]
	v_add_f64 v[15:16], v[15:16], v[23:24]
	ds_write_b128 v20, v[13:16]
.LBB124_25:
	s_or_b64 exec, exec, s[0:1]
	s_movk_i32 s0, 0xe8
	v_cmp_gt_u32_e32 vcc, s0, v0
	s_waitcnt lgkmcnt(0)
	s_barrier
	s_and_saveexec_b64 s[0:1], vcc
	s_cbranch_execz .LBB124_27
; %bb.26:
	ds_read_b128 v[13:16], v20 offset:3712
	ds_read_b128 v[21:24], v20
	s_waitcnt lgkmcnt(0)
	v_add_f64 v[13:14], v[13:14], v[21:22]
	v_add_f64 v[15:16], v[15:16], v[23:24]
	ds_write_b128 v20, v[13:16]
.LBB124_27:
	s_or_b64 exec, exec, s[0:1]
	s_movk_i32 s0, 0x74
	v_cmp_gt_u32_e32 vcc, s0, v0
	s_waitcnt lgkmcnt(0)
	s_barrier
	s_and_saveexec_b64 s[0:1], vcc
	s_cbranch_execz .LBB124_29
; %bb.28:
	ds_read_b128 v[13:16], v20 offset:1856
	ds_read_b128 v[21:24], v20
	s_waitcnt lgkmcnt(0)
	v_add_f64 v[13:14], v[13:14], v[21:22]
	v_add_f64 v[15:16], v[15:16], v[23:24]
	ds_write_b128 v20, v[13:16]
.LBB124_29:
	s_or_b64 exec, exec, s[0:1]
	v_cmp_gt_u32_e32 vcc, 58, v0
	s_waitcnt lgkmcnt(0)
	s_barrier
	s_and_saveexec_b64 s[0:1], vcc
	s_cbranch_execz .LBB124_31
; %bb.30:
	ds_read_b128 v[13:16], v20 offset:928
	ds_read_b128 v[21:24], v20
	s_waitcnt lgkmcnt(0)
	v_add_f64 v[13:14], v[13:14], v[21:22]
	v_add_f64 v[15:16], v[15:16], v[23:24]
	ds_write_b128 v20, v[13:16]
.LBB124_31:
	s_or_b64 exec, exec, s[0:1]
	v_cmp_gt_u32_e32 vcc, 29, v0
	s_waitcnt lgkmcnt(0)
	s_and_saveexec_b64 s[0:1], vcc
	s_cbranch_execz .LBB124_33
; %bb.32:
	ds_read_b128 v[9:12], v20 offset:464
	ds_read_b128 v[13:16], v20
	s_waitcnt lgkmcnt(0)
	v_add_f64 v[9:10], v[9:10], v[13:14]
	v_add_f64 v[11:12], v[11:12], v[15:16]
.LBB124_33:
	s_or_b64 exec, exec, s[0:1]
	v_mov_b32_e32 v16, v12
	v_mov_b32_e32 v14, v10
	;; [unrolled: 1-line block ×4, first 2 shown]
.LBB124_34:
	v_cmp_gt_u32_e32 vcc, 29, v0
	s_and_b64 exec, exec, vcc
	s_cbranch_execz .LBB124_39
; %bb.35:
	v_mul_f64 v[9:10], v[15:16], -v[7:8]
	v_mul_f64 v[11:12], v[5:6], v[15:16]
	v_cmp_eq_f64_e32 vcc, 0, v[1:2]
	v_cmp_eq_f64_e64 s[0:1], 0, v[3:4]
	v_fma_f64 v[5:6], v[5:6], v[13:14], v[9:10]
	v_fma_f64 v[7:8], v[7:8], v[13:14], v[11:12]
	s_and_b64 s[0:1], vcc, s[0:1]
	s_and_saveexec_b64 s[2:3], s[0:1]
	s_xor_b64 s[0:1], exec, s[2:3]
	s_cbranch_execz .LBB124_37
; %bb.36:
	v_mad_u64_u32 v[0:1], s[2:3], s6, 29, v[0:1]
	v_mov_b32_e32 v1, 0
	v_mov_b32_e32 v2, s13
	v_lshlrev_b64 v[0:1], 4, v[0:1]
	v_add_co_u32_e32 v0, vcc, s12, v0
	v_addc_co_u32_e32 v1, vcc, v2, v1, vcc
	global_store_dwordx4 v[0:1], v[5:8], off
                                        ; implicit-def: $vgpr0
                                        ; implicit-def: $vgpr1_vgpr2
                                        ; implicit-def: $vgpr5_vgpr6
.LBB124_37:
	s_andn2_saveexec_b64 s[0:1], s[0:1]
	s_cbranch_execz .LBB124_39
; %bb.38:
	v_mad_u64_u32 v[9:10], s[0:1], s6, 29, v[0:1]
	v_mov_b32_e32 v10, 0
	v_mov_b32_e32 v0, s13
	v_lshlrev_b64 v[9:10], 4, v[9:10]
	v_add_co_u32_e32 v13, vcc, s12, v9
	v_addc_co_u32_e32 v14, vcc, v0, v10, vcc
	global_load_dwordx4 v[9:12], v[13:14], off
	s_waitcnt vmcnt(0)
	v_fma_f64 v[5:6], v[1:2], v[9:10], v[5:6]
	v_fma_f64 v[7:8], v[3:4], v[9:10], v[7:8]
	v_fma_f64 v[3:4], -v[3:4], v[11:12], v[5:6]
	v_fma_f64 v[5:6], v[1:2], v[11:12], v[7:8]
	global_store_dwordx4 v[13:14], v[3:6], off
.LBB124_39:
	s_endpgm
	.section	.rodata,"a",@progbits
	.p2align	6, 0x0
	.amdhsa_kernel _ZN9rocsparseL20bsrxmvn_17_32_kernelILj29E21rocsparse_complex_numIdEliS2_S2_S2_EEvT2_20rocsparse_direction_NS_24const_host_device_scalarIT0_EES3_PKS3_PKT1_SC_S9_PKT3_PKT4_S7_PT5_21rocsparse_index_base_b
		.amdhsa_group_segment_fixed_size 13456
		.amdhsa_private_segment_fixed_size 0
		.amdhsa_kernarg_size 112
		.amdhsa_user_sgpr_count 6
		.amdhsa_user_sgpr_private_segment_buffer 1
		.amdhsa_user_sgpr_dispatch_ptr 0
		.amdhsa_user_sgpr_queue_ptr 0
		.amdhsa_user_sgpr_kernarg_segment_ptr 1
		.amdhsa_user_sgpr_dispatch_id 0
		.amdhsa_user_sgpr_flat_scratch_init 0
		.amdhsa_user_sgpr_private_segment_size 0
		.amdhsa_uses_dynamic_stack 0
		.amdhsa_system_sgpr_private_segment_wavefront_offset 0
		.amdhsa_system_sgpr_workgroup_id_x 1
		.amdhsa_system_sgpr_workgroup_id_y 0
		.amdhsa_system_sgpr_workgroup_id_z 0
		.amdhsa_system_sgpr_workgroup_info 0
		.amdhsa_system_vgpr_workitem_id 0
		.amdhsa_next_free_vgpr 33
		.amdhsa_next_free_sgpr 77
		.amdhsa_reserve_vcc 1
		.amdhsa_reserve_flat_scratch 0
		.amdhsa_float_round_mode_32 0
		.amdhsa_float_round_mode_16_64 0
		.amdhsa_float_denorm_mode_32 3
		.amdhsa_float_denorm_mode_16_64 3
		.amdhsa_dx10_clamp 1
		.amdhsa_ieee_mode 1
		.amdhsa_fp16_overflow 0
		.amdhsa_exception_fp_ieee_invalid_op 0
		.amdhsa_exception_fp_denorm_src 0
		.amdhsa_exception_fp_ieee_div_zero 0
		.amdhsa_exception_fp_ieee_overflow 0
		.amdhsa_exception_fp_ieee_underflow 0
		.amdhsa_exception_fp_ieee_inexact 0
		.amdhsa_exception_int_div_zero 0
	.end_amdhsa_kernel
	.section	.text._ZN9rocsparseL20bsrxmvn_17_32_kernelILj29E21rocsparse_complex_numIdEliS2_S2_S2_EEvT2_20rocsparse_direction_NS_24const_host_device_scalarIT0_EES3_PKS3_PKT1_SC_S9_PKT3_PKT4_S7_PT5_21rocsparse_index_base_b,"axG",@progbits,_ZN9rocsparseL20bsrxmvn_17_32_kernelILj29E21rocsparse_complex_numIdEliS2_S2_S2_EEvT2_20rocsparse_direction_NS_24const_host_device_scalarIT0_EES3_PKS3_PKT1_SC_S9_PKT3_PKT4_S7_PT5_21rocsparse_index_base_b,comdat
.Lfunc_end124:
	.size	_ZN9rocsparseL20bsrxmvn_17_32_kernelILj29E21rocsparse_complex_numIdEliS2_S2_S2_EEvT2_20rocsparse_direction_NS_24const_host_device_scalarIT0_EES3_PKS3_PKT1_SC_S9_PKT3_PKT4_S7_PT5_21rocsparse_index_base_b, .Lfunc_end124-_ZN9rocsparseL20bsrxmvn_17_32_kernelILj29E21rocsparse_complex_numIdEliS2_S2_S2_EEvT2_20rocsparse_direction_NS_24const_host_device_scalarIT0_EES3_PKS3_PKT1_SC_S9_PKT3_PKT4_S7_PT5_21rocsparse_index_base_b
                                        ; -- End function
	.set _ZN9rocsparseL20bsrxmvn_17_32_kernelILj29E21rocsparse_complex_numIdEliS2_S2_S2_EEvT2_20rocsparse_direction_NS_24const_host_device_scalarIT0_EES3_PKS3_PKT1_SC_S9_PKT3_PKT4_S7_PT5_21rocsparse_index_base_b.num_vgpr, 31
	.set _ZN9rocsparseL20bsrxmvn_17_32_kernelILj29E21rocsparse_complex_numIdEliS2_S2_S2_EEvT2_20rocsparse_direction_NS_24const_host_device_scalarIT0_EES3_PKS3_PKT1_SC_S9_PKT3_PKT4_S7_PT5_21rocsparse_index_base_b.num_agpr, 0
	.set _ZN9rocsparseL20bsrxmvn_17_32_kernelILj29E21rocsparse_complex_numIdEliS2_S2_S2_EEvT2_20rocsparse_direction_NS_24const_host_device_scalarIT0_EES3_PKS3_PKT1_SC_S9_PKT3_PKT4_S7_PT5_21rocsparse_index_base_b.numbered_sgpr, 22
	.set _ZN9rocsparseL20bsrxmvn_17_32_kernelILj29E21rocsparse_complex_numIdEliS2_S2_S2_EEvT2_20rocsparse_direction_NS_24const_host_device_scalarIT0_EES3_PKS3_PKT1_SC_S9_PKT3_PKT4_S7_PT5_21rocsparse_index_base_b.num_named_barrier, 0
	.set _ZN9rocsparseL20bsrxmvn_17_32_kernelILj29E21rocsparse_complex_numIdEliS2_S2_S2_EEvT2_20rocsparse_direction_NS_24const_host_device_scalarIT0_EES3_PKS3_PKT1_SC_S9_PKT3_PKT4_S7_PT5_21rocsparse_index_base_b.private_seg_size, 0
	.set _ZN9rocsparseL20bsrxmvn_17_32_kernelILj29E21rocsparse_complex_numIdEliS2_S2_S2_EEvT2_20rocsparse_direction_NS_24const_host_device_scalarIT0_EES3_PKS3_PKT1_SC_S9_PKT3_PKT4_S7_PT5_21rocsparse_index_base_b.uses_vcc, 1
	.set _ZN9rocsparseL20bsrxmvn_17_32_kernelILj29E21rocsparse_complex_numIdEliS2_S2_S2_EEvT2_20rocsparse_direction_NS_24const_host_device_scalarIT0_EES3_PKS3_PKT1_SC_S9_PKT3_PKT4_S7_PT5_21rocsparse_index_base_b.uses_flat_scratch, 0
	.set _ZN9rocsparseL20bsrxmvn_17_32_kernelILj29E21rocsparse_complex_numIdEliS2_S2_S2_EEvT2_20rocsparse_direction_NS_24const_host_device_scalarIT0_EES3_PKS3_PKT1_SC_S9_PKT3_PKT4_S7_PT5_21rocsparse_index_base_b.has_dyn_sized_stack, 0
	.set _ZN9rocsparseL20bsrxmvn_17_32_kernelILj29E21rocsparse_complex_numIdEliS2_S2_S2_EEvT2_20rocsparse_direction_NS_24const_host_device_scalarIT0_EES3_PKS3_PKT1_SC_S9_PKT3_PKT4_S7_PT5_21rocsparse_index_base_b.has_recursion, 0
	.set _ZN9rocsparseL20bsrxmvn_17_32_kernelILj29E21rocsparse_complex_numIdEliS2_S2_S2_EEvT2_20rocsparse_direction_NS_24const_host_device_scalarIT0_EES3_PKS3_PKT1_SC_S9_PKT3_PKT4_S7_PT5_21rocsparse_index_base_b.has_indirect_call, 0
	.section	.AMDGPU.csdata,"",@progbits
; Kernel info:
; codeLenInByte = 1716
; TotalNumSgprs: 26
; NumVgprs: 31
; ScratchSize: 0
; MemoryBound: 0
; FloatMode: 240
; IeeeMode: 1
; LDSByteSize: 13456 bytes/workgroup (compile time only)
; SGPRBlocks: 10
; VGPRBlocks: 8
; NumSGPRsForWavesPerEU: 81
; NumVGPRsForWavesPerEU: 33
; Occupancy: 7
; WaveLimiterHint : 1
; COMPUTE_PGM_RSRC2:SCRATCH_EN: 0
; COMPUTE_PGM_RSRC2:USER_SGPR: 6
; COMPUTE_PGM_RSRC2:TRAP_HANDLER: 0
; COMPUTE_PGM_RSRC2:TGID_X_EN: 1
; COMPUTE_PGM_RSRC2:TGID_Y_EN: 0
; COMPUTE_PGM_RSRC2:TGID_Z_EN: 0
; COMPUTE_PGM_RSRC2:TIDIG_COMP_CNT: 0
	.section	.text._ZN9rocsparseL20bsrxmvn_17_32_kernelILj30E21rocsparse_complex_numIdEliS2_S2_S2_EEvT2_20rocsparse_direction_NS_24const_host_device_scalarIT0_EES3_PKS3_PKT1_SC_S9_PKT3_PKT4_S7_PT5_21rocsparse_index_base_b,"axG",@progbits,_ZN9rocsparseL20bsrxmvn_17_32_kernelILj30E21rocsparse_complex_numIdEliS2_S2_S2_EEvT2_20rocsparse_direction_NS_24const_host_device_scalarIT0_EES3_PKS3_PKT1_SC_S9_PKT3_PKT4_S7_PT5_21rocsparse_index_base_b,comdat
	.globl	_ZN9rocsparseL20bsrxmvn_17_32_kernelILj30E21rocsparse_complex_numIdEliS2_S2_S2_EEvT2_20rocsparse_direction_NS_24const_host_device_scalarIT0_EES3_PKS3_PKT1_SC_S9_PKT3_PKT4_S7_PT5_21rocsparse_index_base_b ; -- Begin function _ZN9rocsparseL20bsrxmvn_17_32_kernelILj30E21rocsparse_complex_numIdEliS2_S2_S2_EEvT2_20rocsparse_direction_NS_24const_host_device_scalarIT0_EES3_PKS3_PKT1_SC_S9_PKT3_PKT4_S7_PT5_21rocsparse_index_base_b
	.p2align	8
	.type	_ZN9rocsparseL20bsrxmvn_17_32_kernelILj30E21rocsparse_complex_numIdEliS2_S2_S2_EEvT2_20rocsparse_direction_NS_24const_host_device_scalarIT0_EES3_PKS3_PKT1_SC_S9_PKT3_PKT4_S7_PT5_21rocsparse_index_base_b,@function
_ZN9rocsparseL20bsrxmvn_17_32_kernelILj30E21rocsparse_complex_numIdEliS2_S2_S2_EEvT2_20rocsparse_direction_NS_24const_host_device_scalarIT0_EES3_PKS3_PKT1_SC_S9_PKT3_PKT4_S7_PT5_21rocsparse_index_base_b: ; @_ZN9rocsparseL20bsrxmvn_17_32_kernelILj30E21rocsparse_complex_numIdEliS2_S2_S2_EEvT2_20rocsparse_direction_NS_24const_host_device_scalarIT0_EES3_PKS3_PKT1_SC_S9_PKT3_PKT4_S7_PT5_21rocsparse_index_base_b
; %bb.0:
	s_load_dwordx2 s[0:1], s[4:5], 0x8
	s_load_dwordx2 s[14:15], s[4:5], 0x68
	s_add_u32 s7, s4, 8
	s_addc_u32 s8, s5, 0
	s_add_u32 s9, s4, 0x50
	s_addc_u32 s10, s5, 0
	s_waitcnt lgkmcnt(0)
	s_bitcmp1_b32 s15, 0
	s_cselect_b32 s1, s8, s1
	s_cselect_b32 s0, s7, s0
	v_mov_b32_e32 v1, s0
	v_mov_b32_e32 v2, s1
	flat_load_dwordx4 v[5:8], v[1:2]
	s_load_dwordx2 s[2:3], s[4:5], 0x50
	s_waitcnt lgkmcnt(0)
	s_cselect_b32 s0, s10, s3
	s_cselect_b32 s1, s9, s2
	v_mov_b32_e32 v1, s1
	v_mov_b32_e32 v2, s0
	flat_load_dwordx4 v[1:4], v[1:2]
	s_waitcnt vmcnt(0)
	v_cmp_eq_f64_e32 vcc, 0, v[5:6]
	v_cmp_eq_f64_e64 s[0:1], 0, v[7:8]
	s_and_b64 s[8:9], vcc, s[0:1]
	s_mov_b64 s[0:1], -1
	s_and_saveexec_b64 s[2:3], s[8:9]
	s_cbranch_execz .LBB125_2
; %bb.1:
	s_waitcnt lgkmcnt(0)
	v_cmp_neq_f64_e32 vcc, 1.0, v[1:2]
	v_cmp_neq_f64_e64 s[0:1], 0, v[3:4]
	s_or_b64 s[0:1], vcc, s[0:1]
	s_orn2_b64 s[0:1], s[0:1], exec
.LBB125_2:
	s_or_b64 exec, exec, s[2:3]
	s_and_saveexec_b64 s[2:3], s[0:1]
	s_cbranch_execz .LBB125_39
; %bb.3:
	s_load_dwordx4 s[0:3], s[4:5], 0x20
	s_load_dwordx2 s[8:9], s[4:5], 0x30
	s_waitcnt lgkmcnt(0)
	s_cmp_eq_u64 s[0:1], 0
	s_cbranch_scc1 .LBB125_5
; %bb.4:
	s_ashr_i32 s7, s6, 31
	s_lshl_b64 s[6:7], s[6:7], 2
	s_add_u32 s0, s0, s6
	s_addc_u32 s1, s1, s7
	s_load_dword s0, s[0:1], 0x0
	s_waitcnt lgkmcnt(0)
	s_sub_i32 s6, s0, s14
.LBB125_5:
	s_load_dword s7, s[4:5], 0x4
	s_load_dwordx2 s[12:13], s[4:5], 0x60
	v_mul_u32_u24_e32 v13, 0x889, v0
	v_mov_b32_e32 v9, 30
	v_mul_lo_u16_sdwa v9, v13, v9 dst_sel:DWORD dst_unused:UNUSED_PAD src0_sel:WORD_1 src1_sel:DWORD
	s_waitcnt lgkmcnt(0)
	s_cmp_eq_u32 s7, 1
	s_cselect_b64 s[0:1], -1, 0
	s_cmp_lg_u32 s7, 1
	s_cselect_b64 s[16:17], -1, 0
	s_ashr_i32 s7, s6, 31
	s_lshl_b64 s[10:11], s[6:7], 3
	s_add_u32 s2, s2, s10
	s_addc_u32 s3, s3, s11
	s_add_u32 s7, s2, 8
	s_addc_u32 s15, s3, 0
	;; [unrolled: 2-line block ×3, first 2 shown]
	s_cmp_eq_u64 s[8:9], 0
	s_cselect_b32 s9, s15, s11
	s_cselect_b32 s8, s7, s10
	s_load_dwordx2 s[18:19], s[8:9], 0x0
	s_load_dwordx2 s[20:21], s[2:3], 0x0
	v_sub_u16_e32 v21, v0, v9
	v_mov_b32_e32 v11, 0
	v_mov_b32_e32 v12, 0
	s_waitcnt lgkmcnt(0)
	v_mov_b32_e32 v9, s18
	v_mov_b32_e32 v10, s19
	v_cmp_ge_i64_e32 vcc, s[20:21], v[9:10]
	v_mov_b32_e32 v9, 0
	v_lshlrev_b32_e32 v20, 4, v0
	v_mov_b32_e32 v10, 0
	s_cbranch_vccnz .LBB125_10
; %bb.6:
	s_load_dwordx2 s[2:3], s[4:5], 0x48
	s_load_dwordx4 s[8:11], s[4:5], 0x38
	s_sub_u32 s4, s18, s14
	s_mov_b32 s7, 0xffff
	s_subb_u32 s5, s19, 0
	s_movk_i32 s15, 0x384
	v_and_b32_sdwa v9, s7, v13 dst_sel:DWORD dst_unused:UNUSED_PAD src0_sel:DWORD src1_sel:WORD_1
	v_subrev_u32_e32 v10, 30, v9
	v_cmp_gt_u32_e32 vcc, s15, v0
	s_sub_u32 s18, s20, s14
	v_cndmask_b32_e32 v9, v10, v9, vcc
	s_subb_u32 s19, s21, 0
	v_cndmask_b32_e64 v13, v21, v9, s[0:1]
	s_mul_i32 s0, s19, 0x3840
	s_mul_hi_u32 s1, s18, 0x3840
	s_add_i32 s1, s1, s0
	s_mul_i32 s0, s18, 0x3840
	s_waitcnt lgkmcnt(0)
	s_add_u32 s0, s10, s0
	s_addc_u32 s1, s11, s1
	v_mov_b32_e32 v9, s1
	v_add_co_u32_e32 v14, vcc, s0, v20
	v_addc_co_u32_e32 v15, vcc, 0, v9, vcc
	s_movk_i32 s0, 0x383
	v_cmp_lt_u32_e32 vcc, s0, v0
	v_cndmask_b32_e64 v22, 0, 1, vcc
	v_mov_b32_e32 v9, s21
	v_add_co_u32_e32 v10, vcc, s20, v22
	v_addc_co_u32_e32 v11, vcc, 0, v9, vcc
	v_subrev_co_u32_e32 v9, vcc, s14, v10
	v_subbrev_co_u32_e32 v10, vcc, 0, v11, vcc
	v_lshlrev_b64 v[9:10], 2, v[9:10]
	v_mov_b32_e32 v11, s9
	v_add_co_u32_e32 v16, vcc, s8, v9
	v_addc_co_u32_e32 v17, vcc, v11, v10, vcc
	v_mov_b32_e32 v11, 0
	v_mov_b32_e32 v12, 0
	;; [unrolled: 1-line block ×6, first 2 shown]
	s_branch .LBB125_8
.LBB125_7:                              ;   in Loop: Header=BB125_8 Depth=1
	s_or_b64 exec, exec, s[0:1]
	s_add_u32 s18, s18, 1
	s_addc_u32 s19, s19, 0
	v_cmp_lt_i64_e32 vcc, s[18:19], v[18:19]
	v_add_co_u32_e64 v16, s[0:1], 4, v16
	v_addc_co_u32_e64 v17, s[0:1], 0, v17, s[0:1]
	s_cbranch_vccz .LBB125_10
.LBB125_8:                              ; =>This Inner Loop Header: Depth=1
	v_mov_b32_e32 v24, s19
	v_add_co_u32_e32 v23, vcc, s18, v22
	v_addc_co_u32_e32 v24, vcc, 0, v24, vcc
	v_cmp_gt_i64_e32 vcc, s[4:5], v[23:24]
	s_and_saveexec_b64 s[0:1], vcc
	s_cbranch_execz .LBB125_7
; %bb.9:                                ;   in Loop: Header=BB125_8 Depth=1
	global_load_dword v23, v[16:17], off
	v_mov_b32_e32 v29, s3
	s_waitcnt vmcnt(0)
	v_subrev_u32_e32 v23, s14, v23
	v_mad_u64_u32 v[27:28], s[8:9], v23, 30, v[13:14]
	global_load_dwordx4 v[23:26], v[14:15], off
	v_ashrrev_i32_e32 v28, 31, v27
	v_lshlrev_b64 v[27:28], 4, v[27:28]
	v_add_co_u32_e32 v27, vcc, s2, v27
	v_addc_co_u32_e32 v28, vcc, v29, v28, vcc
	global_load_dwordx4 v[27:30], v[27:28], off
	v_add_co_u32_e32 v14, vcc, 0x3840, v14
	v_addc_co_u32_e32 v15, vcc, 0, v15, vcc
	s_waitcnt vmcnt(0)
	v_fma_f64 v[9:10], v[23:24], v[27:28], v[9:10]
	v_fma_f64 v[11:12], v[25:26], v[27:28], v[11:12]
	v_fma_f64 v[9:10], -v[25:26], v[29:30], v[9:10]
	v_fma_f64 v[11:12], v[23:24], v[29:30], v[11:12]
	s_branch .LBB125_7
.LBB125_10:
	s_and_b64 vcc, exec, s[16:17]
	ds_write_b128 v20, v[9:12]
	s_waitcnt lgkmcnt(0)
	s_barrier
	s_cbranch_vccz .LBB125_22
; %bb.11:
	v_cmp_gt_u16_e32 vcc, 14, v21
	s_and_saveexec_b64 s[0:1], vcc
	s_cbranch_execz .LBB125_13
; %bb.12:
	ds_read_b128 v[13:16], v20 offset:256
	ds_read_b128 v[22:25], v20
	s_waitcnt lgkmcnt(0)
	v_add_f64 v[13:14], v[13:14], v[22:23]
	v_add_f64 v[15:16], v[15:16], v[24:25]
	ds_write_b128 v20, v[13:16]
.LBB125_13:
	s_or_b64 exec, exec, s[0:1]
	v_cmp_gt_u16_e32 vcc, 8, v21
	s_waitcnt lgkmcnt(0)
	s_barrier
	s_and_saveexec_b64 s[0:1], vcc
	s_cbranch_execz .LBB125_15
; %bb.14:
	ds_read_b128 v[13:16], v20 offset:128
	ds_read_b128 v[22:25], v20
	s_waitcnt lgkmcnt(0)
	v_add_f64 v[13:14], v[13:14], v[22:23]
	v_add_f64 v[15:16], v[15:16], v[24:25]
	ds_write_b128 v20, v[13:16]
.LBB125_15:
	s_or_b64 exec, exec, s[0:1]
	v_cmp_gt_u16_e32 vcc, 4, v21
	s_waitcnt lgkmcnt(0)
	s_barrier
	;; [unrolled: 14-line block ×3, first 2 shown]
	s_and_saveexec_b64 s[0:1], vcc
	s_cbranch_execz .LBB125_19
; %bb.18:
	ds_read_b128 v[13:16], v20
	ds_read_b128 v[21:24], v20 offset:32
	s_waitcnt lgkmcnt(0)
	v_add_f64 v[13:14], v[21:22], v[13:14]
	v_add_f64 v[15:16], v[23:24], v[15:16]
	ds_write_b128 v20, v[13:16]
.LBB125_19:
	s_or_b64 exec, exec, s[0:1]
	v_mov_b32_e32 v16, v12
	v_mov_b32_e32 v14, v10
	v_cmp_gt_u32_e32 vcc, 30, v0
	v_mov_b32_e32 v15, v11
	v_mov_b32_e32 v13, v9
	s_waitcnt lgkmcnt(0)
	s_barrier
	s_and_saveexec_b64 s[0:1], vcc
	s_cbranch_execz .LBB125_21
; %bb.20:
	s_movk_i32 s2, 0x1d0
	v_mad_u32_u24 v17, v0, s2, v20
	ds_read_b128 v[13:16], v17
	ds_read_b128 v[21:24], v17 offset:16
	s_waitcnt lgkmcnt(0)
	v_add_f64 v[13:14], v[21:22], v[13:14]
	v_add_f64 v[15:16], v[23:24], v[15:16]
.LBB125_21:
	s_or_b64 exec, exec, s[0:1]
	s_branch .LBB125_34
.LBB125_22:
                                        ; implicit-def: $vgpr15_vgpr16
                                        ; implicit-def: $vgpr13_vgpr14
	s_cbranch_execz .LBB125_34
; %bb.23:
	s_movk_i32 s0, 0x1a4
	v_cmp_gt_u32_e32 vcc, s0, v0
	s_and_saveexec_b64 s[0:1], vcc
	s_cbranch_execz .LBB125_25
; %bb.24:
	ds_read_b128 v[13:16], v20 offset:7680
	ds_read_b128 v[21:24], v20
	s_waitcnt lgkmcnt(0)
	v_add_f64 v[13:14], v[13:14], v[21:22]
	v_add_f64 v[15:16], v[15:16], v[23:24]
	ds_write_b128 v20, v[13:16]
.LBB125_25:
	s_or_b64 exec, exec, s[0:1]
	s_movk_i32 s0, 0xf0
	v_cmp_gt_u32_e32 vcc, s0, v0
	s_waitcnt lgkmcnt(0)
	s_barrier
	s_and_saveexec_b64 s[0:1], vcc
	s_cbranch_execz .LBB125_27
; %bb.26:
	ds_read_b128 v[13:16], v20 offset:3840
	ds_read_b128 v[21:24], v20
	s_waitcnt lgkmcnt(0)
	v_add_f64 v[13:14], v[13:14], v[21:22]
	v_add_f64 v[15:16], v[15:16], v[23:24]
	ds_write_b128 v20, v[13:16]
.LBB125_27:
	s_or_b64 exec, exec, s[0:1]
	s_movk_i32 s0, 0x78
	v_cmp_gt_u32_e32 vcc, s0, v0
	s_waitcnt lgkmcnt(0)
	s_barrier
	s_and_saveexec_b64 s[0:1], vcc
	s_cbranch_execz .LBB125_29
; %bb.28:
	ds_read_b128 v[13:16], v20 offset:1920
	ds_read_b128 v[21:24], v20
	s_waitcnt lgkmcnt(0)
	v_add_f64 v[13:14], v[13:14], v[21:22]
	v_add_f64 v[15:16], v[15:16], v[23:24]
	ds_write_b128 v20, v[13:16]
.LBB125_29:
	s_or_b64 exec, exec, s[0:1]
	v_cmp_gt_u32_e32 vcc, 60, v0
	s_waitcnt lgkmcnt(0)
	s_barrier
	s_and_saveexec_b64 s[0:1], vcc
	s_cbranch_execz .LBB125_31
; %bb.30:
	ds_read_b128 v[13:16], v20 offset:960
	ds_read_b128 v[21:24], v20
	s_waitcnt lgkmcnt(0)
	v_add_f64 v[13:14], v[13:14], v[21:22]
	v_add_f64 v[15:16], v[15:16], v[23:24]
	ds_write_b128 v20, v[13:16]
.LBB125_31:
	s_or_b64 exec, exec, s[0:1]
	v_cmp_gt_u32_e32 vcc, 30, v0
	s_waitcnt lgkmcnt(0)
	s_and_saveexec_b64 s[0:1], vcc
	s_cbranch_execz .LBB125_33
; %bb.32:
	ds_read_b128 v[9:12], v20 offset:480
	ds_read_b128 v[13:16], v20
	s_waitcnt lgkmcnt(0)
	v_add_f64 v[9:10], v[9:10], v[13:14]
	v_add_f64 v[11:12], v[11:12], v[15:16]
.LBB125_33:
	s_or_b64 exec, exec, s[0:1]
	v_mov_b32_e32 v16, v12
	v_mov_b32_e32 v14, v10
	;; [unrolled: 1-line block ×4, first 2 shown]
.LBB125_34:
	v_cmp_gt_u32_e32 vcc, 30, v0
	s_and_b64 exec, exec, vcc
	s_cbranch_execz .LBB125_39
; %bb.35:
	v_mul_f64 v[9:10], v[15:16], -v[7:8]
	v_mul_f64 v[11:12], v[5:6], v[15:16]
	v_cmp_eq_f64_e32 vcc, 0, v[1:2]
	v_cmp_eq_f64_e64 s[0:1], 0, v[3:4]
	v_fma_f64 v[5:6], v[5:6], v[13:14], v[9:10]
	v_fma_f64 v[7:8], v[7:8], v[13:14], v[11:12]
	s_and_b64 s[0:1], vcc, s[0:1]
	s_and_saveexec_b64 s[2:3], s[0:1]
	s_xor_b64 s[0:1], exec, s[2:3]
	s_cbranch_execz .LBB125_37
; %bb.36:
	v_mad_u64_u32 v[0:1], s[2:3], s6, 30, v[0:1]
	v_mov_b32_e32 v1, 0
	v_mov_b32_e32 v2, s13
	v_lshlrev_b64 v[0:1], 4, v[0:1]
	v_add_co_u32_e32 v0, vcc, s12, v0
	v_addc_co_u32_e32 v1, vcc, v2, v1, vcc
	global_store_dwordx4 v[0:1], v[5:8], off
                                        ; implicit-def: $vgpr0
                                        ; implicit-def: $vgpr1_vgpr2
                                        ; implicit-def: $vgpr5_vgpr6
.LBB125_37:
	s_andn2_saveexec_b64 s[0:1], s[0:1]
	s_cbranch_execz .LBB125_39
; %bb.38:
	v_mad_u64_u32 v[9:10], s[0:1], s6, 30, v[0:1]
	v_mov_b32_e32 v10, 0
	v_mov_b32_e32 v0, s13
	v_lshlrev_b64 v[9:10], 4, v[9:10]
	v_add_co_u32_e32 v13, vcc, s12, v9
	v_addc_co_u32_e32 v14, vcc, v0, v10, vcc
	global_load_dwordx4 v[9:12], v[13:14], off
	s_waitcnt vmcnt(0)
	v_fma_f64 v[5:6], v[1:2], v[9:10], v[5:6]
	v_fma_f64 v[7:8], v[3:4], v[9:10], v[7:8]
	v_fma_f64 v[3:4], -v[3:4], v[11:12], v[5:6]
	v_fma_f64 v[5:6], v[1:2], v[11:12], v[7:8]
	global_store_dwordx4 v[13:14], v[3:6], off
.LBB125_39:
	s_endpgm
	.section	.rodata,"a",@progbits
	.p2align	6, 0x0
	.amdhsa_kernel _ZN9rocsparseL20bsrxmvn_17_32_kernelILj30E21rocsparse_complex_numIdEliS2_S2_S2_EEvT2_20rocsparse_direction_NS_24const_host_device_scalarIT0_EES3_PKS3_PKT1_SC_S9_PKT3_PKT4_S7_PT5_21rocsparse_index_base_b
		.amdhsa_group_segment_fixed_size 14400
		.amdhsa_private_segment_fixed_size 0
		.amdhsa_kernarg_size 112
		.amdhsa_user_sgpr_count 6
		.amdhsa_user_sgpr_private_segment_buffer 1
		.amdhsa_user_sgpr_dispatch_ptr 0
		.amdhsa_user_sgpr_queue_ptr 0
		.amdhsa_user_sgpr_kernarg_segment_ptr 1
		.amdhsa_user_sgpr_dispatch_id 0
		.amdhsa_user_sgpr_flat_scratch_init 0
		.amdhsa_user_sgpr_private_segment_size 0
		.amdhsa_uses_dynamic_stack 0
		.amdhsa_system_sgpr_private_segment_wavefront_offset 0
		.amdhsa_system_sgpr_workgroup_id_x 1
		.amdhsa_system_sgpr_workgroup_id_y 0
		.amdhsa_system_sgpr_workgroup_id_z 0
		.amdhsa_system_sgpr_workgroup_info 0
		.amdhsa_system_vgpr_workitem_id 0
		.amdhsa_next_free_vgpr 31
		.amdhsa_next_free_sgpr 61
		.amdhsa_reserve_vcc 1
		.amdhsa_reserve_flat_scratch 0
		.amdhsa_float_round_mode_32 0
		.amdhsa_float_round_mode_16_64 0
		.amdhsa_float_denorm_mode_32 3
		.amdhsa_float_denorm_mode_16_64 3
		.amdhsa_dx10_clamp 1
		.amdhsa_ieee_mode 1
		.amdhsa_fp16_overflow 0
		.amdhsa_exception_fp_ieee_invalid_op 0
		.amdhsa_exception_fp_denorm_src 0
		.amdhsa_exception_fp_ieee_div_zero 0
		.amdhsa_exception_fp_ieee_overflow 0
		.amdhsa_exception_fp_ieee_underflow 0
		.amdhsa_exception_fp_ieee_inexact 0
		.amdhsa_exception_int_div_zero 0
	.end_amdhsa_kernel
	.section	.text._ZN9rocsparseL20bsrxmvn_17_32_kernelILj30E21rocsparse_complex_numIdEliS2_S2_S2_EEvT2_20rocsparse_direction_NS_24const_host_device_scalarIT0_EES3_PKS3_PKT1_SC_S9_PKT3_PKT4_S7_PT5_21rocsparse_index_base_b,"axG",@progbits,_ZN9rocsparseL20bsrxmvn_17_32_kernelILj30E21rocsparse_complex_numIdEliS2_S2_S2_EEvT2_20rocsparse_direction_NS_24const_host_device_scalarIT0_EES3_PKS3_PKT1_SC_S9_PKT3_PKT4_S7_PT5_21rocsparse_index_base_b,comdat
.Lfunc_end125:
	.size	_ZN9rocsparseL20bsrxmvn_17_32_kernelILj30E21rocsparse_complex_numIdEliS2_S2_S2_EEvT2_20rocsparse_direction_NS_24const_host_device_scalarIT0_EES3_PKS3_PKT1_SC_S9_PKT3_PKT4_S7_PT5_21rocsparse_index_base_b, .Lfunc_end125-_ZN9rocsparseL20bsrxmvn_17_32_kernelILj30E21rocsparse_complex_numIdEliS2_S2_S2_EEvT2_20rocsparse_direction_NS_24const_host_device_scalarIT0_EES3_PKS3_PKT1_SC_S9_PKT3_PKT4_S7_PT5_21rocsparse_index_base_b
                                        ; -- End function
	.set _ZN9rocsparseL20bsrxmvn_17_32_kernelILj30E21rocsparse_complex_numIdEliS2_S2_S2_EEvT2_20rocsparse_direction_NS_24const_host_device_scalarIT0_EES3_PKS3_PKT1_SC_S9_PKT3_PKT4_S7_PT5_21rocsparse_index_base_b.num_vgpr, 31
	.set _ZN9rocsparseL20bsrxmvn_17_32_kernelILj30E21rocsparse_complex_numIdEliS2_S2_S2_EEvT2_20rocsparse_direction_NS_24const_host_device_scalarIT0_EES3_PKS3_PKT1_SC_S9_PKT3_PKT4_S7_PT5_21rocsparse_index_base_b.num_agpr, 0
	.set _ZN9rocsparseL20bsrxmvn_17_32_kernelILj30E21rocsparse_complex_numIdEliS2_S2_S2_EEvT2_20rocsparse_direction_NS_24const_host_device_scalarIT0_EES3_PKS3_PKT1_SC_S9_PKT3_PKT4_S7_PT5_21rocsparse_index_base_b.numbered_sgpr, 22
	.set _ZN9rocsparseL20bsrxmvn_17_32_kernelILj30E21rocsparse_complex_numIdEliS2_S2_S2_EEvT2_20rocsparse_direction_NS_24const_host_device_scalarIT0_EES3_PKS3_PKT1_SC_S9_PKT3_PKT4_S7_PT5_21rocsparse_index_base_b.num_named_barrier, 0
	.set _ZN9rocsparseL20bsrxmvn_17_32_kernelILj30E21rocsparse_complex_numIdEliS2_S2_S2_EEvT2_20rocsparse_direction_NS_24const_host_device_scalarIT0_EES3_PKS3_PKT1_SC_S9_PKT3_PKT4_S7_PT5_21rocsparse_index_base_b.private_seg_size, 0
	.set _ZN9rocsparseL20bsrxmvn_17_32_kernelILj30E21rocsparse_complex_numIdEliS2_S2_S2_EEvT2_20rocsparse_direction_NS_24const_host_device_scalarIT0_EES3_PKS3_PKT1_SC_S9_PKT3_PKT4_S7_PT5_21rocsparse_index_base_b.uses_vcc, 1
	.set _ZN9rocsparseL20bsrxmvn_17_32_kernelILj30E21rocsparse_complex_numIdEliS2_S2_S2_EEvT2_20rocsparse_direction_NS_24const_host_device_scalarIT0_EES3_PKS3_PKT1_SC_S9_PKT3_PKT4_S7_PT5_21rocsparse_index_base_b.uses_flat_scratch, 0
	.set _ZN9rocsparseL20bsrxmvn_17_32_kernelILj30E21rocsparse_complex_numIdEliS2_S2_S2_EEvT2_20rocsparse_direction_NS_24const_host_device_scalarIT0_EES3_PKS3_PKT1_SC_S9_PKT3_PKT4_S7_PT5_21rocsparse_index_base_b.has_dyn_sized_stack, 0
	.set _ZN9rocsparseL20bsrxmvn_17_32_kernelILj30E21rocsparse_complex_numIdEliS2_S2_S2_EEvT2_20rocsparse_direction_NS_24const_host_device_scalarIT0_EES3_PKS3_PKT1_SC_S9_PKT3_PKT4_S7_PT5_21rocsparse_index_base_b.has_recursion, 0
	.set _ZN9rocsparseL20bsrxmvn_17_32_kernelILj30E21rocsparse_complex_numIdEliS2_S2_S2_EEvT2_20rocsparse_direction_NS_24const_host_device_scalarIT0_EES3_PKS3_PKT1_SC_S9_PKT3_PKT4_S7_PT5_21rocsparse_index_base_b.has_indirect_call, 0
	.section	.AMDGPU.csdata,"",@progbits
; Kernel info:
; codeLenInByte = 1716
; TotalNumSgprs: 26
; NumVgprs: 31
; ScratchSize: 0
; MemoryBound: 0
; FloatMode: 240
; IeeeMode: 1
; LDSByteSize: 14400 bytes/workgroup (compile time only)
; SGPRBlocks: 8
; VGPRBlocks: 7
; NumSGPRsForWavesPerEU: 65
; NumVGPRsForWavesPerEU: 31
; Occupancy: 8
; WaveLimiterHint : 1
; COMPUTE_PGM_RSRC2:SCRATCH_EN: 0
; COMPUTE_PGM_RSRC2:USER_SGPR: 6
; COMPUTE_PGM_RSRC2:TRAP_HANDLER: 0
; COMPUTE_PGM_RSRC2:TGID_X_EN: 1
; COMPUTE_PGM_RSRC2:TGID_Y_EN: 0
; COMPUTE_PGM_RSRC2:TGID_Z_EN: 0
; COMPUTE_PGM_RSRC2:TIDIG_COMP_CNT: 0
	.section	.text._ZN9rocsparseL20bsrxmvn_17_32_kernelILj31E21rocsparse_complex_numIdEliS2_S2_S2_EEvT2_20rocsparse_direction_NS_24const_host_device_scalarIT0_EES3_PKS3_PKT1_SC_S9_PKT3_PKT4_S7_PT5_21rocsparse_index_base_b,"axG",@progbits,_ZN9rocsparseL20bsrxmvn_17_32_kernelILj31E21rocsparse_complex_numIdEliS2_S2_S2_EEvT2_20rocsparse_direction_NS_24const_host_device_scalarIT0_EES3_PKS3_PKT1_SC_S9_PKT3_PKT4_S7_PT5_21rocsparse_index_base_b,comdat
	.globl	_ZN9rocsparseL20bsrxmvn_17_32_kernelILj31E21rocsparse_complex_numIdEliS2_S2_S2_EEvT2_20rocsparse_direction_NS_24const_host_device_scalarIT0_EES3_PKS3_PKT1_SC_S9_PKT3_PKT4_S7_PT5_21rocsparse_index_base_b ; -- Begin function _ZN9rocsparseL20bsrxmvn_17_32_kernelILj31E21rocsparse_complex_numIdEliS2_S2_S2_EEvT2_20rocsparse_direction_NS_24const_host_device_scalarIT0_EES3_PKS3_PKT1_SC_S9_PKT3_PKT4_S7_PT5_21rocsparse_index_base_b
	.p2align	8
	.type	_ZN9rocsparseL20bsrxmvn_17_32_kernelILj31E21rocsparse_complex_numIdEliS2_S2_S2_EEvT2_20rocsparse_direction_NS_24const_host_device_scalarIT0_EES3_PKS3_PKT1_SC_S9_PKT3_PKT4_S7_PT5_21rocsparse_index_base_b,@function
_ZN9rocsparseL20bsrxmvn_17_32_kernelILj31E21rocsparse_complex_numIdEliS2_S2_S2_EEvT2_20rocsparse_direction_NS_24const_host_device_scalarIT0_EES3_PKS3_PKT1_SC_S9_PKT3_PKT4_S7_PT5_21rocsparse_index_base_b: ; @_ZN9rocsparseL20bsrxmvn_17_32_kernelILj31E21rocsparse_complex_numIdEliS2_S2_S2_EEvT2_20rocsparse_direction_NS_24const_host_device_scalarIT0_EES3_PKS3_PKT1_SC_S9_PKT3_PKT4_S7_PT5_21rocsparse_index_base_b
; %bb.0:
	s_load_dwordx2 s[0:1], s[4:5], 0x8
	s_load_dwordx2 s[14:15], s[4:5], 0x68
	s_add_u32 s7, s4, 8
	s_addc_u32 s8, s5, 0
	s_add_u32 s9, s4, 0x50
	s_addc_u32 s10, s5, 0
	s_waitcnt lgkmcnt(0)
	s_bitcmp1_b32 s15, 0
	s_cselect_b32 s1, s8, s1
	s_cselect_b32 s0, s7, s0
	v_mov_b32_e32 v1, s0
	v_mov_b32_e32 v2, s1
	flat_load_dwordx4 v[5:8], v[1:2]
	s_load_dwordx2 s[2:3], s[4:5], 0x50
	s_waitcnt lgkmcnt(0)
	s_cselect_b32 s0, s10, s3
	s_cselect_b32 s1, s9, s2
	v_mov_b32_e32 v1, s1
	v_mov_b32_e32 v2, s0
	flat_load_dwordx4 v[1:4], v[1:2]
	s_waitcnt vmcnt(0)
	v_cmp_eq_f64_e32 vcc, 0, v[5:6]
	v_cmp_eq_f64_e64 s[0:1], 0, v[7:8]
	s_and_b64 s[8:9], vcc, s[0:1]
	s_mov_b64 s[0:1], -1
	s_and_saveexec_b64 s[2:3], s[8:9]
	s_cbranch_execz .LBB126_2
; %bb.1:
	s_waitcnt lgkmcnt(0)
	v_cmp_neq_f64_e32 vcc, 1.0, v[1:2]
	v_cmp_neq_f64_e64 s[0:1], 0, v[3:4]
	s_or_b64 s[0:1], vcc, s[0:1]
	s_orn2_b64 s[0:1], s[0:1], exec
.LBB126_2:
	s_or_b64 exec, exec, s[2:3]
	s_and_saveexec_b64 s[2:3], s[0:1]
	s_cbranch_execz .LBB126_39
; %bb.3:
	s_load_dwordx4 s[0:3], s[4:5], 0x20
	s_load_dwordx2 s[8:9], s[4:5], 0x30
	s_waitcnt lgkmcnt(0)
	s_cmp_eq_u64 s[0:1], 0
	s_cbranch_scc1 .LBB126_5
; %bb.4:
	s_ashr_i32 s7, s6, 31
	s_lshl_b64 s[6:7], s[6:7], 2
	s_add_u32 s0, s0, s6
	s_addc_u32 s1, s1, s7
	s_load_dword s0, s[0:1], 0x0
	s_waitcnt lgkmcnt(0)
	s_sub_i32 s6, s0, s14
.LBB126_5:
	s_load_dword s7, s[4:5], 0x4
	s_load_dwordx2 s[12:13], s[4:5], 0x60
	v_mul_u32_u24_e32 v13, 0x843, v0
	v_mov_b32_e32 v9, 31
	v_mul_lo_u16_sdwa v9, v13, v9 dst_sel:DWORD dst_unused:UNUSED_PAD src0_sel:WORD_1 src1_sel:DWORD
	s_waitcnt lgkmcnt(0)
	s_cmp_eq_u32 s7, 1
	s_cselect_b64 s[0:1], -1, 0
	s_cmp_lg_u32 s7, 1
	s_cselect_b64 s[16:17], -1, 0
	s_ashr_i32 s7, s6, 31
	s_lshl_b64 s[10:11], s[6:7], 3
	s_add_u32 s2, s2, s10
	s_addc_u32 s3, s3, s11
	s_add_u32 s7, s2, 8
	s_addc_u32 s15, s3, 0
	;; [unrolled: 2-line block ×3, first 2 shown]
	s_cmp_eq_u64 s[8:9], 0
	s_cselect_b32 s9, s15, s11
	s_cselect_b32 s8, s7, s10
	s_load_dwordx2 s[18:19], s[8:9], 0x0
	s_load_dwordx2 s[20:21], s[2:3], 0x0
	v_sub_u16_e32 v21, v0, v9
	v_mov_b32_e32 v11, 0
	v_mov_b32_e32 v12, 0
	s_waitcnt lgkmcnt(0)
	v_mov_b32_e32 v9, s18
	v_mov_b32_e32 v10, s19
	v_cmp_ge_i64_e32 vcc, s[20:21], v[9:10]
	v_mov_b32_e32 v9, 0
	v_lshlrev_b32_e32 v20, 4, v0
	v_mov_b32_e32 v10, 0
	s_cbranch_vccnz .LBB126_10
; %bb.6:
	s_load_dwordx2 s[2:3], s[4:5], 0x48
	s_load_dwordx4 s[8:11], s[4:5], 0x38
	s_sub_u32 s4, s18, s14
	s_mov_b32 s7, 0xffff
	s_subb_u32 s5, s19, 0
	s_movk_i32 s15, 0x3c1
	v_and_b32_sdwa v9, s7, v13 dst_sel:DWORD dst_unused:UNUSED_PAD src0_sel:DWORD src1_sel:WORD_1
	v_subrev_u32_e32 v10, 31, v9
	v_cmp_gt_u32_e32 vcc, s15, v0
	s_sub_u32 s18, s20, s14
	v_cndmask_b32_e32 v9, v10, v9, vcc
	s_subb_u32 s19, s21, 0
	v_cndmask_b32_e64 v13, v21, v9, s[0:1]
	s_mul_i32 s0, s19, 0x3c10
	s_mul_hi_u32 s1, s18, 0x3c10
	s_add_i32 s1, s1, s0
	s_mul_i32 s0, s18, 0x3c10
	s_waitcnt lgkmcnt(0)
	s_add_u32 s0, s10, s0
	s_addc_u32 s1, s11, s1
	v_mov_b32_e32 v9, s1
	v_add_co_u32_e32 v14, vcc, s0, v20
	v_addc_co_u32_e32 v15, vcc, 0, v9, vcc
	s_movk_i32 s0, 0x3c0
	v_cmp_lt_u32_e32 vcc, s0, v0
	v_cndmask_b32_e64 v22, 0, 1, vcc
	v_mov_b32_e32 v9, s21
	v_add_co_u32_e32 v10, vcc, s20, v22
	v_addc_co_u32_e32 v11, vcc, 0, v9, vcc
	v_subrev_co_u32_e32 v9, vcc, s14, v10
	v_subbrev_co_u32_e32 v10, vcc, 0, v11, vcc
	v_lshlrev_b64 v[9:10], 2, v[9:10]
	v_mov_b32_e32 v11, s9
	v_add_co_u32_e32 v16, vcc, s8, v9
	v_addc_co_u32_e32 v17, vcc, v11, v10, vcc
	v_mov_b32_e32 v11, 0
	v_mov_b32_e32 v12, 0
	;; [unrolled: 1-line block ×6, first 2 shown]
	s_branch .LBB126_8
.LBB126_7:                              ;   in Loop: Header=BB126_8 Depth=1
	s_or_b64 exec, exec, s[0:1]
	s_add_u32 s18, s18, 1
	s_addc_u32 s19, s19, 0
	v_cmp_lt_i64_e32 vcc, s[18:19], v[18:19]
	v_add_co_u32_e64 v16, s[0:1], 4, v16
	v_addc_co_u32_e64 v17, s[0:1], 0, v17, s[0:1]
	s_cbranch_vccz .LBB126_10
.LBB126_8:                              ; =>This Inner Loop Header: Depth=1
	v_mov_b32_e32 v24, s19
	v_add_co_u32_e32 v23, vcc, s18, v22
	v_addc_co_u32_e32 v24, vcc, 0, v24, vcc
	v_cmp_gt_i64_e32 vcc, s[4:5], v[23:24]
	s_and_saveexec_b64 s[0:1], vcc
	s_cbranch_execz .LBB126_7
; %bb.9:                                ;   in Loop: Header=BB126_8 Depth=1
	global_load_dword v23, v[16:17], off
	v_mov_b32_e32 v29, s3
	s_waitcnt vmcnt(0)
	v_subrev_u32_e32 v23, s14, v23
	v_mad_u64_u32 v[27:28], s[8:9], v23, 31, v[13:14]
	global_load_dwordx4 v[23:26], v[14:15], off
	v_ashrrev_i32_e32 v28, 31, v27
	v_lshlrev_b64 v[27:28], 4, v[27:28]
	v_add_co_u32_e32 v27, vcc, s2, v27
	v_addc_co_u32_e32 v28, vcc, v29, v28, vcc
	global_load_dwordx4 v[27:30], v[27:28], off
	v_add_co_u32_e32 v14, vcc, 0x3c10, v14
	v_addc_co_u32_e32 v15, vcc, 0, v15, vcc
	s_waitcnt vmcnt(0)
	v_fma_f64 v[9:10], v[23:24], v[27:28], v[9:10]
	v_fma_f64 v[11:12], v[25:26], v[27:28], v[11:12]
	v_fma_f64 v[9:10], -v[25:26], v[29:30], v[9:10]
	v_fma_f64 v[11:12], v[23:24], v[29:30], v[11:12]
	s_branch .LBB126_7
.LBB126_10:
	s_and_b64 vcc, exec, s[16:17]
	ds_write_b128 v20, v[9:12]
	s_waitcnt lgkmcnt(0)
	s_barrier
	s_cbranch_vccz .LBB126_22
; %bb.11:
	v_cmp_gt_u16_e32 vcc, 15, v21
	s_and_saveexec_b64 s[0:1], vcc
	s_cbranch_execz .LBB126_13
; %bb.12:
	ds_read_b128 v[13:16], v20 offset:256
	ds_read_b128 v[22:25], v20
	s_waitcnt lgkmcnt(0)
	v_add_f64 v[13:14], v[13:14], v[22:23]
	v_add_f64 v[15:16], v[15:16], v[24:25]
	ds_write_b128 v20, v[13:16]
.LBB126_13:
	s_or_b64 exec, exec, s[0:1]
	v_cmp_gt_u16_e32 vcc, 8, v21
	s_waitcnt lgkmcnt(0)
	s_barrier
	s_and_saveexec_b64 s[0:1], vcc
	s_cbranch_execz .LBB126_15
; %bb.14:
	ds_read_b128 v[13:16], v20 offset:128
	ds_read_b128 v[22:25], v20
	s_waitcnt lgkmcnt(0)
	v_add_f64 v[13:14], v[13:14], v[22:23]
	v_add_f64 v[15:16], v[15:16], v[24:25]
	ds_write_b128 v20, v[13:16]
.LBB126_15:
	s_or_b64 exec, exec, s[0:1]
	v_cmp_gt_u16_e32 vcc, 4, v21
	s_waitcnt lgkmcnt(0)
	s_barrier
	;; [unrolled: 14-line block ×3, first 2 shown]
	s_and_saveexec_b64 s[0:1], vcc
	s_cbranch_execz .LBB126_19
; %bb.18:
	ds_read_b128 v[13:16], v20
	ds_read_b128 v[21:24], v20 offset:32
	s_waitcnt lgkmcnt(0)
	v_add_f64 v[13:14], v[21:22], v[13:14]
	v_add_f64 v[15:16], v[23:24], v[15:16]
	ds_write_b128 v20, v[13:16]
.LBB126_19:
	s_or_b64 exec, exec, s[0:1]
	v_mov_b32_e32 v16, v12
	v_mov_b32_e32 v14, v10
	v_cmp_gt_u32_e32 vcc, 31, v0
	v_mov_b32_e32 v15, v11
	v_mov_b32_e32 v13, v9
	s_waitcnt lgkmcnt(0)
	s_barrier
	s_and_saveexec_b64 s[0:1], vcc
	s_cbranch_execz .LBB126_21
; %bb.20:
	s_movk_i32 s2, 0x1e0
	v_mad_u32_u24 v17, v0, s2, v20
	ds_read_b128 v[13:16], v17
	ds_read_b128 v[21:24], v17 offset:16
	s_waitcnt lgkmcnt(0)
	v_add_f64 v[13:14], v[21:22], v[13:14]
	v_add_f64 v[15:16], v[23:24], v[15:16]
.LBB126_21:
	s_or_b64 exec, exec, s[0:1]
	s_branch .LBB126_34
.LBB126_22:
                                        ; implicit-def: $vgpr15_vgpr16
                                        ; implicit-def: $vgpr13_vgpr14
	s_cbranch_execz .LBB126_34
; %bb.23:
	s_movk_i32 s0, 0x1d1
	v_cmp_gt_u32_e32 vcc, s0, v0
	s_and_saveexec_b64 s[0:1], vcc
	s_cbranch_execz .LBB126_25
; %bb.24:
	ds_read_b128 v[13:16], v20 offset:7936
	ds_read_b128 v[21:24], v20
	s_waitcnt lgkmcnt(0)
	v_add_f64 v[13:14], v[13:14], v[21:22]
	v_add_f64 v[15:16], v[15:16], v[23:24]
	ds_write_b128 v20, v[13:16]
.LBB126_25:
	s_or_b64 exec, exec, s[0:1]
	s_movk_i32 s0, 0xf8
	v_cmp_gt_u32_e32 vcc, s0, v0
	s_waitcnt lgkmcnt(0)
	s_barrier
	s_and_saveexec_b64 s[0:1], vcc
	s_cbranch_execz .LBB126_27
; %bb.26:
	ds_read_b128 v[13:16], v20 offset:3968
	ds_read_b128 v[21:24], v20
	s_waitcnt lgkmcnt(0)
	v_add_f64 v[13:14], v[13:14], v[21:22]
	v_add_f64 v[15:16], v[15:16], v[23:24]
	ds_write_b128 v20, v[13:16]
.LBB126_27:
	s_or_b64 exec, exec, s[0:1]
	s_movk_i32 s0, 0x7c
	v_cmp_gt_u32_e32 vcc, s0, v0
	s_waitcnt lgkmcnt(0)
	s_barrier
	s_and_saveexec_b64 s[0:1], vcc
	s_cbranch_execz .LBB126_29
; %bb.28:
	ds_read_b128 v[13:16], v20 offset:1984
	ds_read_b128 v[21:24], v20
	s_waitcnt lgkmcnt(0)
	v_add_f64 v[13:14], v[13:14], v[21:22]
	v_add_f64 v[15:16], v[15:16], v[23:24]
	ds_write_b128 v20, v[13:16]
.LBB126_29:
	s_or_b64 exec, exec, s[0:1]
	v_cmp_gt_u32_e32 vcc, 62, v0
	s_waitcnt lgkmcnt(0)
	s_barrier
	s_and_saveexec_b64 s[0:1], vcc
	s_cbranch_execz .LBB126_31
; %bb.30:
	ds_read_b128 v[13:16], v20 offset:992
	ds_read_b128 v[21:24], v20
	s_waitcnt lgkmcnt(0)
	v_add_f64 v[13:14], v[13:14], v[21:22]
	v_add_f64 v[15:16], v[15:16], v[23:24]
	ds_write_b128 v20, v[13:16]
.LBB126_31:
	s_or_b64 exec, exec, s[0:1]
	v_cmp_gt_u32_e32 vcc, 31, v0
	s_waitcnt lgkmcnt(0)
	s_and_saveexec_b64 s[0:1], vcc
	s_cbranch_execz .LBB126_33
; %bb.32:
	ds_read_b128 v[9:12], v20 offset:496
	ds_read_b128 v[13:16], v20
	s_waitcnt lgkmcnt(0)
	v_add_f64 v[9:10], v[9:10], v[13:14]
	v_add_f64 v[11:12], v[11:12], v[15:16]
.LBB126_33:
	s_or_b64 exec, exec, s[0:1]
	v_mov_b32_e32 v16, v12
	v_mov_b32_e32 v14, v10
	;; [unrolled: 1-line block ×4, first 2 shown]
.LBB126_34:
	v_cmp_gt_u32_e32 vcc, 31, v0
	s_and_b64 exec, exec, vcc
	s_cbranch_execz .LBB126_39
; %bb.35:
	v_mul_f64 v[9:10], v[15:16], -v[7:8]
	v_mul_f64 v[11:12], v[5:6], v[15:16]
	v_cmp_eq_f64_e32 vcc, 0, v[1:2]
	v_cmp_eq_f64_e64 s[0:1], 0, v[3:4]
	v_fma_f64 v[5:6], v[5:6], v[13:14], v[9:10]
	v_fma_f64 v[7:8], v[7:8], v[13:14], v[11:12]
	s_and_b64 s[0:1], vcc, s[0:1]
	s_and_saveexec_b64 s[2:3], s[0:1]
	s_xor_b64 s[0:1], exec, s[2:3]
	s_cbranch_execz .LBB126_37
; %bb.36:
	v_mad_u64_u32 v[0:1], s[2:3], s6, 31, v[0:1]
	v_mov_b32_e32 v1, 0
	v_mov_b32_e32 v2, s13
	v_lshlrev_b64 v[0:1], 4, v[0:1]
	v_add_co_u32_e32 v0, vcc, s12, v0
	v_addc_co_u32_e32 v1, vcc, v2, v1, vcc
	global_store_dwordx4 v[0:1], v[5:8], off
                                        ; implicit-def: $vgpr0
                                        ; implicit-def: $vgpr1_vgpr2
                                        ; implicit-def: $vgpr5_vgpr6
.LBB126_37:
	s_andn2_saveexec_b64 s[0:1], s[0:1]
	s_cbranch_execz .LBB126_39
; %bb.38:
	v_mad_u64_u32 v[9:10], s[0:1], s6, 31, v[0:1]
	v_mov_b32_e32 v10, 0
	v_mov_b32_e32 v0, s13
	v_lshlrev_b64 v[9:10], 4, v[9:10]
	v_add_co_u32_e32 v13, vcc, s12, v9
	v_addc_co_u32_e32 v14, vcc, v0, v10, vcc
	global_load_dwordx4 v[9:12], v[13:14], off
	s_waitcnt vmcnt(0)
	v_fma_f64 v[5:6], v[1:2], v[9:10], v[5:6]
	v_fma_f64 v[7:8], v[3:4], v[9:10], v[7:8]
	v_fma_f64 v[3:4], -v[3:4], v[11:12], v[5:6]
	v_fma_f64 v[5:6], v[1:2], v[11:12], v[7:8]
	global_store_dwordx4 v[13:14], v[3:6], off
.LBB126_39:
	s_endpgm
	.section	.rodata,"a",@progbits
	.p2align	6, 0x0
	.amdhsa_kernel _ZN9rocsparseL20bsrxmvn_17_32_kernelILj31E21rocsparse_complex_numIdEliS2_S2_S2_EEvT2_20rocsparse_direction_NS_24const_host_device_scalarIT0_EES3_PKS3_PKT1_SC_S9_PKT3_PKT4_S7_PT5_21rocsparse_index_base_b
		.amdhsa_group_segment_fixed_size 15376
		.amdhsa_private_segment_fixed_size 0
		.amdhsa_kernarg_size 112
		.amdhsa_user_sgpr_count 6
		.amdhsa_user_sgpr_private_segment_buffer 1
		.amdhsa_user_sgpr_dispatch_ptr 0
		.amdhsa_user_sgpr_queue_ptr 0
		.amdhsa_user_sgpr_kernarg_segment_ptr 1
		.amdhsa_user_sgpr_dispatch_id 0
		.amdhsa_user_sgpr_flat_scratch_init 0
		.amdhsa_user_sgpr_private_segment_size 0
		.amdhsa_uses_dynamic_stack 0
		.amdhsa_system_sgpr_private_segment_wavefront_offset 0
		.amdhsa_system_sgpr_workgroup_id_x 1
		.amdhsa_system_sgpr_workgroup_id_y 0
		.amdhsa_system_sgpr_workgroup_id_z 0
		.amdhsa_system_sgpr_workgroup_info 0
		.amdhsa_system_vgpr_workitem_id 0
		.amdhsa_next_free_vgpr 31
		.amdhsa_next_free_sgpr 61
		.amdhsa_reserve_vcc 1
		.amdhsa_reserve_flat_scratch 0
		.amdhsa_float_round_mode_32 0
		.amdhsa_float_round_mode_16_64 0
		.amdhsa_float_denorm_mode_32 3
		.amdhsa_float_denorm_mode_16_64 3
		.amdhsa_dx10_clamp 1
		.amdhsa_ieee_mode 1
		.amdhsa_fp16_overflow 0
		.amdhsa_exception_fp_ieee_invalid_op 0
		.amdhsa_exception_fp_denorm_src 0
		.amdhsa_exception_fp_ieee_div_zero 0
		.amdhsa_exception_fp_ieee_overflow 0
		.amdhsa_exception_fp_ieee_underflow 0
		.amdhsa_exception_fp_ieee_inexact 0
		.amdhsa_exception_int_div_zero 0
	.end_amdhsa_kernel
	.section	.text._ZN9rocsparseL20bsrxmvn_17_32_kernelILj31E21rocsparse_complex_numIdEliS2_S2_S2_EEvT2_20rocsparse_direction_NS_24const_host_device_scalarIT0_EES3_PKS3_PKT1_SC_S9_PKT3_PKT4_S7_PT5_21rocsparse_index_base_b,"axG",@progbits,_ZN9rocsparseL20bsrxmvn_17_32_kernelILj31E21rocsparse_complex_numIdEliS2_S2_S2_EEvT2_20rocsparse_direction_NS_24const_host_device_scalarIT0_EES3_PKS3_PKT1_SC_S9_PKT3_PKT4_S7_PT5_21rocsparse_index_base_b,comdat
.Lfunc_end126:
	.size	_ZN9rocsparseL20bsrxmvn_17_32_kernelILj31E21rocsparse_complex_numIdEliS2_S2_S2_EEvT2_20rocsparse_direction_NS_24const_host_device_scalarIT0_EES3_PKS3_PKT1_SC_S9_PKT3_PKT4_S7_PT5_21rocsparse_index_base_b, .Lfunc_end126-_ZN9rocsparseL20bsrxmvn_17_32_kernelILj31E21rocsparse_complex_numIdEliS2_S2_S2_EEvT2_20rocsparse_direction_NS_24const_host_device_scalarIT0_EES3_PKS3_PKT1_SC_S9_PKT3_PKT4_S7_PT5_21rocsparse_index_base_b
                                        ; -- End function
	.set _ZN9rocsparseL20bsrxmvn_17_32_kernelILj31E21rocsparse_complex_numIdEliS2_S2_S2_EEvT2_20rocsparse_direction_NS_24const_host_device_scalarIT0_EES3_PKS3_PKT1_SC_S9_PKT3_PKT4_S7_PT5_21rocsparse_index_base_b.num_vgpr, 31
	.set _ZN9rocsparseL20bsrxmvn_17_32_kernelILj31E21rocsparse_complex_numIdEliS2_S2_S2_EEvT2_20rocsparse_direction_NS_24const_host_device_scalarIT0_EES3_PKS3_PKT1_SC_S9_PKT3_PKT4_S7_PT5_21rocsparse_index_base_b.num_agpr, 0
	.set _ZN9rocsparseL20bsrxmvn_17_32_kernelILj31E21rocsparse_complex_numIdEliS2_S2_S2_EEvT2_20rocsparse_direction_NS_24const_host_device_scalarIT0_EES3_PKS3_PKT1_SC_S9_PKT3_PKT4_S7_PT5_21rocsparse_index_base_b.numbered_sgpr, 22
	.set _ZN9rocsparseL20bsrxmvn_17_32_kernelILj31E21rocsparse_complex_numIdEliS2_S2_S2_EEvT2_20rocsparse_direction_NS_24const_host_device_scalarIT0_EES3_PKS3_PKT1_SC_S9_PKT3_PKT4_S7_PT5_21rocsparse_index_base_b.num_named_barrier, 0
	.set _ZN9rocsparseL20bsrxmvn_17_32_kernelILj31E21rocsparse_complex_numIdEliS2_S2_S2_EEvT2_20rocsparse_direction_NS_24const_host_device_scalarIT0_EES3_PKS3_PKT1_SC_S9_PKT3_PKT4_S7_PT5_21rocsparse_index_base_b.private_seg_size, 0
	.set _ZN9rocsparseL20bsrxmvn_17_32_kernelILj31E21rocsparse_complex_numIdEliS2_S2_S2_EEvT2_20rocsparse_direction_NS_24const_host_device_scalarIT0_EES3_PKS3_PKT1_SC_S9_PKT3_PKT4_S7_PT5_21rocsparse_index_base_b.uses_vcc, 1
	.set _ZN9rocsparseL20bsrxmvn_17_32_kernelILj31E21rocsparse_complex_numIdEliS2_S2_S2_EEvT2_20rocsparse_direction_NS_24const_host_device_scalarIT0_EES3_PKS3_PKT1_SC_S9_PKT3_PKT4_S7_PT5_21rocsparse_index_base_b.uses_flat_scratch, 0
	.set _ZN9rocsparseL20bsrxmvn_17_32_kernelILj31E21rocsparse_complex_numIdEliS2_S2_S2_EEvT2_20rocsparse_direction_NS_24const_host_device_scalarIT0_EES3_PKS3_PKT1_SC_S9_PKT3_PKT4_S7_PT5_21rocsparse_index_base_b.has_dyn_sized_stack, 0
	.set _ZN9rocsparseL20bsrxmvn_17_32_kernelILj31E21rocsparse_complex_numIdEliS2_S2_S2_EEvT2_20rocsparse_direction_NS_24const_host_device_scalarIT0_EES3_PKS3_PKT1_SC_S9_PKT3_PKT4_S7_PT5_21rocsparse_index_base_b.has_recursion, 0
	.set _ZN9rocsparseL20bsrxmvn_17_32_kernelILj31E21rocsparse_complex_numIdEliS2_S2_S2_EEvT2_20rocsparse_direction_NS_24const_host_device_scalarIT0_EES3_PKS3_PKT1_SC_S9_PKT3_PKT4_S7_PT5_21rocsparse_index_base_b.has_indirect_call, 0
	.section	.AMDGPU.csdata,"",@progbits
; Kernel info:
; codeLenInByte = 1716
; TotalNumSgprs: 26
; NumVgprs: 31
; ScratchSize: 0
; MemoryBound: 0
; FloatMode: 240
; IeeeMode: 1
; LDSByteSize: 15376 bytes/workgroup (compile time only)
; SGPRBlocks: 8
; VGPRBlocks: 7
; NumSGPRsForWavesPerEU: 65
; NumVGPRsForWavesPerEU: 31
; Occupancy: 8
; WaveLimiterHint : 1
; COMPUTE_PGM_RSRC2:SCRATCH_EN: 0
; COMPUTE_PGM_RSRC2:USER_SGPR: 6
; COMPUTE_PGM_RSRC2:TRAP_HANDLER: 0
; COMPUTE_PGM_RSRC2:TGID_X_EN: 1
; COMPUTE_PGM_RSRC2:TGID_Y_EN: 0
; COMPUTE_PGM_RSRC2:TGID_Z_EN: 0
; COMPUTE_PGM_RSRC2:TIDIG_COMP_CNT: 0
	.section	.text._ZN9rocsparseL20bsrxmvn_17_32_kernelILj32E21rocsparse_complex_numIdEliS2_S2_S2_EEvT2_20rocsparse_direction_NS_24const_host_device_scalarIT0_EES3_PKS3_PKT1_SC_S9_PKT3_PKT4_S7_PT5_21rocsparse_index_base_b,"axG",@progbits,_ZN9rocsparseL20bsrxmvn_17_32_kernelILj32E21rocsparse_complex_numIdEliS2_S2_S2_EEvT2_20rocsparse_direction_NS_24const_host_device_scalarIT0_EES3_PKS3_PKT1_SC_S9_PKT3_PKT4_S7_PT5_21rocsparse_index_base_b,comdat
	.globl	_ZN9rocsparseL20bsrxmvn_17_32_kernelILj32E21rocsparse_complex_numIdEliS2_S2_S2_EEvT2_20rocsparse_direction_NS_24const_host_device_scalarIT0_EES3_PKS3_PKT1_SC_S9_PKT3_PKT4_S7_PT5_21rocsparse_index_base_b ; -- Begin function _ZN9rocsparseL20bsrxmvn_17_32_kernelILj32E21rocsparse_complex_numIdEliS2_S2_S2_EEvT2_20rocsparse_direction_NS_24const_host_device_scalarIT0_EES3_PKS3_PKT1_SC_S9_PKT3_PKT4_S7_PT5_21rocsparse_index_base_b
	.p2align	8
	.type	_ZN9rocsparseL20bsrxmvn_17_32_kernelILj32E21rocsparse_complex_numIdEliS2_S2_S2_EEvT2_20rocsparse_direction_NS_24const_host_device_scalarIT0_EES3_PKS3_PKT1_SC_S9_PKT3_PKT4_S7_PT5_21rocsparse_index_base_b,@function
_ZN9rocsparseL20bsrxmvn_17_32_kernelILj32E21rocsparse_complex_numIdEliS2_S2_S2_EEvT2_20rocsparse_direction_NS_24const_host_device_scalarIT0_EES3_PKS3_PKT1_SC_S9_PKT3_PKT4_S7_PT5_21rocsparse_index_base_b: ; @_ZN9rocsparseL20bsrxmvn_17_32_kernelILj32E21rocsparse_complex_numIdEliS2_S2_S2_EEvT2_20rocsparse_direction_NS_24const_host_device_scalarIT0_EES3_PKS3_PKT1_SC_S9_PKT3_PKT4_S7_PT5_21rocsparse_index_base_b
; %bb.0:
	s_load_dwordx2 s[0:1], s[4:5], 0x8
	s_load_dwordx2 s[8:9], s[4:5], 0x68
	s_add_u32 s7, s4, 8
	s_addc_u32 s10, s5, 0
	s_add_u32 s11, s4, 0x50
	s_addc_u32 s12, s5, 0
	s_waitcnt lgkmcnt(0)
	s_bitcmp1_b32 s9, 0
	s_cselect_b32 s1, s10, s1
	s_cselect_b32 s0, s7, s0
	v_mov_b32_e32 v1, s0
	v_mov_b32_e32 v2, s1
	flat_load_dwordx4 v[5:8], v[1:2]
	s_load_dwordx2 s[2:3], s[4:5], 0x50
	s_waitcnt lgkmcnt(0)
	s_cselect_b32 s0, s12, s3
	s_cselect_b32 s1, s11, s2
	v_mov_b32_e32 v1, s1
	v_mov_b32_e32 v2, s0
	flat_load_dwordx4 v[1:4], v[1:2]
	s_waitcnt vmcnt(0)
	v_cmp_eq_f64_e32 vcc, 0, v[5:6]
	v_cmp_eq_f64_e64 s[0:1], 0, v[7:8]
	s_and_b64 s[10:11], vcc, s[0:1]
	s_mov_b64 s[0:1], -1
	s_and_saveexec_b64 s[2:3], s[10:11]
	s_cbranch_execz .LBB127_2
; %bb.1:
	s_waitcnt lgkmcnt(0)
	v_cmp_neq_f64_e32 vcc, 1.0, v[1:2]
	v_cmp_neq_f64_e64 s[0:1], 0, v[3:4]
	s_or_b64 s[0:1], vcc, s[0:1]
	s_orn2_b64 s[0:1], s[0:1], exec
.LBB127_2:
	s_or_b64 exec, exec, s[2:3]
	s_and_saveexec_b64 s[2:3], s[0:1]
	s_cbranch_execz .LBB127_37
; %bb.3:
	s_load_dwordx4 s[0:3], s[4:5], 0x20
	s_load_dwordx2 s[12:13], s[4:5], 0x30
	s_waitcnt lgkmcnt(0)
	s_cmp_eq_u64 s[0:1], 0
	s_cbranch_scc1 .LBB127_5
; %bb.4:
	s_ashr_i32 s7, s6, 31
	s_lshl_b64 s[6:7], s[6:7], 2
	s_add_u32 s0, s0, s6
	s_addc_u32 s1, s1, s7
	s_load_dword s0, s[0:1], 0x0
	s_waitcnt lgkmcnt(0)
	s_sub_i32 s6, s0, s8
.LBB127_5:
	s_load_dword s7, s[4:5], 0x4
	v_mov_b32_e32 v11, 0
	v_and_b32_e32 v18, 31, v0
	v_mov_b32_e32 v12, 0
	v_lshlrev_b32_e32 v17, 4, v0
	s_waitcnt lgkmcnt(0)
	s_cmp_eq_u32 s7, 1
	s_cselect_b64 s[0:1], -1, 0
	s_cmp_lg_u32 s7, 1
	s_cselect_b64 s[10:11], -1, 0
	s_ashr_i32 s7, s6, 31
	s_lshl_b64 s[14:15], s[6:7], 3
	s_add_u32 s18, s2, s14
	s_addc_u32 s19, s3, s15
	s_add_u32 s2, s18, 8
	s_addc_u32 s3, s19, 0
	;; [unrolled: 2-line block ×3, first 2 shown]
	s_cmp_eq_u64 s[12:13], 0
	s_cselect_b32 s13, s3, s9
	s_cselect_b32 s12, s2, s7
	s_load_dwordx2 s[16:17], s[12:13], 0x0
	s_load_dwordx2 s[14:15], s[18:19], 0x0
	;; [unrolled: 1-line block ×3, first 2 shown]
	s_waitcnt lgkmcnt(0)
	v_mov_b32_e32 v9, s16
	v_mov_b32_e32 v10, s17
	v_cmp_ge_i64_e32 vcc, s[14:15], v[9:10]
	v_mov_b32_e32 v9, 0
	v_mov_b32_e32 v10, 0
	s_cbranch_vccnz .LBB127_8
; %bb.6:
	s_load_dwordx2 s[12:13], s[4:5], 0x48
	s_load_dwordx4 s[20:23], s[4:5], 0x38
	s_sub_u32 s16, s16, s8
	s_subb_u32 s17, s17, 0
	v_lshrrev_b32_e32 v9, 5, v0
	v_cndmask_b32_e64 v19, v18, v9, s[0:1]
	s_sub_u32 s0, s14, s8
	s_subb_u32 s1, s15, 0
	s_lshl_b64 s[4:5], s[0:1], 14
	s_waitcnt lgkmcnt(0)
	s_add_u32 s4, s22, s4
	s_mov_b32 s9, 0
	s_addc_u32 s5, s23, s5
	v_mov_b32_e32 v9, s5
	v_add_co_u32_e32 v13, vcc, s4, v17
	s_lshl_b64 s[4:5], s[14:15], 2
	s_lshl_b64 s[14:15], s[8:9], 2
	s_sub_u32 s4, s4, s14
	s_subb_u32 s5, s5, s15
	v_mov_b32_e32 v11, 0
	v_addc_co_u32_e32 v14, vcc, 0, v9, vcc
	s_add_u32 s4, s20, s4
	v_mov_b32_e32 v12, 0
	v_mov_b32_e32 v15, s16
	;; [unrolled: 1-line block ×3, first 2 shown]
	s_addc_u32 s5, s21, s5
	v_mov_b32_e32 v20, s13
	v_mov_b32_e32 v16, s17
	;; [unrolled: 1-line block ×3, first 2 shown]
.LBB127_7:                              ; =>This Inner Loop Header: Depth=1
	s_load_dword s7, s[4:5], 0x0
	global_load_dwordx4 v[21:24], v[13:14], off
	s_waitcnt lgkmcnt(0)
	s_sub_i32 s7, s7, s8
	v_lshl_or_b32 v25, s7, 5, v19
	v_ashrrev_i32_e32 v26, 31, v25
	v_lshlrev_b64 v[25:26], 4, v[25:26]
	s_add_u32 s0, s0, 1
	v_add_co_u32_e32 v25, vcc, s12, v25
	v_addc_co_u32_e32 v26, vcc, v20, v26, vcc
	global_load_dwordx4 v[25:28], v[25:26], off
	v_add_co_u32_e32 v13, vcc, 0x4000, v13
	v_addc_co_u32_e32 v14, vcc, 0, v14, vcc
	s_addc_u32 s1, s1, 0
	v_cmp_lt_i64_e32 vcc, s[0:1], v[15:16]
	s_add_u32 s4, s4, 4
	s_addc_u32 s5, s5, 0
	s_and_b64 vcc, exec, vcc
	s_waitcnt vmcnt(0)
	v_fma_f64 v[9:10], v[21:22], v[25:26], v[9:10]
	v_fma_f64 v[11:12], v[23:24], v[25:26], v[11:12]
	v_fma_f64 v[9:10], -v[23:24], v[27:28], v[9:10]
	v_fma_f64 v[11:12], v[21:22], v[27:28], v[11:12]
	s_cbranch_vccnz .LBB127_7
.LBB127_8:
	s_and_b64 vcc, exec, s[10:11]
	ds_write_b128 v17, v[9:12]
	s_waitcnt lgkmcnt(0)
	s_barrier
	s_cbranch_vccz .LBB127_20
; %bb.9:
	v_cmp_gt_u32_e32 vcc, 16, v18
	s_and_saveexec_b64 s[0:1], vcc
	s_cbranch_execz .LBB127_11
; %bb.10:
	ds_read_b128 v[13:16], v17 offset:256
	ds_read_b128 v[19:22], v17
	s_waitcnt lgkmcnt(0)
	v_add_f64 v[13:14], v[13:14], v[19:20]
	v_add_f64 v[15:16], v[15:16], v[21:22]
	ds_write_b128 v17, v[13:16]
.LBB127_11:
	s_or_b64 exec, exec, s[0:1]
	v_cmp_gt_u32_e32 vcc, 8, v18
	s_waitcnt lgkmcnt(0)
	s_barrier
	s_and_saveexec_b64 s[0:1], vcc
	s_cbranch_execz .LBB127_13
; %bb.12:
	ds_read_b128 v[13:16], v17 offset:128
	ds_read_b128 v[19:22], v17
	s_waitcnt lgkmcnt(0)
	v_add_f64 v[13:14], v[13:14], v[19:20]
	v_add_f64 v[15:16], v[15:16], v[21:22]
	ds_write_b128 v17, v[13:16]
.LBB127_13:
	s_or_b64 exec, exec, s[0:1]
	v_cmp_gt_u32_e32 vcc, 4, v18
	s_waitcnt lgkmcnt(0)
	s_barrier
	;; [unrolled: 14-line block ×3, first 2 shown]
	s_and_saveexec_b64 s[0:1], vcc
	s_cbranch_execz .LBB127_17
; %bb.16:
	ds_read_b128 v[13:16], v17
	ds_read_b128 v[18:21], v17 offset:32
	s_waitcnt lgkmcnt(0)
	v_add_f64 v[13:14], v[18:19], v[13:14]
	v_add_f64 v[15:16], v[20:21], v[15:16]
	ds_write_b128 v17, v[13:16]
.LBB127_17:
	s_or_b64 exec, exec, s[0:1]
	v_mov_b32_e32 v16, v12
	v_mov_b32_e32 v14, v10
	v_cmp_gt_u32_e32 vcc, 32, v0
	v_mov_b32_e32 v15, v11
	v_mov_b32_e32 v13, v9
	s_waitcnt lgkmcnt(0)
	s_barrier
	s_and_saveexec_b64 s[0:1], vcc
	s_cbranch_execz .LBB127_19
; %bb.18:
	s_movk_i32 s4, 0x1f0
	v_mad_u32_u24 v18, v0, s4, v17
	ds_read_b128 v[13:16], v18
	ds_read_b128 v[18:21], v18 offset:16
	s_waitcnt lgkmcnt(0)
	v_add_f64 v[13:14], v[18:19], v[13:14]
	v_add_f64 v[15:16], v[20:21], v[15:16]
.LBB127_19:
	s_or_b64 exec, exec, s[0:1]
	s_branch .LBB127_32
.LBB127_20:
                                        ; implicit-def: $vgpr15_vgpr16
                                        ; implicit-def: $vgpr13_vgpr14
	s_cbranch_execz .LBB127_32
; %bb.21:
	s_movk_i32 s0, 0x200
	v_cmp_gt_u32_e32 vcc, s0, v0
	s_and_saveexec_b64 s[0:1], vcc
	s_cbranch_execz .LBB127_23
; %bb.22:
	ds_read_b128 v[13:16], v17 offset:8192
	ds_read_b128 v[18:21], v17
	s_waitcnt lgkmcnt(0)
	v_add_f64 v[13:14], v[13:14], v[18:19]
	v_add_f64 v[15:16], v[15:16], v[20:21]
	ds_write_b128 v17, v[13:16]
.LBB127_23:
	s_or_b64 exec, exec, s[0:1]
	s_movk_i32 s0, 0x100
	v_cmp_gt_u32_e32 vcc, s0, v0
	s_waitcnt lgkmcnt(0)
	s_barrier
	s_and_saveexec_b64 s[0:1], vcc
	s_cbranch_execz .LBB127_25
; %bb.24:
	ds_read_b128 v[13:16], v17 offset:4096
	ds_read_b128 v[18:21], v17
	s_waitcnt lgkmcnt(0)
	v_add_f64 v[13:14], v[13:14], v[18:19]
	v_add_f64 v[15:16], v[15:16], v[20:21]
	ds_write_b128 v17, v[13:16]
.LBB127_25:
	s_or_b64 exec, exec, s[0:1]
	s_movk_i32 s0, 0x80
	v_cmp_gt_u32_e32 vcc, s0, v0
	s_waitcnt lgkmcnt(0)
	s_barrier
	s_and_saveexec_b64 s[0:1], vcc
	s_cbranch_execz .LBB127_27
; %bb.26:
	ds_read_b128 v[13:16], v17 offset:2048
	ds_read_b128 v[18:21], v17
	s_waitcnt lgkmcnt(0)
	v_add_f64 v[13:14], v[13:14], v[18:19]
	v_add_f64 v[15:16], v[15:16], v[20:21]
	ds_write_b128 v17, v[13:16]
.LBB127_27:
	s_or_b64 exec, exec, s[0:1]
	v_cmp_gt_u32_e32 vcc, 64, v0
	s_waitcnt lgkmcnt(0)
	s_barrier
	s_and_saveexec_b64 s[0:1], vcc
	s_cbranch_execz .LBB127_29
; %bb.28:
	ds_read_b128 v[13:16], v17 offset:1024
	ds_read_b128 v[18:21], v17
	s_waitcnt lgkmcnt(0)
	v_add_f64 v[13:14], v[13:14], v[18:19]
	v_add_f64 v[15:16], v[15:16], v[20:21]
	ds_write_b128 v17, v[13:16]
.LBB127_29:
	s_or_b64 exec, exec, s[0:1]
	v_cmp_gt_u32_e32 vcc, 32, v0
	s_waitcnt lgkmcnt(0)
	s_and_saveexec_b64 s[0:1], vcc
	s_cbranch_execz .LBB127_31
; %bb.30:
	ds_read_b128 v[9:12], v17 offset:512
	ds_read_b128 v[13:16], v17
	s_waitcnt lgkmcnt(0)
	v_add_f64 v[9:10], v[9:10], v[13:14]
	v_add_f64 v[11:12], v[11:12], v[15:16]
.LBB127_31:
	s_or_b64 exec, exec, s[0:1]
	v_mov_b32_e32 v16, v12
	v_mov_b32_e32 v14, v10
	;; [unrolled: 1-line block ×4, first 2 shown]
.LBB127_32:
	v_cmp_gt_u32_e32 vcc, 32, v0
	s_and_b64 exec, exec, vcc
	s_cbranch_execz .LBB127_37
; %bb.33:
	v_mul_f64 v[9:10], v[15:16], -v[7:8]
	v_mul_f64 v[11:12], v[5:6], v[15:16]
	v_cmp_eq_f64_e32 vcc, 0, v[1:2]
	v_cmp_eq_f64_e64 s[0:1], 0, v[3:4]
	v_fma_f64 v[5:6], v[5:6], v[13:14], v[9:10]
	v_fma_f64 v[7:8], v[7:8], v[13:14], v[11:12]
	v_lshl_or_b32 v9, s6, 5, v0
	s_and_b64 s[0:1], vcc, s[0:1]
	s_and_saveexec_b64 s[4:5], s[0:1]
	s_xor_b64 s[0:1], exec, s[4:5]
	s_cbranch_execz .LBB127_35
; %bb.34:
	v_mov_b32_e32 v10, 0
	v_lshlrev_b64 v[0:1], 4, v[9:10]
	v_mov_b32_e32 v2, s3
	v_add_co_u32_e32 v0, vcc, s2, v0
	v_addc_co_u32_e32 v1, vcc, v2, v1, vcc
	global_store_dwordx4 v[0:1], v[5:8], off
                                        ; implicit-def: $vgpr9
                                        ; implicit-def: $vgpr1_vgpr2
                                        ; implicit-def: $vgpr5_vgpr6
.LBB127_35:
	s_andn2_saveexec_b64 s[0:1], s[0:1]
	s_cbranch_execz .LBB127_37
; %bb.36:
	v_mov_b32_e32 v10, 0
	v_lshlrev_b64 v[9:10], 4, v[9:10]
	v_mov_b32_e32 v0, s3
	v_add_co_u32_e32 v13, vcc, s2, v9
	v_addc_co_u32_e32 v14, vcc, v0, v10, vcc
	global_load_dwordx4 v[9:12], v[13:14], off
	s_waitcnt vmcnt(0)
	v_fma_f64 v[5:6], v[1:2], v[9:10], v[5:6]
	v_fma_f64 v[7:8], v[3:4], v[9:10], v[7:8]
	v_fma_f64 v[3:4], -v[3:4], v[11:12], v[5:6]
	v_fma_f64 v[5:6], v[1:2], v[11:12], v[7:8]
	global_store_dwordx4 v[13:14], v[3:6], off
.LBB127_37:
	s_endpgm
	.section	.rodata,"a",@progbits
	.p2align	6, 0x0
	.amdhsa_kernel _ZN9rocsparseL20bsrxmvn_17_32_kernelILj32E21rocsparse_complex_numIdEliS2_S2_S2_EEvT2_20rocsparse_direction_NS_24const_host_device_scalarIT0_EES3_PKS3_PKT1_SC_S9_PKT3_PKT4_S7_PT5_21rocsparse_index_base_b
		.amdhsa_group_segment_fixed_size 16384
		.amdhsa_private_segment_fixed_size 0
		.amdhsa_kernarg_size 112
		.amdhsa_user_sgpr_count 6
		.amdhsa_user_sgpr_private_segment_buffer 1
		.amdhsa_user_sgpr_dispatch_ptr 0
		.amdhsa_user_sgpr_queue_ptr 0
		.amdhsa_user_sgpr_kernarg_segment_ptr 1
		.amdhsa_user_sgpr_dispatch_id 0
		.amdhsa_user_sgpr_flat_scratch_init 0
		.amdhsa_user_sgpr_private_segment_size 0
		.amdhsa_uses_dynamic_stack 0
		.amdhsa_system_sgpr_private_segment_wavefront_offset 0
		.amdhsa_system_sgpr_workgroup_id_x 1
		.amdhsa_system_sgpr_workgroup_id_y 0
		.amdhsa_system_sgpr_workgroup_id_z 0
		.amdhsa_system_sgpr_workgroup_info 0
		.amdhsa_system_vgpr_workitem_id 0
		.amdhsa_next_free_vgpr 29
		.amdhsa_next_free_sgpr 61
		.amdhsa_reserve_vcc 1
		.amdhsa_reserve_flat_scratch 0
		.amdhsa_float_round_mode_32 0
		.amdhsa_float_round_mode_16_64 0
		.amdhsa_float_denorm_mode_32 3
		.amdhsa_float_denorm_mode_16_64 3
		.amdhsa_dx10_clamp 1
		.amdhsa_ieee_mode 1
		.amdhsa_fp16_overflow 0
		.amdhsa_exception_fp_ieee_invalid_op 0
		.amdhsa_exception_fp_denorm_src 0
		.amdhsa_exception_fp_ieee_div_zero 0
		.amdhsa_exception_fp_ieee_overflow 0
		.amdhsa_exception_fp_ieee_underflow 0
		.amdhsa_exception_fp_ieee_inexact 0
		.amdhsa_exception_int_div_zero 0
	.end_amdhsa_kernel
	.section	.text._ZN9rocsparseL20bsrxmvn_17_32_kernelILj32E21rocsparse_complex_numIdEliS2_S2_S2_EEvT2_20rocsparse_direction_NS_24const_host_device_scalarIT0_EES3_PKS3_PKT1_SC_S9_PKT3_PKT4_S7_PT5_21rocsparse_index_base_b,"axG",@progbits,_ZN9rocsparseL20bsrxmvn_17_32_kernelILj32E21rocsparse_complex_numIdEliS2_S2_S2_EEvT2_20rocsparse_direction_NS_24const_host_device_scalarIT0_EES3_PKS3_PKT1_SC_S9_PKT3_PKT4_S7_PT5_21rocsparse_index_base_b,comdat
.Lfunc_end127:
	.size	_ZN9rocsparseL20bsrxmvn_17_32_kernelILj32E21rocsparse_complex_numIdEliS2_S2_S2_EEvT2_20rocsparse_direction_NS_24const_host_device_scalarIT0_EES3_PKS3_PKT1_SC_S9_PKT3_PKT4_S7_PT5_21rocsparse_index_base_b, .Lfunc_end127-_ZN9rocsparseL20bsrxmvn_17_32_kernelILj32E21rocsparse_complex_numIdEliS2_S2_S2_EEvT2_20rocsparse_direction_NS_24const_host_device_scalarIT0_EES3_PKS3_PKT1_SC_S9_PKT3_PKT4_S7_PT5_21rocsparse_index_base_b
                                        ; -- End function
	.set _ZN9rocsparseL20bsrxmvn_17_32_kernelILj32E21rocsparse_complex_numIdEliS2_S2_S2_EEvT2_20rocsparse_direction_NS_24const_host_device_scalarIT0_EES3_PKS3_PKT1_SC_S9_PKT3_PKT4_S7_PT5_21rocsparse_index_base_b.num_vgpr, 29
	.set _ZN9rocsparseL20bsrxmvn_17_32_kernelILj32E21rocsparse_complex_numIdEliS2_S2_S2_EEvT2_20rocsparse_direction_NS_24const_host_device_scalarIT0_EES3_PKS3_PKT1_SC_S9_PKT3_PKT4_S7_PT5_21rocsparse_index_base_b.num_agpr, 0
	.set _ZN9rocsparseL20bsrxmvn_17_32_kernelILj32E21rocsparse_complex_numIdEliS2_S2_S2_EEvT2_20rocsparse_direction_NS_24const_host_device_scalarIT0_EES3_PKS3_PKT1_SC_S9_PKT3_PKT4_S7_PT5_21rocsparse_index_base_b.numbered_sgpr, 24
	.set _ZN9rocsparseL20bsrxmvn_17_32_kernelILj32E21rocsparse_complex_numIdEliS2_S2_S2_EEvT2_20rocsparse_direction_NS_24const_host_device_scalarIT0_EES3_PKS3_PKT1_SC_S9_PKT3_PKT4_S7_PT5_21rocsparse_index_base_b.num_named_barrier, 0
	.set _ZN9rocsparseL20bsrxmvn_17_32_kernelILj32E21rocsparse_complex_numIdEliS2_S2_S2_EEvT2_20rocsparse_direction_NS_24const_host_device_scalarIT0_EES3_PKS3_PKT1_SC_S9_PKT3_PKT4_S7_PT5_21rocsparse_index_base_b.private_seg_size, 0
	.set _ZN9rocsparseL20bsrxmvn_17_32_kernelILj32E21rocsparse_complex_numIdEliS2_S2_S2_EEvT2_20rocsparse_direction_NS_24const_host_device_scalarIT0_EES3_PKS3_PKT1_SC_S9_PKT3_PKT4_S7_PT5_21rocsparse_index_base_b.uses_vcc, 1
	.set _ZN9rocsparseL20bsrxmvn_17_32_kernelILj32E21rocsparse_complex_numIdEliS2_S2_S2_EEvT2_20rocsparse_direction_NS_24const_host_device_scalarIT0_EES3_PKS3_PKT1_SC_S9_PKT3_PKT4_S7_PT5_21rocsparse_index_base_b.uses_flat_scratch, 0
	.set _ZN9rocsparseL20bsrxmvn_17_32_kernelILj32E21rocsparse_complex_numIdEliS2_S2_S2_EEvT2_20rocsparse_direction_NS_24const_host_device_scalarIT0_EES3_PKS3_PKT1_SC_S9_PKT3_PKT4_S7_PT5_21rocsparse_index_base_b.has_dyn_sized_stack, 0
	.set _ZN9rocsparseL20bsrxmvn_17_32_kernelILj32E21rocsparse_complex_numIdEliS2_S2_S2_EEvT2_20rocsparse_direction_NS_24const_host_device_scalarIT0_EES3_PKS3_PKT1_SC_S9_PKT3_PKT4_S7_PT5_21rocsparse_index_base_b.has_recursion, 0
	.set _ZN9rocsparseL20bsrxmvn_17_32_kernelILj32E21rocsparse_complex_numIdEliS2_S2_S2_EEvT2_20rocsparse_direction_NS_24const_host_device_scalarIT0_EES3_PKS3_PKT1_SC_S9_PKT3_PKT4_S7_PT5_21rocsparse_index_base_b.has_indirect_call, 0
	.section	.AMDGPU.csdata,"",@progbits
; Kernel info:
; codeLenInByte = 1568
; TotalNumSgprs: 28
; NumVgprs: 29
; ScratchSize: 0
; MemoryBound: 0
; FloatMode: 240
; IeeeMode: 1
; LDSByteSize: 16384 bytes/workgroup (compile time only)
; SGPRBlocks: 8
; VGPRBlocks: 7
; NumSGPRsForWavesPerEU: 65
; NumVGPRsForWavesPerEU: 29
; Occupancy: 8
; WaveLimiterHint : 1
; COMPUTE_PGM_RSRC2:SCRATCH_EN: 0
; COMPUTE_PGM_RSRC2:USER_SGPR: 6
; COMPUTE_PGM_RSRC2:TRAP_HANDLER: 0
; COMPUTE_PGM_RSRC2:TGID_X_EN: 1
; COMPUTE_PGM_RSRC2:TGID_Y_EN: 0
; COMPUTE_PGM_RSRC2:TGID_Z_EN: 0
; COMPUTE_PGM_RSRC2:TIDIG_COMP_CNT: 0
	.section	.text._ZN9rocsparseL20bsrxmvn_17_32_kernelILj17EfllfffEEvT2_20rocsparse_direction_NS_24const_host_device_scalarIT0_EES1_PKS1_PKT1_SA_S7_PKT3_PKT4_S5_PT5_21rocsparse_index_base_b,"axG",@progbits,_ZN9rocsparseL20bsrxmvn_17_32_kernelILj17EfllfffEEvT2_20rocsparse_direction_NS_24const_host_device_scalarIT0_EES1_PKS1_PKT1_SA_S7_PKT3_PKT4_S5_PT5_21rocsparse_index_base_b,comdat
	.globl	_ZN9rocsparseL20bsrxmvn_17_32_kernelILj17EfllfffEEvT2_20rocsparse_direction_NS_24const_host_device_scalarIT0_EES1_PKS1_PKT1_SA_S7_PKT3_PKT4_S5_PT5_21rocsparse_index_base_b ; -- Begin function _ZN9rocsparseL20bsrxmvn_17_32_kernelILj17EfllfffEEvT2_20rocsparse_direction_NS_24const_host_device_scalarIT0_EES1_PKS1_PKT1_SA_S7_PKT3_PKT4_S5_PT5_21rocsparse_index_base_b
	.p2align	8
	.type	_ZN9rocsparseL20bsrxmvn_17_32_kernelILj17EfllfffEEvT2_20rocsparse_direction_NS_24const_host_device_scalarIT0_EES1_PKS1_PKT1_SA_S7_PKT3_PKT4_S5_PT5_21rocsparse_index_base_b,@function
_ZN9rocsparseL20bsrxmvn_17_32_kernelILj17EfllfffEEvT2_20rocsparse_direction_NS_24const_host_device_scalarIT0_EES1_PKS1_PKT1_SA_S7_PKT3_PKT4_S5_PT5_21rocsparse_index_base_b: ; @_ZN9rocsparseL20bsrxmvn_17_32_kernelILj17EfllfffEEvT2_20rocsparse_direction_NS_24const_host_device_scalarIT0_EES1_PKS1_PKT1_SA_S7_PKT3_PKT4_S5_PT5_21rocsparse_index_base_b
; %bb.0:
	s_load_dwordx2 s[18:19], s[4:5], 0x60
	s_load_dwordx2 s[14:15], s[4:5], 0x10
	;; [unrolled: 1-line block ×3, first 2 shown]
	s_waitcnt lgkmcnt(0)
	s_bitcmp1_b32 s19, 0
	s_cselect_b64 s[2:3], -1, 0
	s_xor_b64 s[0:1], s[2:3], -1
	s_and_b64 vcc, exec, s[2:3]
	s_cbranch_vccnz .LBB128_2
; %bb.1:
	s_load_dword s14, s[14:15], 0x0
.LBB128_2:
	s_andn2_b64 vcc, exec, s[0:1]
	s_cbranch_vccnz .LBB128_4
; %bb.3:
	s_load_dword s12, s[12:13], 0x0
.LBB128_4:
	s_waitcnt lgkmcnt(0)
	v_cmp_neq_f32_e64 s[0:1], s14, 0
	v_cmp_neq_f32_e64 s[2:3], s12, 1.0
	s_or_b64 s[0:1], s[0:1], s[2:3]
	s_andn2_b64 vcc, exec, s[0:1]
	s_mov_b32 s7, 0
	s_cbranch_vccnz .LBB128_40
; %bb.5:
	s_load_dwordx4 s[0:3], s[4:5], 0x20
	s_load_dwordx2 s[8:9], s[4:5], 0x30
	s_waitcnt lgkmcnt(0)
	s_cmp_eq_u64 s[0:1], 0
	s_cbranch_scc1 .LBB128_7
; %bb.6:
	s_lshl_b64 s[6:7], s[6:7], 3
	s_add_u32 s0, s0, s6
	s_addc_u32 s1, s1, s7
	s_load_dwordx2 s[0:1], s[0:1], 0x0
	s_waitcnt lgkmcnt(0)
	s_sub_u32 s6, s0, s18
	s_subb_u32 s7, s1, 0
.LBB128_7:
	s_load_dword s10, s[4:5], 0x8
	s_load_dwordx2 s[16:17], s[4:5], 0x58
	v_mul_u32_u24_e32 v1, 0xf10, v0
	v_mov_b32_e32 v2, 17
	v_mul_lo_u16_sdwa v2, v1, v2 dst_sel:DWORD dst_unused:UNUSED_PAD src0_sel:WORD_1 src1_sel:DWORD
	s_waitcnt lgkmcnt(0)
	s_cmp_eq_u32 s10, 1
	s_cselect_b64 s[0:1], -1, 0
	s_cmp_lg_u32 s10, 1
	s_cselect_b64 s[20:21], -1, 0
	s_lshl_b64 s[10:11], s[6:7], 3
	s_add_u32 s24, s2, s10
	s_addc_u32 s25, s3, s11
	s_add_u32 s2, s24, 8
	s_addc_u32 s3, s25, 0
	;; [unrolled: 2-line block ×3, first 2 shown]
	s_cmp_eq_u64 s[8:9], 0
	s_cselect_b32 s9, s3, s11
	s_cselect_b32 s8, s2, s10
	s_load_dwordx2 s[2:3], s[8:9], 0x0
	s_load_dwordx2 s[22:23], s[24:25], 0x0
	v_sub_u16_e32 v9, v0, v2
	v_mov_b32_e32 v8, 0
	v_lshlrev_b32_e32 v7, 2, v0
	s_waitcnt lgkmcnt(0)
	v_mov_b32_e32 v2, s2
	v_mov_b32_e32 v3, s3
	v_cmp_ge_i64_e32 vcc, s[22:23], v[2:3]
	s_cbranch_vccnz .LBB128_12
; %bb.8:
	v_mov_b32_e32 v2, 31
	v_mul_lo_u16_sdwa v2, v1, v2 dst_sel:DWORD dst_unused:UNUSED_PAD src0_sel:WORD_1 src1_sel:DWORD
	v_lshrrev_b16_e32 v2, 9, v2
	s_load_dwordx4 s[8:11], s[4:5], 0x38
	s_load_dwordx2 s[24:25], s[4:5], 0x48
	v_mul_lo_u16_e32 v2, 17, v2
	s_sub_u32 s2, s2, s18
	v_sub_u16_sdwa v1, v1, v2 dst_sel:DWORD dst_unused:UNUSED_PAD src0_sel:WORD_1 src1_sel:DWORD
	s_subb_u32 s3, s3, 0
	v_and_b32_e32 v1, 0xff, v1
	s_sub_u32 s4, s22, s18
	v_cndmask_b32_e64 v1, v9, v1, s[0:1]
	s_subb_u32 s5, s23, 0
	v_lshlrev_b32_e32 v1, 2, v1
	s_mul_i32 s0, s5, 0x484
	s_mul_hi_u32 s1, s4, 0x484
	s_waitcnt lgkmcnt(0)
	v_mov_b32_e32 v2, s25
	v_add_co_u32_e32 v1, vcc, s24, v1
	s_add_i32 s1, s1, s0
	s_mul_i32 s0, s4, 0x484
	v_addc_co_u32_e32 v2, vcc, 0, v2, vcc
	s_add_u32 s0, s10, s0
	s_addc_u32 s1, s11, s1
	v_add_co_u32_e32 v3, vcc, s0, v7
	s_movk_i32 s0, 0xe3
	v_mov_b32_e32 v4, s1
	v_mul_u32_u24_sdwa v5, v0, s0 dst_sel:DWORD dst_unused:UNUSED_PAD src0_sel:WORD_0 src1_sel:DWORD
	v_addc_co_u32_e32 v4, vcc, 0, v4, vcc
	v_lshrrev_b32_e32 v10, 16, v5
	v_mov_b32_e32 v5, s23
	v_add_co_u32_e32 v6, vcc, s22, v10
	v_addc_co_u32_e32 v11, vcc, 0, v5, vcc
	v_subrev_co_u32_e32 v5, vcc, s18, v6
	v_subbrev_co_u32_e32 v6, vcc, 0, v11, vcc
	v_lshlrev_b64 v[5:6], 3, v[5:6]
	v_mov_b32_e32 v11, s9
	v_add_co_u32_e32 v5, vcc, s8, v5
	v_mov_b32_e32 v8, 0
	v_addc_co_u32_e32 v6, vcc, v11, v6, vcc
	s_movk_i32 s8, 0x44
	s_branch .LBB128_10
.LBB128_9:                              ;   in Loop: Header=BB128_10 Depth=1
	s_or_b64 exec, exec, s[0:1]
	s_add_u32 s4, s4, 1
	v_mov_b32_e32 v12, s3
	s_addc_u32 s5, s5, 0
	v_mov_b32_e32 v11, s2
	v_cmp_lt_i64_e32 vcc, s[4:5], v[11:12]
	v_add_co_u32_e64 v5, s[0:1], 8, v5
	v_addc_co_u32_e64 v6, s[0:1], 0, v6, s[0:1]
	s_cbranch_vccz .LBB128_12
.LBB128_10:                             ; =>This Inner Loop Header: Depth=1
	v_mov_b32_e32 v12, s5
	v_add_co_u32_e32 v11, vcc, s4, v10
	v_addc_co_u32_e32 v12, vcc, 0, v12, vcc
	v_cmp_gt_i64_e32 vcc, s[2:3], v[11:12]
	s_and_saveexec_b64 s[0:1], vcc
	s_cbranch_execz .LBB128_9
; %bb.11:                               ;   in Loop: Header=BB128_10 Depth=1
	global_load_dwordx2 v[11:12], v[5:6], off
	s_waitcnt vmcnt(0)
	v_subrev_co_u32_e32 v11, vcc, s18, v11
	v_subbrev_co_u32_e32 v13, vcc, 0, v12, vcc
	v_mad_u64_u32 v[11:12], s[10:11], v11, s8, v[1:2]
	v_mad_u64_u32 v[12:13], s[10:11], v13, s8, v[12:13]
	global_load_dword v13, v[3:4], off
	s_nop 0
	global_load_dword v11, v[11:12], off
	v_add_co_u32_e32 v3, vcc, 0x484, v3
	v_addc_co_u32_e32 v4, vcc, 0, v4, vcc
	s_waitcnt vmcnt(0)
	v_fmac_f32_e32 v8, v13, v11
	s_branch .LBB128_9
.LBB128_12:
	s_and_b64 vcc, exec, s[20:21]
	ds_write_b32 v7, v8
	s_waitcnt lgkmcnt(0)
	s_barrier
	s_cbranch_vccz .LBB128_24
; %bb.13:
	v_cmp_eq_u16_e32 vcc, 0, v9
	s_and_saveexec_b64 s[0:1], vcc
	s_cbranch_execz .LBB128_15
; %bb.14:
	ds_read2_b32 v[1:2], v7 offset1:16
	s_waitcnt lgkmcnt(0)
	v_add_f32_e32 v1, v2, v1
	ds_write_b32 v7, v1
.LBB128_15:
	s_or_b64 exec, exec, s[0:1]
	v_cmp_gt_u16_e32 vcc, 8, v9
	s_waitcnt lgkmcnt(0)
	s_barrier
	s_and_saveexec_b64 s[0:1], vcc
	s_cbranch_execz .LBB128_17
; %bb.16:
	ds_read2_b32 v[1:2], v7 offset1:8
	s_waitcnt lgkmcnt(0)
	v_add_f32_e32 v1, v2, v1
	ds_write_b32 v7, v1
.LBB128_17:
	s_or_b64 exec, exec, s[0:1]
	v_cmp_gt_u16_e32 vcc, 4, v9
	s_waitcnt lgkmcnt(0)
	s_barrier
	;; [unrolled: 12-line block ×3, first 2 shown]
	s_and_saveexec_b64 s[0:1], vcc
	s_cbranch_execz .LBB128_21
; %bb.20:
	ds_read2_b32 v[1:2], v7 offset1:2
	s_waitcnt lgkmcnt(0)
	v_add_f32_e32 v1, v2, v1
	ds_write_b32 v7, v1
.LBB128_21:
	s_or_b64 exec, exec, s[0:1]
	v_cmp_gt_u32_e32 vcc, 17, v0
	v_mov_b32_e32 v1, v8
	s_waitcnt lgkmcnt(0)
	s_barrier
	s_and_saveexec_b64 s[0:1], vcc
	s_cbranch_execz .LBB128_23
; %bb.22:
	v_lshl_add_u32 v1, v0, 6, v7
	ds_read2_b32 v[1:2], v1 offset1:1
	s_waitcnt lgkmcnt(0)
	v_add_f32_e32 v1, v1, v2
.LBB128_23:
	s_or_b64 exec, exec, s[0:1]
	v_cmp_gt_u32_e64 s[0:1], 17, v0
	s_branch .LBB128_36
.LBB128_24:
                                        ; implicit-def: $vgpr1
	v_cmp_gt_u32_e64 s[0:1], 17, v0
	s_cbranch_execz .LBB128_36
; %bb.25:
	s_and_saveexec_b64 s[2:3], s[0:1]
	s_cbranch_execz .LBB128_27
; %bb.26:
	ds_read_b32 v1, v7 offset:1088
	ds_read_b32 v2, v7
	s_waitcnt lgkmcnt(0)
	v_add_f32_e32 v1, v1, v2
	ds_write_b32 v7, v1
.LBB128_27:
	s_or_b64 exec, exec, s[2:3]
	s_movk_i32 s2, 0x88
	v_cmp_gt_u32_e32 vcc, s2, v0
	s_waitcnt lgkmcnt(0)
	s_barrier
	s_and_saveexec_b64 s[2:3], vcc
	s_cbranch_execz .LBB128_29
; %bb.28:
	ds_read2_b32 v[1:2], v7 offset1:136
	s_waitcnt lgkmcnt(0)
	v_add_f32_e32 v1, v2, v1
	ds_write_b32 v7, v1
.LBB128_29:
	s_or_b64 exec, exec, s[2:3]
	s_movk_i32 s2, 0x44
	v_cmp_gt_u32_e32 vcc, s2, v0
	s_waitcnt lgkmcnt(0)
	s_barrier
	s_and_saveexec_b64 s[2:3], vcc
	s_cbranch_execz .LBB128_31
; %bb.30:
	ds_read2_b32 v[1:2], v7 offset1:68
	s_waitcnt lgkmcnt(0)
	v_add_f32_e32 v1, v2, v1
	ds_write_b32 v7, v1
.LBB128_31:
	s_or_b64 exec, exec, s[2:3]
	v_cmp_gt_u32_e32 vcc, 34, v0
	s_waitcnt lgkmcnt(0)
	s_barrier
	s_and_saveexec_b64 s[2:3], vcc
	s_cbranch_execz .LBB128_33
; %bb.32:
	ds_read2_b32 v[1:2], v7 offset1:34
	s_waitcnt lgkmcnt(0)
	v_add_f32_e32 v1, v2, v1
	ds_write_b32 v7, v1
.LBB128_33:
	s_or_b64 exec, exec, s[2:3]
	s_waitcnt lgkmcnt(0)
	s_and_saveexec_b64 s[2:3], s[0:1]
	s_cbranch_execz .LBB128_35
; %bb.34:
	ds_read2_b32 v[1:2], v7 offset1:17
	s_waitcnt lgkmcnt(0)
	v_add_f32_e32 v8, v1, v2
.LBB128_35:
	s_or_b64 exec, exec, s[2:3]
	v_mov_b32_e32 v1, v8
.LBB128_36:
	v_cmp_gt_u32_e32 vcc, 17, v0
	s_and_saveexec_b64 s[0:1], vcc
	s_cbranch_execz .LBB128_40
; %bb.37:
	v_cmp_eq_f32_e64 s[0:1], s12, 0
	s_and_b64 vcc, exec, s[0:1]
	v_mul_f32_e32 v0, s14, v1
	s_mul_i32 s2, s7, 0x44
	s_mul_hi_u32 s3, s6, 0x44
	s_mul_i32 s4, s6, 0x44
	s_cbranch_vccz .LBB128_41
; %bb.38:
	s_add_i32 s1, s3, s2
	s_add_u32 s0, s16, s4
	s_addc_u32 s1, s17, s1
	global_store_dword v7, v0, s[0:1]
	s_cbranch_execnz .LBB128_40
.LBB128_39:
	s_add_i32 s3, s3, s2
	s_add_u32 s0, s16, s4
	s_addc_u32 s1, s17, s3
	global_load_dword v1, v7, s[0:1]
	s_waitcnt vmcnt(0)
	v_fmac_f32_e32 v0, s12, v1
	global_store_dword v7, v0, s[0:1]
.LBB128_40:
	s_endpgm
.LBB128_41:
	s_branch .LBB128_39
	.section	.rodata,"a",@progbits
	.p2align	6, 0x0
	.amdhsa_kernel _ZN9rocsparseL20bsrxmvn_17_32_kernelILj17EfllfffEEvT2_20rocsparse_direction_NS_24const_host_device_scalarIT0_EES1_PKS1_PKT1_SA_S7_PKT3_PKT4_S5_PT5_21rocsparse_index_base_b
		.amdhsa_group_segment_fixed_size 1156
		.amdhsa_private_segment_fixed_size 0
		.amdhsa_kernarg_size 104
		.amdhsa_user_sgpr_count 6
		.amdhsa_user_sgpr_private_segment_buffer 1
		.amdhsa_user_sgpr_dispatch_ptr 0
		.amdhsa_user_sgpr_queue_ptr 0
		.amdhsa_user_sgpr_kernarg_segment_ptr 1
		.amdhsa_user_sgpr_dispatch_id 0
		.amdhsa_user_sgpr_flat_scratch_init 0
		.amdhsa_user_sgpr_private_segment_size 0
		.amdhsa_uses_dynamic_stack 0
		.amdhsa_system_sgpr_private_segment_wavefront_offset 0
		.amdhsa_system_sgpr_workgroup_id_x 1
		.amdhsa_system_sgpr_workgroup_id_y 0
		.amdhsa_system_sgpr_workgroup_id_z 0
		.amdhsa_system_sgpr_workgroup_info 0
		.amdhsa_system_vgpr_workitem_id 0
		.amdhsa_next_free_vgpr 14
		.amdhsa_next_free_sgpr 26
		.amdhsa_reserve_vcc 1
		.amdhsa_reserve_flat_scratch 0
		.amdhsa_float_round_mode_32 0
		.amdhsa_float_round_mode_16_64 0
		.amdhsa_float_denorm_mode_32 3
		.amdhsa_float_denorm_mode_16_64 3
		.amdhsa_dx10_clamp 1
		.amdhsa_ieee_mode 1
		.amdhsa_fp16_overflow 0
		.amdhsa_exception_fp_ieee_invalid_op 0
		.amdhsa_exception_fp_denorm_src 0
		.amdhsa_exception_fp_ieee_div_zero 0
		.amdhsa_exception_fp_ieee_overflow 0
		.amdhsa_exception_fp_ieee_underflow 0
		.amdhsa_exception_fp_ieee_inexact 0
		.amdhsa_exception_int_div_zero 0
	.end_amdhsa_kernel
	.section	.text._ZN9rocsparseL20bsrxmvn_17_32_kernelILj17EfllfffEEvT2_20rocsparse_direction_NS_24const_host_device_scalarIT0_EES1_PKS1_PKT1_SA_S7_PKT3_PKT4_S5_PT5_21rocsparse_index_base_b,"axG",@progbits,_ZN9rocsparseL20bsrxmvn_17_32_kernelILj17EfllfffEEvT2_20rocsparse_direction_NS_24const_host_device_scalarIT0_EES1_PKS1_PKT1_SA_S7_PKT3_PKT4_S5_PT5_21rocsparse_index_base_b,comdat
.Lfunc_end128:
	.size	_ZN9rocsparseL20bsrxmvn_17_32_kernelILj17EfllfffEEvT2_20rocsparse_direction_NS_24const_host_device_scalarIT0_EES1_PKS1_PKT1_SA_S7_PKT3_PKT4_S5_PT5_21rocsparse_index_base_b, .Lfunc_end128-_ZN9rocsparseL20bsrxmvn_17_32_kernelILj17EfllfffEEvT2_20rocsparse_direction_NS_24const_host_device_scalarIT0_EES1_PKS1_PKT1_SA_S7_PKT3_PKT4_S5_PT5_21rocsparse_index_base_b
                                        ; -- End function
	.set _ZN9rocsparseL20bsrxmvn_17_32_kernelILj17EfllfffEEvT2_20rocsparse_direction_NS_24const_host_device_scalarIT0_EES1_PKS1_PKT1_SA_S7_PKT3_PKT4_S5_PT5_21rocsparse_index_base_b.num_vgpr, 14
	.set _ZN9rocsparseL20bsrxmvn_17_32_kernelILj17EfllfffEEvT2_20rocsparse_direction_NS_24const_host_device_scalarIT0_EES1_PKS1_PKT1_SA_S7_PKT3_PKT4_S5_PT5_21rocsparse_index_base_b.num_agpr, 0
	.set _ZN9rocsparseL20bsrxmvn_17_32_kernelILj17EfllfffEEvT2_20rocsparse_direction_NS_24const_host_device_scalarIT0_EES1_PKS1_PKT1_SA_S7_PKT3_PKT4_S5_PT5_21rocsparse_index_base_b.numbered_sgpr, 26
	.set _ZN9rocsparseL20bsrxmvn_17_32_kernelILj17EfllfffEEvT2_20rocsparse_direction_NS_24const_host_device_scalarIT0_EES1_PKS1_PKT1_SA_S7_PKT3_PKT4_S5_PT5_21rocsparse_index_base_b.num_named_barrier, 0
	.set _ZN9rocsparseL20bsrxmvn_17_32_kernelILj17EfllfffEEvT2_20rocsparse_direction_NS_24const_host_device_scalarIT0_EES1_PKS1_PKT1_SA_S7_PKT3_PKT4_S5_PT5_21rocsparse_index_base_b.private_seg_size, 0
	.set _ZN9rocsparseL20bsrxmvn_17_32_kernelILj17EfllfffEEvT2_20rocsparse_direction_NS_24const_host_device_scalarIT0_EES1_PKS1_PKT1_SA_S7_PKT3_PKT4_S5_PT5_21rocsparse_index_base_b.uses_vcc, 1
	.set _ZN9rocsparseL20bsrxmvn_17_32_kernelILj17EfllfffEEvT2_20rocsparse_direction_NS_24const_host_device_scalarIT0_EES1_PKS1_PKT1_SA_S7_PKT3_PKT4_S5_PT5_21rocsparse_index_base_b.uses_flat_scratch, 0
	.set _ZN9rocsparseL20bsrxmvn_17_32_kernelILj17EfllfffEEvT2_20rocsparse_direction_NS_24const_host_device_scalarIT0_EES1_PKS1_PKT1_SA_S7_PKT3_PKT4_S5_PT5_21rocsparse_index_base_b.has_dyn_sized_stack, 0
	.set _ZN9rocsparseL20bsrxmvn_17_32_kernelILj17EfllfffEEvT2_20rocsparse_direction_NS_24const_host_device_scalarIT0_EES1_PKS1_PKT1_SA_S7_PKT3_PKT4_S5_PT5_21rocsparse_index_base_b.has_recursion, 0
	.set _ZN9rocsparseL20bsrxmvn_17_32_kernelILj17EfllfffEEvT2_20rocsparse_direction_NS_24const_host_device_scalarIT0_EES1_PKS1_PKT1_SA_S7_PKT3_PKT4_S5_PT5_21rocsparse_index_base_b.has_indirect_call, 0
	.section	.AMDGPU.csdata,"",@progbits
; Kernel info:
; codeLenInByte = 1312
; TotalNumSgprs: 30
; NumVgprs: 14
; ScratchSize: 0
; MemoryBound: 0
; FloatMode: 240
; IeeeMode: 1
; LDSByteSize: 1156 bytes/workgroup (compile time only)
; SGPRBlocks: 3
; VGPRBlocks: 3
; NumSGPRsForWavesPerEU: 30
; NumVGPRsForWavesPerEU: 14
; Occupancy: 10
; WaveLimiterHint : 1
; COMPUTE_PGM_RSRC2:SCRATCH_EN: 0
; COMPUTE_PGM_RSRC2:USER_SGPR: 6
; COMPUTE_PGM_RSRC2:TRAP_HANDLER: 0
; COMPUTE_PGM_RSRC2:TGID_X_EN: 1
; COMPUTE_PGM_RSRC2:TGID_Y_EN: 0
; COMPUTE_PGM_RSRC2:TGID_Z_EN: 0
; COMPUTE_PGM_RSRC2:TIDIG_COMP_CNT: 0
	.section	.text._ZN9rocsparseL20bsrxmvn_17_32_kernelILj18EfllfffEEvT2_20rocsparse_direction_NS_24const_host_device_scalarIT0_EES1_PKS1_PKT1_SA_S7_PKT3_PKT4_S5_PT5_21rocsparse_index_base_b,"axG",@progbits,_ZN9rocsparseL20bsrxmvn_17_32_kernelILj18EfllfffEEvT2_20rocsparse_direction_NS_24const_host_device_scalarIT0_EES1_PKS1_PKT1_SA_S7_PKT3_PKT4_S5_PT5_21rocsparse_index_base_b,comdat
	.globl	_ZN9rocsparseL20bsrxmvn_17_32_kernelILj18EfllfffEEvT2_20rocsparse_direction_NS_24const_host_device_scalarIT0_EES1_PKS1_PKT1_SA_S7_PKT3_PKT4_S5_PT5_21rocsparse_index_base_b ; -- Begin function _ZN9rocsparseL20bsrxmvn_17_32_kernelILj18EfllfffEEvT2_20rocsparse_direction_NS_24const_host_device_scalarIT0_EES1_PKS1_PKT1_SA_S7_PKT3_PKT4_S5_PT5_21rocsparse_index_base_b
	.p2align	8
	.type	_ZN9rocsparseL20bsrxmvn_17_32_kernelILj18EfllfffEEvT2_20rocsparse_direction_NS_24const_host_device_scalarIT0_EES1_PKS1_PKT1_SA_S7_PKT3_PKT4_S5_PT5_21rocsparse_index_base_b,@function
_ZN9rocsparseL20bsrxmvn_17_32_kernelILj18EfllfffEEvT2_20rocsparse_direction_NS_24const_host_device_scalarIT0_EES1_PKS1_PKT1_SA_S7_PKT3_PKT4_S5_PT5_21rocsparse_index_base_b: ; @_ZN9rocsparseL20bsrxmvn_17_32_kernelILj18EfllfffEEvT2_20rocsparse_direction_NS_24const_host_device_scalarIT0_EES1_PKS1_PKT1_SA_S7_PKT3_PKT4_S5_PT5_21rocsparse_index_base_b
; %bb.0:
	s_load_dwordx2 s[18:19], s[4:5], 0x60
	s_load_dwordx2 s[14:15], s[4:5], 0x10
	;; [unrolled: 1-line block ×3, first 2 shown]
	s_waitcnt lgkmcnt(0)
	s_bitcmp1_b32 s19, 0
	s_cselect_b64 s[2:3], -1, 0
	s_xor_b64 s[0:1], s[2:3], -1
	s_and_b64 vcc, exec, s[2:3]
	s_cbranch_vccnz .LBB129_2
; %bb.1:
	s_load_dword s14, s[14:15], 0x0
.LBB129_2:
	s_andn2_b64 vcc, exec, s[0:1]
	s_cbranch_vccnz .LBB129_4
; %bb.3:
	s_load_dword s12, s[12:13], 0x0
.LBB129_4:
	s_waitcnt lgkmcnt(0)
	v_cmp_neq_f32_e64 s[0:1], s14, 0
	v_cmp_neq_f32_e64 s[2:3], s12, 1.0
	s_or_b64 s[0:1], s[0:1], s[2:3]
	s_andn2_b64 vcc, exec, s[0:1]
	s_mov_b32 s7, 0
	s_cbranch_vccnz .LBB129_40
; %bb.5:
	s_load_dwordx4 s[0:3], s[4:5], 0x20
	s_load_dwordx2 s[8:9], s[4:5], 0x30
	s_waitcnt lgkmcnt(0)
	s_cmp_eq_u64 s[0:1], 0
	s_cbranch_scc1 .LBB129_7
; %bb.6:
	s_lshl_b64 s[6:7], s[6:7], 3
	s_add_u32 s0, s0, s6
	s_addc_u32 s1, s1, s7
	s_load_dwordx2 s[0:1], s[0:1], 0x0
	s_waitcnt lgkmcnt(0)
	s_sub_u32 s6, s0, s18
	s_subb_u32 s7, s1, 0
.LBB129_7:
	s_load_dword s10, s[4:5], 0x8
	s_load_dwordx2 s[16:17], s[4:5], 0x58
	v_mul_u32_u24_e32 v1, 0xe39, v0
	v_mov_b32_e32 v2, 18
	v_mul_lo_u16_sdwa v3, v1, v2 dst_sel:DWORD dst_unused:UNUSED_PAD src0_sel:WORD_1 src1_sel:DWORD
	s_waitcnt lgkmcnt(0)
	s_cmp_eq_u32 s10, 1
	s_cselect_b64 s[0:1], -1, 0
	s_cmp_lg_u32 s10, 1
	s_cselect_b64 s[20:21], -1, 0
	s_lshl_b64 s[10:11], s[6:7], 3
	s_add_u32 s24, s2, s10
	s_addc_u32 s25, s3, s11
	s_add_u32 s2, s24, 8
	s_addc_u32 s3, s25, 0
	;; [unrolled: 2-line block ×3, first 2 shown]
	s_cmp_eq_u64 s[8:9], 0
	s_cselect_b32 s9, s3, s11
	s_cselect_b32 s8, s2, s10
	s_load_dwordx2 s[2:3], s[8:9], 0x0
	s_load_dwordx2 s[22:23], s[24:25], 0x0
	v_sub_u16_e32 v9, v0, v3
	v_mov_b32_e32 v8, 0
	v_lshlrev_b32_e32 v7, 2, v0
	s_waitcnt lgkmcnt(0)
	v_mov_b32_e32 v4, s3
	v_mov_b32_e32 v3, s2
	v_cmp_ge_i64_e32 vcc, s[22:23], v[3:4]
	s_cbranch_vccnz .LBB129_12
; %bb.8:
	v_mov_b32_e32 v3, 15
	v_mul_lo_u16_sdwa v3, v1, v3 dst_sel:DWORD dst_unused:UNUSED_PAD src0_sel:WORD_1 src1_sel:DWORD
	s_load_dwordx4 s[8:11], s[4:5], 0x38
	s_load_dwordx2 s[24:25], s[4:5], 0x48
	v_mul_lo_u16_sdwa v2, v3, v2 dst_sel:DWORD dst_unused:UNUSED_PAD src0_sel:BYTE_1 src1_sel:DWORD
	s_sub_u32 s2, s2, s18
	v_sub_u16_sdwa v1, v1, v2 dst_sel:DWORD dst_unused:UNUSED_PAD src0_sel:WORD_1 src1_sel:DWORD
	s_subb_u32 s3, s3, 0
	v_and_b32_e32 v1, 0xff, v1
	s_sub_u32 s4, s22, s18
	v_cndmask_b32_e64 v1, v9, v1, s[0:1]
	s_subb_u32 s5, s23, 0
	v_lshlrev_b32_e32 v1, 2, v1
	s_mul_i32 s0, s5, 0x510
	s_mul_hi_u32 s1, s4, 0x510
	s_waitcnt lgkmcnt(0)
	v_mov_b32_e32 v2, s25
	v_add_co_u32_e32 v1, vcc, s24, v1
	s_add_i32 s1, s1, s0
	s_mul_i32 s0, s4, 0x510
	v_addc_co_u32_e32 v2, vcc, 0, v2, vcc
	s_add_u32 s0, s10, s0
	s_addc_u32 s1, s11, s1
	v_add_co_u32_e32 v3, vcc, s0, v7
	s_movk_i32 s0, 0x195
	v_mov_b32_e32 v4, s1
	v_mul_u32_u24_sdwa v5, v0, s0 dst_sel:DWORD dst_unused:UNUSED_PAD src0_sel:WORD_0 src1_sel:DWORD
	v_addc_co_u32_e32 v4, vcc, 0, v4, vcc
	v_lshrrev_b32_e32 v10, 17, v5
	v_mov_b32_e32 v5, s23
	v_add_co_u32_e32 v6, vcc, s22, v10
	v_addc_co_u32_e32 v11, vcc, 0, v5, vcc
	v_subrev_co_u32_e32 v5, vcc, s18, v6
	v_subbrev_co_u32_e32 v6, vcc, 0, v11, vcc
	v_lshlrev_b64 v[5:6], 3, v[5:6]
	v_mov_b32_e32 v11, s9
	v_add_co_u32_e32 v5, vcc, s8, v5
	v_mov_b32_e32 v8, 0
	v_addc_co_u32_e32 v6, vcc, v11, v6, vcc
	s_movk_i32 s8, 0x48
	s_branch .LBB129_10
.LBB129_9:                              ;   in Loop: Header=BB129_10 Depth=1
	s_or_b64 exec, exec, s[0:1]
	s_add_u32 s4, s4, 1
	v_mov_b32_e32 v12, s3
	s_addc_u32 s5, s5, 0
	v_mov_b32_e32 v11, s2
	v_cmp_lt_i64_e32 vcc, s[4:5], v[11:12]
	v_add_co_u32_e64 v5, s[0:1], 8, v5
	v_addc_co_u32_e64 v6, s[0:1], 0, v6, s[0:1]
	s_cbranch_vccz .LBB129_12
.LBB129_10:                             ; =>This Inner Loop Header: Depth=1
	v_mov_b32_e32 v12, s5
	v_add_co_u32_e32 v11, vcc, s4, v10
	v_addc_co_u32_e32 v12, vcc, 0, v12, vcc
	v_cmp_gt_i64_e32 vcc, s[2:3], v[11:12]
	s_and_saveexec_b64 s[0:1], vcc
	s_cbranch_execz .LBB129_9
; %bb.11:                               ;   in Loop: Header=BB129_10 Depth=1
	global_load_dwordx2 v[11:12], v[5:6], off
	s_waitcnt vmcnt(0)
	v_subrev_co_u32_e32 v11, vcc, s18, v11
	v_subbrev_co_u32_e32 v13, vcc, 0, v12, vcc
	v_mad_u64_u32 v[11:12], s[10:11], v11, s8, v[1:2]
	v_mad_u64_u32 v[12:13], s[10:11], v13, s8, v[12:13]
	global_load_dword v13, v[3:4], off
	s_nop 0
	global_load_dword v11, v[11:12], off
	v_add_co_u32_e32 v3, vcc, 0x510, v3
	v_addc_co_u32_e32 v4, vcc, 0, v4, vcc
	s_waitcnt vmcnt(0)
	v_fmac_f32_e32 v8, v13, v11
	s_branch .LBB129_9
.LBB129_12:
	s_and_b64 vcc, exec, s[20:21]
	ds_write_b32 v7, v8
	s_waitcnt lgkmcnt(0)
	s_barrier
	s_cbranch_vccz .LBB129_24
; %bb.13:
	v_cmp_gt_u16_e32 vcc, 2, v9
	s_and_saveexec_b64 s[0:1], vcc
	s_cbranch_execz .LBB129_15
; %bb.14:
	ds_read2_b32 v[1:2], v7 offset1:16
	s_waitcnt lgkmcnt(0)
	v_add_f32_e32 v1, v2, v1
	ds_write_b32 v7, v1
.LBB129_15:
	s_or_b64 exec, exec, s[0:1]
	v_cmp_gt_u16_e64 s[0:1], 8, v9
	s_waitcnt lgkmcnt(0)
	s_barrier
	s_and_saveexec_b64 s[2:3], s[0:1]
	s_cbranch_execz .LBB129_17
; %bb.16:
	ds_read2_b32 v[1:2], v7 offset1:8
	s_waitcnt lgkmcnt(0)
	v_add_f32_e32 v1, v2, v1
	ds_write_b32 v7, v1
.LBB129_17:
	s_or_b64 exec, exec, s[2:3]
	v_cmp_gt_u16_e64 s[0:1], 4, v9
	s_waitcnt lgkmcnt(0)
	s_barrier
	s_and_saveexec_b64 s[2:3], s[0:1]
	s_cbranch_execz .LBB129_19
; %bb.18:
	ds_read2_b32 v[1:2], v7 offset1:4
	s_waitcnt lgkmcnt(0)
	v_add_f32_e32 v1, v2, v1
	ds_write_b32 v7, v1
.LBB129_19:
	s_or_b64 exec, exec, s[2:3]
	s_waitcnt lgkmcnt(0)
	s_barrier
	s_and_saveexec_b64 s[0:1], vcc
	s_cbranch_execz .LBB129_21
; %bb.20:
	ds_read2_b32 v[1:2], v7 offset1:2
	s_waitcnt lgkmcnt(0)
	v_add_f32_e32 v1, v2, v1
	ds_write_b32 v7, v1
.LBB129_21:
	s_or_b64 exec, exec, s[0:1]
	v_cmp_gt_u32_e32 vcc, 18, v0
	v_mov_b32_e32 v1, v8
	s_waitcnt lgkmcnt(0)
	s_barrier
	s_and_saveexec_b64 s[0:1], vcc
	s_cbranch_execz .LBB129_23
; %bb.22:
	s_movk_i32 s2, 0x44
	v_mad_u32_u24 v1, v0, s2, v7
	ds_read_b64 v[1:2], v1
	s_waitcnt lgkmcnt(0)
	v_add_f32_e32 v1, v1, v2
.LBB129_23:
	s_or_b64 exec, exec, s[0:1]
	s_branch .LBB129_36
.LBB129_24:
                                        ; implicit-def: $vgpr1
	s_cbranch_execz .LBB129_36
; %bb.25:
	v_cmp_gt_u32_e32 vcc, 36, v0
	s_and_saveexec_b64 s[0:1], vcc
	s_cbranch_execz .LBB129_27
; %bb.26:
	ds_read_b32 v1, v7 offset:1152
	ds_read_b32 v2, v7
	s_waitcnt lgkmcnt(0)
	v_add_f32_e32 v1, v1, v2
	ds_write_b32 v7, v1
.LBB129_27:
	s_or_b64 exec, exec, s[0:1]
	s_movk_i32 s0, 0x90
	v_cmp_gt_u32_e64 s[0:1], s0, v0
	s_waitcnt lgkmcnt(0)
	s_barrier
	s_and_saveexec_b64 s[2:3], s[0:1]
	s_cbranch_execz .LBB129_29
; %bb.28:
	ds_read2_b32 v[1:2], v7 offset1:144
	s_waitcnt lgkmcnt(0)
	v_add_f32_e32 v1, v2, v1
	ds_write_b32 v7, v1
.LBB129_29:
	s_or_b64 exec, exec, s[2:3]
	s_movk_i32 s0, 0x48
	v_cmp_gt_u32_e64 s[0:1], s0, v0
	s_waitcnt lgkmcnt(0)
	s_barrier
	s_and_saveexec_b64 s[2:3], s[0:1]
	s_cbranch_execz .LBB129_31
; %bb.30:
	ds_read2_b32 v[1:2], v7 offset1:72
	s_waitcnt lgkmcnt(0)
	v_add_f32_e32 v1, v2, v1
	ds_write_b32 v7, v1
.LBB129_31:
	s_or_b64 exec, exec, s[2:3]
	s_waitcnt lgkmcnt(0)
	s_barrier
	s_and_saveexec_b64 s[0:1], vcc
	s_cbranch_execz .LBB129_33
; %bb.32:
	ds_read2_b32 v[1:2], v7 offset1:36
	s_waitcnt lgkmcnt(0)
	v_add_f32_e32 v1, v2, v1
	ds_write_b32 v7, v1
.LBB129_33:
	s_or_b64 exec, exec, s[0:1]
	v_cmp_gt_u32_e32 vcc, 18, v0
	s_waitcnt lgkmcnt(0)
	s_and_saveexec_b64 s[0:1], vcc
	s_cbranch_execz .LBB129_35
; %bb.34:
	ds_read2_b32 v[1:2], v7 offset1:18
	s_waitcnt lgkmcnt(0)
	v_add_f32_e32 v8, v1, v2
.LBB129_35:
	s_or_b64 exec, exec, s[0:1]
	v_mov_b32_e32 v1, v8
.LBB129_36:
	v_cmp_gt_u32_e32 vcc, 18, v0
	s_and_saveexec_b64 s[0:1], vcc
	s_cbranch_execz .LBB129_40
; %bb.37:
	v_cmp_eq_f32_e64 s[0:1], s12, 0
	s_and_b64 vcc, exec, s[0:1]
	v_mul_f32_e32 v0, s14, v1
	s_mul_i32 s2, s7, 0x48
	s_mul_hi_u32 s3, s6, 0x48
	s_mul_i32 s4, s6, 0x48
	s_cbranch_vccz .LBB129_41
; %bb.38:
	s_add_i32 s1, s3, s2
	s_add_u32 s0, s16, s4
	s_addc_u32 s1, s17, s1
	global_store_dword v7, v0, s[0:1]
	s_cbranch_execnz .LBB129_40
.LBB129_39:
	s_add_i32 s3, s3, s2
	s_add_u32 s0, s16, s4
	s_addc_u32 s1, s17, s3
	global_load_dword v1, v7, s[0:1]
	s_waitcnt vmcnt(0)
	v_fmac_f32_e32 v0, s12, v1
	global_store_dword v7, v0, s[0:1]
.LBB129_40:
	s_endpgm
.LBB129_41:
	s_branch .LBB129_39
	.section	.rodata,"a",@progbits
	.p2align	6, 0x0
	.amdhsa_kernel _ZN9rocsparseL20bsrxmvn_17_32_kernelILj18EfllfffEEvT2_20rocsparse_direction_NS_24const_host_device_scalarIT0_EES1_PKS1_PKT1_SA_S7_PKT3_PKT4_S5_PT5_21rocsparse_index_base_b
		.amdhsa_group_segment_fixed_size 1296
		.amdhsa_private_segment_fixed_size 0
		.amdhsa_kernarg_size 104
		.amdhsa_user_sgpr_count 6
		.amdhsa_user_sgpr_private_segment_buffer 1
		.amdhsa_user_sgpr_dispatch_ptr 0
		.amdhsa_user_sgpr_queue_ptr 0
		.amdhsa_user_sgpr_kernarg_segment_ptr 1
		.amdhsa_user_sgpr_dispatch_id 0
		.amdhsa_user_sgpr_flat_scratch_init 0
		.amdhsa_user_sgpr_private_segment_size 0
		.amdhsa_uses_dynamic_stack 0
		.amdhsa_system_sgpr_private_segment_wavefront_offset 0
		.amdhsa_system_sgpr_workgroup_id_x 1
		.amdhsa_system_sgpr_workgroup_id_y 0
		.amdhsa_system_sgpr_workgroup_id_z 0
		.amdhsa_system_sgpr_workgroup_info 0
		.amdhsa_system_vgpr_workitem_id 0
		.amdhsa_next_free_vgpr 14
		.amdhsa_next_free_sgpr 26
		.amdhsa_reserve_vcc 1
		.amdhsa_reserve_flat_scratch 0
		.amdhsa_float_round_mode_32 0
		.amdhsa_float_round_mode_16_64 0
		.amdhsa_float_denorm_mode_32 3
		.amdhsa_float_denorm_mode_16_64 3
		.amdhsa_dx10_clamp 1
		.amdhsa_ieee_mode 1
		.amdhsa_fp16_overflow 0
		.amdhsa_exception_fp_ieee_invalid_op 0
		.amdhsa_exception_fp_denorm_src 0
		.amdhsa_exception_fp_ieee_div_zero 0
		.amdhsa_exception_fp_ieee_overflow 0
		.amdhsa_exception_fp_ieee_underflow 0
		.amdhsa_exception_fp_ieee_inexact 0
		.amdhsa_exception_int_div_zero 0
	.end_amdhsa_kernel
	.section	.text._ZN9rocsparseL20bsrxmvn_17_32_kernelILj18EfllfffEEvT2_20rocsparse_direction_NS_24const_host_device_scalarIT0_EES1_PKS1_PKT1_SA_S7_PKT3_PKT4_S5_PT5_21rocsparse_index_base_b,"axG",@progbits,_ZN9rocsparseL20bsrxmvn_17_32_kernelILj18EfllfffEEvT2_20rocsparse_direction_NS_24const_host_device_scalarIT0_EES1_PKS1_PKT1_SA_S7_PKT3_PKT4_S5_PT5_21rocsparse_index_base_b,comdat
.Lfunc_end129:
	.size	_ZN9rocsparseL20bsrxmvn_17_32_kernelILj18EfllfffEEvT2_20rocsparse_direction_NS_24const_host_device_scalarIT0_EES1_PKS1_PKT1_SA_S7_PKT3_PKT4_S5_PT5_21rocsparse_index_base_b, .Lfunc_end129-_ZN9rocsparseL20bsrxmvn_17_32_kernelILj18EfllfffEEvT2_20rocsparse_direction_NS_24const_host_device_scalarIT0_EES1_PKS1_PKT1_SA_S7_PKT3_PKT4_S5_PT5_21rocsparse_index_base_b
                                        ; -- End function
	.set _ZN9rocsparseL20bsrxmvn_17_32_kernelILj18EfllfffEEvT2_20rocsparse_direction_NS_24const_host_device_scalarIT0_EES1_PKS1_PKT1_SA_S7_PKT3_PKT4_S5_PT5_21rocsparse_index_base_b.num_vgpr, 14
	.set _ZN9rocsparseL20bsrxmvn_17_32_kernelILj18EfllfffEEvT2_20rocsparse_direction_NS_24const_host_device_scalarIT0_EES1_PKS1_PKT1_SA_S7_PKT3_PKT4_S5_PT5_21rocsparse_index_base_b.num_agpr, 0
	.set _ZN9rocsparseL20bsrxmvn_17_32_kernelILj18EfllfffEEvT2_20rocsparse_direction_NS_24const_host_device_scalarIT0_EES1_PKS1_PKT1_SA_S7_PKT3_PKT4_S5_PT5_21rocsparse_index_base_b.numbered_sgpr, 26
	.set _ZN9rocsparseL20bsrxmvn_17_32_kernelILj18EfllfffEEvT2_20rocsparse_direction_NS_24const_host_device_scalarIT0_EES1_PKS1_PKT1_SA_S7_PKT3_PKT4_S5_PT5_21rocsparse_index_base_b.num_named_barrier, 0
	.set _ZN9rocsparseL20bsrxmvn_17_32_kernelILj18EfllfffEEvT2_20rocsparse_direction_NS_24const_host_device_scalarIT0_EES1_PKS1_PKT1_SA_S7_PKT3_PKT4_S5_PT5_21rocsparse_index_base_b.private_seg_size, 0
	.set _ZN9rocsparseL20bsrxmvn_17_32_kernelILj18EfllfffEEvT2_20rocsparse_direction_NS_24const_host_device_scalarIT0_EES1_PKS1_PKT1_SA_S7_PKT3_PKT4_S5_PT5_21rocsparse_index_base_b.uses_vcc, 1
	.set _ZN9rocsparseL20bsrxmvn_17_32_kernelILj18EfllfffEEvT2_20rocsparse_direction_NS_24const_host_device_scalarIT0_EES1_PKS1_PKT1_SA_S7_PKT3_PKT4_S5_PT5_21rocsparse_index_base_b.uses_flat_scratch, 0
	.set _ZN9rocsparseL20bsrxmvn_17_32_kernelILj18EfllfffEEvT2_20rocsparse_direction_NS_24const_host_device_scalarIT0_EES1_PKS1_PKT1_SA_S7_PKT3_PKT4_S5_PT5_21rocsparse_index_base_b.has_dyn_sized_stack, 0
	.set _ZN9rocsparseL20bsrxmvn_17_32_kernelILj18EfllfffEEvT2_20rocsparse_direction_NS_24const_host_device_scalarIT0_EES1_PKS1_PKT1_SA_S7_PKT3_PKT4_S5_PT5_21rocsparse_index_base_b.has_recursion, 0
	.set _ZN9rocsparseL20bsrxmvn_17_32_kernelILj18EfllfffEEvT2_20rocsparse_direction_NS_24const_host_device_scalarIT0_EES1_PKS1_PKT1_SA_S7_PKT3_PKT4_S5_PT5_21rocsparse_index_base_b.has_indirect_call, 0
	.section	.AMDGPU.csdata,"",@progbits
; Kernel info:
; codeLenInByte = 1316
; TotalNumSgprs: 30
; NumVgprs: 14
; ScratchSize: 0
; MemoryBound: 0
; FloatMode: 240
; IeeeMode: 1
; LDSByteSize: 1296 bytes/workgroup (compile time only)
; SGPRBlocks: 3
; VGPRBlocks: 3
; NumSGPRsForWavesPerEU: 30
; NumVGPRsForWavesPerEU: 14
; Occupancy: 10
; WaveLimiterHint : 1
; COMPUTE_PGM_RSRC2:SCRATCH_EN: 0
; COMPUTE_PGM_RSRC2:USER_SGPR: 6
; COMPUTE_PGM_RSRC2:TRAP_HANDLER: 0
; COMPUTE_PGM_RSRC2:TGID_X_EN: 1
; COMPUTE_PGM_RSRC2:TGID_Y_EN: 0
; COMPUTE_PGM_RSRC2:TGID_Z_EN: 0
; COMPUTE_PGM_RSRC2:TIDIG_COMP_CNT: 0
	.section	.text._ZN9rocsparseL20bsrxmvn_17_32_kernelILj19EfllfffEEvT2_20rocsparse_direction_NS_24const_host_device_scalarIT0_EES1_PKS1_PKT1_SA_S7_PKT3_PKT4_S5_PT5_21rocsparse_index_base_b,"axG",@progbits,_ZN9rocsparseL20bsrxmvn_17_32_kernelILj19EfllfffEEvT2_20rocsparse_direction_NS_24const_host_device_scalarIT0_EES1_PKS1_PKT1_SA_S7_PKT3_PKT4_S5_PT5_21rocsparse_index_base_b,comdat
	.globl	_ZN9rocsparseL20bsrxmvn_17_32_kernelILj19EfllfffEEvT2_20rocsparse_direction_NS_24const_host_device_scalarIT0_EES1_PKS1_PKT1_SA_S7_PKT3_PKT4_S5_PT5_21rocsparse_index_base_b ; -- Begin function _ZN9rocsparseL20bsrxmvn_17_32_kernelILj19EfllfffEEvT2_20rocsparse_direction_NS_24const_host_device_scalarIT0_EES1_PKS1_PKT1_SA_S7_PKT3_PKT4_S5_PT5_21rocsparse_index_base_b
	.p2align	8
	.type	_ZN9rocsparseL20bsrxmvn_17_32_kernelILj19EfllfffEEvT2_20rocsparse_direction_NS_24const_host_device_scalarIT0_EES1_PKS1_PKT1_SA_S7_PKT3_PKT4_S5_PT5_21rocsparse_index_base_b,@function
_ZN9rocsparseL20bsrxmvn_17_32_kernelILj19EfllfffEEvT2_20rocsparse_direction_NS_24const_host_device_scalarIT0_EES1_PKS1_PKT1_SA_S7_PKT3_PKT4_S5_PT5_21rocsparse_index_base_b: ; @_ZN9rocsparseL20bsrxmvn_17_32_kernelILj19EfllfffEEvT2_20rocsparse_direction_NS_24const_host_device_scalarIT0_EES1_PKS1_PKT1_SA_S7_PKT3_PKT4_S5_PT5_21rocsparse_index_base_b
; %bb.0:
	s_load_dwordx2 s[18:19], s[4:5], 0x60
	s_load_dwordx2 s[14:15], s[4:5], 0x10
	;; [unrolled: 1-line block ×3, first 2 shown]
	s_waitcnt lgkmcnt(0)
	s_bitcmp1_b32 s19, 0
	s_cselect_b64 s[2:3], -1, 0
	s_xor_b64 s[0:1], s[2:3], -1
	s_and_b64 vcc, exec, s[2:3]
	s_cbranch_vccnz .LBB130_2
; %bb.1:
	s_load_dword s14, s[14:15], 0x0
.LBB130_2:
	s_andn2_b64 vcc, exec, s[0:1]
	s_cbranch_vccnz .LBB130_4
; %bb.3:
	s_load_dword s12, s[12:13], 0x0
.LBB130_4:
	s_waitcnt lgkmcnt(0)
	v_cmp_neq_f32_e64 s[0:1], s14, 0
	v_cmp_neq_f32_e64 s[2:3], s12, 1.0
	s_or_b64 s[0:1], s[0:1], s[2:3]
	s_andn2_b64 vcc, exec, s[0:1]
	s_mov_b32 s7, 0
	s_cbranch_vccnz .LBB130_40
; %bb.5:
	s_load_dwordx4 s[0:3], s[4:5], 0x20
	s_load_dwordx2 s[8:9], s[4:5], 0x30
	s_waitcnt lgkmcnt(0)
	s_cmp_eq_u64 s[0:1], 0
	s_cbranch_scc1 .LBB130_7
; %bb.6:
	s_lshl_b64 s[6:7], s[6:7], 3
	s_add_u32 s0, s0, s6
	s_addc_u32 s1, s1, s7
	s_load_dwordx2 s[0:1], s[0:1], 0x0
	s_waitcnt lgkmcnt(0)
	s_sub_u32 s6, s0, s18
	s_subb_u32 s7, s1, 0
.LBB130_7:
	s_load_dword s10, s[4:5], 0x8
	s_load_dwordx2 s[16:17], s[4:5], 0x58
	v_mul_u32_u24_e32 v1, 0xd7a, v0
	v_mov_b32_e32 v2, 19
	v_mul_lo_u16_sdwa v3, v1, v2 dst_sel:DWORD dst_unused:UNUSED_PAD src0_sel:WORD_1 src1_sel:DWORD
	s_waitcnt lgkmcnt(0)
	s_cmp_eq_u32 s10, 1
	s_cselect_b64 s[0:1], -1, 0
	s_cmp_lg_u32 s10, 1
	s_cselect_b64 s[20:21], -1, 0
	s_lshl_b64 s[10:11], s[6:7], 3
	s_add_u32 s24, s2, s10
	s_addc_u32 s25, s3, s11
	s_add_u32 s2, s24, 8
	s_addc_u32 s3, s25, 0
	;; [unrolled: 2-line block ×3, first 2 shown]
	s_cmp_eq_u64 s[8:9], 0
	s_cselect_b32 s9, s3, s11
	s_cselect_b32 s8, s2, s10
	s_load_dwordx2 s[2:3], s[8:9], 0x0
	s_load_dwordx2 s[22:23], s[24:25], 0x0
	v_sub_u16_e32 v9, v0, v3
	v_mov_b32_e32 v8, 0
	v_lshlrev_b32_e32 v7, 2, v0
	s_waitcnt lgkmcnt(0)
	v_mov_b32_e32 v4, s3
	v_mov_b32_e32 v3, s2
	v_cmp_ge_i64_e32 vcc, s[22:23], v[3:4]
	s_cbranch_vccnz .LBB130_12
; %bb.8:
	v_mov_b32_e32 v3, 14
	v_mul_lo_u16_sdwa v3, v1, v3 dst_sel:DWORD dst_unused:UNUSED_PAD src0_sel:WORD_1 src1_sel:DWORD
	s_load_dwordx4 s[8:11], s[4:5], 0x38
	s_load_dwordx2 s[24:25], s[4:5], 0x48
	v_mul_lo_u16_sdwa v2, v3, v2 dst_sel:DWORD dst_unused:UNUSED_PAD src0_sel:BYTE_1 src1_sel:DWORD
	s_sub_u32 s2, s2, s18
	v_sub_u16_sdwa v1, v1, v2 dst_sel:DWORD dst_unused:UNUSED_PAD src0_sel:WORD_1 src1_sel:DWORD
	s_subb_u32 s3, s3, 0
	v_and_b32_e32 v1, 0xff, v1
	s_sub_u32 s4, s22, s18
	v_cndmask_b32_e64 v1, v9, v1, s[0:1]
	s_subb_u32 s5, s23, 0
	v_lshlrev_b32_e32 v1, 2, v1
	s_mul_i32 s0, s5, 0x5a4
	s_mul_hi_u32 s1, s4, 0x5a4
	s_waitcnt lgkmcnt(0)
	v_mov_b32_e32 v2, s25
	v_add_co_u32_e32 v1, vcc, s24, v1
	s_add_i32 s1, s1, s0
	s_mul_i32 s0, s4, 0x5a4
	v_addc_co_u32_e32 v2, vcc, 0, v2, vcc
	s_add_u32 s0, s10, s0
	s_addc_u32 s1, s11, s1
	v_add_co_u32_e32 v3, vcc, s0, v7
	s_movk_i32 s0, 0xb6
	v_mov_b32_e32 v4, s1
	v_mul_u32_u24_sdwa v5, v0, s0 dst_sel:DWORD dst_unused:UNUSED_PAD src0_sel:WORD_0 src1_sel:DWORD
	v_addc_co_u32_e32 v4, vcc, 0, v4, vcc
	v_lshrrev_b32_e32 v10, 16, v5
	v_mov_b32_e32 v5, s23
	v_add_co_u32_e32 v6, vcc, s22, v10
	v_addc_co_u32_e32 v11, vcc, 0, v5, vcc
	v_subrev_co_u32_e32 v5, vcc, s18, v6
	v_subbrev_co_u32_e32 v6, vcc, 0, v11, vcc
	v_lshlrev_b64 v[5:6], 3, v[5:6]
	v_mov_b32_e32 v11, s9
	v_add_co_u32_e32 v5, vcc, s8, v5
	v_mov_b32_e32 v8, 0
	v_addc_co_u32_e32 v6, vcc, v11, v6, vcc
	s_movk_i32 s8, 0x4c
	s_branch .LBB130_10
.LBB130_9:                              ;   in Loop: Header=BB130_10 Depth=1
	s_or_b64 exec, exec, s[0:1]
	s_add_u32 s4, s4, 1
	v_mov_b32_e32 v12, s3
	s_addc_u32 s5, s5, 0
	v_mov_b32_e32 v11, s2
	v_cmp_lt_i64_e32 vcc, s[4:5], v[11:12]
	v_add_co_u32_e64 v5, s[0:1], 8, v5
	v_addc_co_u32_e64 v6, s[0:1], 0, v6, s[0:1]
	s_cbranch_vccz .LBB130_12
.LBB130_10:                             ; =>This Inner Loop Header: Depth=1
	v_mov_b32_e32 v12, s5
	v_add_co_u32_e32 v11, vcc, s4, v10
	v_addc_co_u32_e32 v12, vcc, 0, v12, vcc
	v_cmp_gt_i64_e32 vcc, s[2:3], v[11:12]
	s_and_saveexec_b64 s[0:1], vcc
	s_cbranch_execz .LBB130_9
; %bb.11:                               ;   in Loop: Header=BB130_10 Depth=1
	global_load_dwordx2 v[11:12], v[5:6], off
	s_waitcnt vmcnt(0)
	v_subrev_co_u32_e32 v11, vcc, s18, v11
	v_subbrev_co_u32_e32 v13, vcc, 0, v12, vcc
	v_mad_u64_u32 v[11:12], s[10:11], v11, s8, v[1:2]
	v_mad_u64_u32 v[12:13], s[10:11], v13, s8, v[12:13]
	global_load_dword v13, v[3:4], off
	s_nop 0
	global_load_dword v11, v[11:12], off
	v_add_co_u32_e32 v3, vcc, 0x5a4, v3
	v_addc_co_u32_e32 v4, vcc, 0, v4, vcc
	s_waitcnt vmcnt(0)
	v_fmac_f32_e32 v8, v13, v11
	s_branch .LBB130_9
.LBB130_12:
	s_and_b64 vcc, exec, s[20:21]
	ds_write_b32 v7, v8
	s_waitcnt lgkmcnt(0)
	s_barrier
	s_cbranch_vccz .LBB130_24
; %bb.13:
	v_cmp_gt_u16_e32 vcc, 3, v9
	s_and_saveexec_b64 s[0:1], vcc
	s_cbranch_execz .LBB130_15
; %bb.14:
	ds_read2_b32 v[1:2], v7 offset1:16
	s_waitcnt lgkmcnt(0)
	v_add_f32_e32 v1, v2, v1
	ds_write_b32 v7, v1
.LBB130_15:
	s_or_b64 exec, exec, s[0:1]
	v_cmp_gt_u16_e32 vcc, 8, v9
	s_waitcnt lgkmcnt(0)
	s_barrier
	s_and_saveexec_b64 s[0:1], vcc
	s_cbranch_execz .LBB130_17
; %bb.16:
	ds_read2_b32 v[1:2], v7 offset1:8
	s_waitcnt lgkmcnt(0)
	v_add_f32_e32 v1, v2, v1
	ds_write_b32 v7, v1
.LBB130_17:
	s_or_b64 exec, exec, s[0:1]
	v_cmp_gt_u16_e32 vcc, 4, v9
	s_waitcnt lgkmcnt(0)
	s_barrier
	;; [unrolled: 12-line block ×3, first 2 shown]
	s_and_saveexec_b64 s[0:1], vcc
	s_cbranch_execz .LBB130_21
; %bb.20:
	ds_read2_b32 v[1:2], v7 offset1:2
	s_waitcnt lgkmcnt(0)
	v_add_f32_e32 v1, v2, v1
	ds_write_b32 v7, v1
.LBB130_21:
	s_or_b64 exec, exec, s[0:1]
	v_cmp_gt_u32_e32 vcc, 19, v0
	v_mov_b32_e32 v1, v8
	s_waitcnt lgkmcnt(0)
	s_barrier
	s_and_saveexec_b64 s[0:1], vcc
	s_cbranch_execz .LBB130_23
; %bb.22:
	s_movk_i32 s2, 0x48
	v_mad_u32_u24 v1, v0, s2, v7
	ds_read2_b32 v[1:2], v1 offset1:1
	s_waitcnt lgkmcnt(0)
	v_add_f32_e32 v1, v1, v2
.LBB130_23:
	s_or_b64 exec, exec, s[0:1]
	s_branch .LBB130_36
.LBB130_24:
                                        ; implicit-def: $vgpr1
	s_cbranch_execz .LBB130_36
; %bb.25:
	v_cmp_gt_u32_e32 vcc, 57, v0
	s_and_saveexec_b64 s[0:1], vcc
	s_cbranch_execz .LBB130_27
; %bb.26:
	ds_read_b32 v1, v7 offset:1216
	ds_read_b32 v2, v7
	s_waitcnt lgkmcnt(0)
	v_add_f32_e32 v1, v1, v2
	ds_write_b32 v7, v1
.LBB130_27:
	s_or_b64 exec, exec, s[0:1]
	s_movk_i32 s0, 0x98
	v_cmp_gt_u32_e32 vcc, s0, v0
	s_waitcnt lgkmcnt(0)
	s_barrier
	s_and_saveexec_b64 s[0:1], vcc
	s_cbranch_execz .LBB130_29
; %bb.28:
	ds_read2_b32 v[1:2], v7 offset1:152
	s_waitcnt lgkmcnt(0)
	v_add_f32_e32 v1, v2, v1
	ds_write_b32 v7, v1
.LBB130_29:
	s_or_b64 exec, exec, s[0:1]
	s_movk_i32 s0, 0x4c
	v_cmp_gt_u32_e32 vcc, s0, v0
	s_waitcnt lgkmcnt(0)
	s_barrier
	s_and_saveexec_b64 s[0:1], vcc
	s_cbranch_execz .LBB130_31
; %bb.30:
	ds_read2_b32 v[1:2], v7 offset1:76
	s_waitcnt lgkmcnt(0)
	v_add_f32_e32 v1, v2, v1
	ds_write_b32 v7, v1
.LBB130_31:
	s_or_b64 exec, exec, s[0:1]
	v_cmp_gt_u32_e32 vcc, 38, v0
	s_waitcnt lgkmcnt(0)
	s_barrier
	s_and_saveexec_b64 s[0:1], vcc
	s_cbranch_execz .LBB130_33
; %bb.32:
	ds_read2_b32 v[1:2], v7 offset1:38
	s_waitcnt lgkmcnt(0)
	v_add_f32_e32 v1, v2, v1
	ds_write_b32 v7, v1
.LBB130_33:
	s_or_b64 exec, exec, s[0:1]
	v_cmp_gt_u32_e32 vcc, 19, v0
	s_waitcnt lgkmcnt(0)
	s_and_saveexec_b64 s[0:1], vcc
	s_cbranch_execz .LBB130_35
; %bb.34:
	ds_read2_b32 v[1:2], v7 offset1:19
	s_waitcnt lgkmcnt(0)
	v_add_f32_e32 v8, v1, v2
.LBB130_35:
	s_or_b64 exec, exec, s[0:1]
	v_mov_b32_e32 v1, v8
.LBB130_36:
	v_cmp_gt_u32_e32 vcc, 19, v0
	s_and_saveexec_b64 s[0:1], vcc
	s_cbranch_execz .LBB130_40
; %bb.37:
	v_cmp_eq_f32_e64 s[0:1], s12, 0
	s_and_b64 vcc, exec, s[0:1]
	v_mul_f32_e32 v0, s14, v1
	s_mul_i32 s2, s7, 0x4c
	s_mul_hi_u32 s3, s6, 0x4c
	s_mul_i32 s4, s6, 0x4c
	s_cbranch_vccz .LBB130_41
; %bb.38:
	s_add_i32 s1, s3, s2
	s_add_u32 s0, s16, s4
	s_addc_u32 s1, s17, s1
	global_store_dword v7, v0, s[0:1]
	s_cbranch_execnz .LBB130_40
.LBB130_39:
	s_add_i32 s3, s3, s2
	s_add_u32 s0, s16, s4
	s_addc_u32 s1, s17, s3
	global_load_dword v1, v7, s[0:1]
	s_waitcnt vmcnt(0)
	v_fmac_f32_e32 v0, s12, v1
	global_store_dword v7, v0, s[0:1]
.LBB130_40:
	s_endpgm
.LBB130_41:
	s_branch .LBB130_39
	.section	.rodata,"a",@progbits
	.p2align	6, 0x0
	.amdhsa_kernel _ZN9rocsparseL20bsrxmvn_17_32_kernelILj19EfllfffEEvT2_20rocsparse_direction_NS_24const_host_device_scalarIT0_EES1_PKS1_PKT1_SA_S7_PKT3_PKT4_S5_PT5_21rocsparse_index_base_b
		.amdhsa_group_segment_fixed_size 1444
		.amdhsa_private_segment_fixed_size 0
		.amdhsa_kernarg_size 104
		.amdhsa_user_sgpr_count 6
		.amdhsa_user_sgpr_private_segment_buffer 1
		.amdhsa_user_sgpr_dispatch_ptr 0
		.amdhsa_user_sgpr_queue_ptr 0
		.amdhsa_user_sgpr_kernarg_segment_ptr 1
		.amdhsa_user_sgpr_dispatch_id 0
		.amdhsa_user_sgpr_flat_scratch_init 0
		.amdhsa_user_sgpr_private_segment_size 0
		.amdhsa_uses_dynamic_stack 0
		.amdhsa_system_sgpr_private_segment_wavefront_offset 0
		.amdhsa_system_sgpr_workgroup_id_x 1
		.amdhsa_system_sgpr_workgroup_id_y 0
		.amdhsa_system_sgpr_workgroup_id_z 0
		.amdhsa_system_sgpr_workgroup_info 0
		.amdhsa_system_vgpr_workitem_id 0
		.amdhsa_next_free_vgpr 14
		.amdhsa_next_free_sgpr 26
		.amdhsa_reserve_vcc 1
		.amdhsa_reserve_flat_scratch 0
		.amdhsa_float_round_mode_32 0
		.amdhsa_float_round_mode_16_64 0
		.amdhsa_float_denorm_mode_32 3
		.amdhsa_float_denorm_mode_16_64 3
		.amdhsa_dx10_clamp 1
		.amdhsa_ieee_mode 1
		.amdhsa_fp16_overflow 0
		.amdhsa_exception_fp_ieee_invalid_op 0
		.amdhsa_exception_fp_denorm_src 0
		.amdhsa_exception_fp_ieee_div_zero 0
		.amdhsa_exception_fp_ieee_overflow 0
		.amdhsa_exception_fp_ieee_underflow 0
		.amdhsa_exception_fp_ieee_inexact 0
		.amdhsa_exception_int_div_zero 0
	.end_amdhsa_kernel
	.section	.text._ZN9rocsparseL20bsrxmvn_17_32_kernelILj19EfllfffEEvT2_20rocsparse_direction_NS_24const_host_device_scalarIT0_EES1_PKS1_PKT1_SA_S7_PKT3_PKT4_S5_PT5_21rocsparse_index_base_b,"axG",@progbits,_ZN9rocsparseL20bsrxmvn_17_32_kernelILj19EfllfffEEvT2_20rocsparse_direction_NS_24const_host_device_scalarIT0_EES1_PKS1_PKT1_SA_S7_PKT3_PKT4_S5_PT5_21rocsparse_index_base_b,comdat
.Lfunc_end130:
	.size	_ZN9rocsparseL20bsrxmvn_17_32_kernelILj19EfllfffEEvT2_20rocsparse_direction_NS_24const_host_device_scalarIT0_EES1_PKS1_PKT1_SA_S7_PKT3_PKT4_S5_PT5_21rocsparse_index_base_b, .Lfunc_end130-_ZN9rocsparseL20bsrxmvn_17_32_kernelILj19EfllfffEEvT2_20rocsparse_direction_NS_24const_host_device_scalarIT0_EES1_PKS1_PKT1_SA_S7_PKT3_PKT4_S5_PT5_21rocsparse_index_base_b
                                        ; -- End function
	.set _ZN9rocsparseL20bsrxmvn_17_32_kernelILj19EfllfffEEvT2_20rocsparse_direction_NS_24const_host_device_scalarIT0_EES1_PKS1_PKT1_SA_S7_PKT3_PKT4_S5_PT5_21rocsparse_index_base_b.num_vgpr, 14
	.set _ZN9rocsparseL20bsrxmvn_17_32_kernelILj19EfllfffEEvT2_20rocsparse_direction_NS_24const_host_device_scalarIT0_EES1_PKS1_PKT1_SA_S7_PKT3_PKT4_S5_PT5_21rocsparse_index_base_b.num_agpr, 0
	.set _ZN9rocsparseL20bsrxmvn_17_32_kernelILj19EfllfffEEvT2_20rocsparse_direction_NS_24const_host_device_scalarIT0_EES1_PKS1_PKT1_SA_S7_PKT3_PKT4_S5_PT5_21rocsparse_index_base_b.numbered_sgpr, 26
	.set _ZN9rocsparseL20bsrxmvn_17_32_kernelILj19EfllfffEEvT2_20rocsparse_direction_NS_24const_host_device_scalarIT0_EES1_PKS1_PKT1_SA_S7_PKT3_PKT4_S5_PT5_21rocsparse_index_base_b.num_named_barrier, 0
	.set _ZN9rocsparseL20bsrxmvn_17_32_kernelILj19EfllfffEEvT2_20rocsparse_direction_NS_24const_host_device_scalarIT0_EES1_PKS1_PKT1_SA_S7_PKT3_PKT4_S5_PT5_21rocsparse_index_base_b.private_seg_size, 0
	.set _ZN9rocsparseL20bsrxmvn_17_32_kernelILj19EfllfffEEvT2_20rocsparse_direction_NS_24const_host_device_scalarIT0_EES1_PKS1_PKT1_SA_S7_PKT3_PKT4_S5_PT5_21rocsparse_index_base_b.uses_vcc, 1
	.set _ZN9rocsparseL20bsrxmvn_17_32_kernelILj19EfllfffEEvT2_20rocsparse_direction_NS_24const_host_device_scalarIT0_EES1_PKS1_PKT1_SA_S7_PKT3_PKT4_S5_PT5_21rocsparse_index_base_b.uses_flat_scratch, 0
	.set _ZN9rocsparseL20bsrxmvn_17_32_kernelILj19EfllfffEEvT2_20rocsparse_direction_NS_24const_host_device_scalarIT0_EES1_PKS1_PKT1_SA_S7_PKT3_PKT4_S5_PT5_21rocsparse_index_base_b.has_dyn_sized_stack, 0
	.set _ZN9rocsparseL20bsrxmvn_17_32_kernelILj19EfllfffEEvT2_20rocsparse_direction_NS_24const_host_device_scalarIT0_EES1_PKS1_PKT1_SA_S7_PKT3_PKT4_S5_PT5_21rocsparse_index_base_b.has_recursion, 0
	.set _ZN9rocsparseL20bsrxmvn_17_32_kernelILj19EfllfffEEvT2_20rocsparse_direction_NS_24const_host_device_scalarIT0_EES1_PKS1_PKT1_SA_S7_PKT3_PKT4_S5_PT5_21rocsparse_index_base_b.has_indirect_call, 0
	.section	.AMDGPU.csdata,"",@progbits
; Kernel info:
; codeLenInByte = 1308
; TotalNumSgprs: 30
; NumVgprs: 14
; ScratchSize: 0
; MemoryBound: 0
; FloatMode: 240
; IeeeMode: 1
; LDSByteSize: 1444 bytes/workgroup (compile time only)
; SGPRBlocks: 3
; VGPRBlocks: 3
; NumSGPRsForWavesPerEU: 30
; NumVGPRsForWavesPerEU: 14
; Occupancy: 10
; WaveLimiterHint : 1
; COMPUTE_PGM_RSRC2:SCRATCH_EN: 0
; COMPUTE_PGM_RSRC2:USER_SGPR: 6
; COMPUTE_PGM_RSRC2:TRAP_HANDLER: 0
; COMPUTE_PGM_RSRC2:TGID_X_EN: 1
; COMPUTE_PGM_RSRC2:TGID_Y_EN: 0
; COMPUTE_PGM_RSRC2:TGID_Z_EN: 0
; COMPUTE_PGM_RSRC2:TIDIG_COMP_CNT: 0
	.section	.text._ZN9rocsparseL20bsrxmvn_17_32_kernelILj20EfllfffEEvT2_20rocsparse_direction_NS_24const_host_device_scalarIT0_EES1_PKS1_PKT1_SA_S7_PKT3_PKT4_S5_PT5_21rocsparse_index_base_b,"axG",@progbits,_ZN9rocsparseL20bsrxmvn_17_32_kernelILj20EfllfffEEvT2_20rocsparse_direction_NS_24const_host_device_scalarIT0_EES1_PKS1_PKT1_SA_S7_PKT3_PKT4_S5_PT5_21rocsparse_index_base_b,comdat
	.globl	_ZN9rocsparseL20bsrxmvn_17_32_kernelILj20EfllfffEEvT2_20rocsparse_direction_NS_24const_host_device_scalarIT0_EES1_PKS1_PKT1_SA_S7_PKT3_PKT4_S5_PT5_21rocsparse_index_base_b ; -- Begin function _ZN9rocsparseL20bsrxmvn_17_32_kernelILj20EfllfffEEvT2_20rocsparse_direction_NS_24const_host_device_scalarIT0_EES1_PKS1_PKT1_SA_S7_PKT3_PKT4_S5_PT5_21rocsparse_index_base_b
	.p2align	8
	.type	_ZN9rocsparseL20bsrxmvn_17_32_kernelILj20EfllfffEEvT2_20rocsparse_direction_NS_24const_host_device_scalarIT0_EES1_PKS1_PKT1_SA_S7_PKT3_PKT4_S5_PT5_21rocsparse_index_base_b,@function
_ZN9rocsparseL20bsrxmvn_17_32_kernelILj20EfllfffEEvT2_20rocsparse_direction_NS_24const_host_device_scalarIT0_EES1_PKS1_PKT1_SA_S7_PKT3_PKT4_S5_PT5_21rocsparse_index_base_b: ; @_ZN9rocsparseL20bsrxmvn_17_32_kernelILj20EfllfffEEvT2_20rocsparse_direction_NS_24const_host_device_scalarIT0_EES1_PKS1_PKT1_SA_S7_PKT3_PKT4_S5_PT5_21rocsparse_index_base_b
; %bb.0:
	s_load_dwordx2 s[18:19], s[4:5], 0x60
	s_load_dwordx2 s[14:15], s[4:5], 0x10
	;; [unrolled: 1-line block ×3, first 2 shown]
	s_waitcnt lgkmcnt(0)
	s_bitcmp1_b32 s19, 0
	s_cselect_b64 s[2:3], -1, 0
	s_xor_b64 s[0:1], s[2:3], -1
	s_and_b64 vcc, exec, s[2:3]
	s_cbranch_vccnz .LBB131_2
; %bb.1:
	s_load_dword s14, s[14:15], 0x0
.LBB131_2:
	s_andn2_b64 vcc, exec, s[0:1]
	s_cbranch_vccnz .LBB131_4
; %bb.3:
	s_load_dword s12, s[12:13], 0x0
.LBB131_4:
	s_waitcnt lgkmcnt(0)
	v_cmp_neq_f32_e64 s[0:1], s14, 0
	v_cmp_neq_f32_e64 s[2:3], s12, 1.0
	s_or_b64 s[0:1], s[0:1], s[2:3]
	s_andn2_b64 vcc, exec, s[0:1]
	s_mov_b32 s7, 0
	s_cbranch_vccnz .LBB131_40
; %bb.5:
	s_load_dwordx4 s[0:3], s[4:5], 0x20
	s_load_dwordx2 s[8:9], s[4:5], 0x30
	s_waitcnt lgkmcnt(0)
	s_cmp_eq_u64 s[0:1], 0
	s_cbranch_scc1 .LBB131_7
; %bb.6:
	s_lshl_b64 s[6:7], s[6:7], 3
	s_add_u32 s0, s0, s6
	s_addc_u32 s1, s1, s7
	s_load_dwordx2 s[0:1], s[0:1], 0x0
	s_waitcnt lgkmcnt(0)
	s_sub_u32 s6, s0, s18
	s_subb_u32 s7, s1, 0
.LBB131_7:
	s_load_dword s10, s[4:5], 0x8
	s_load_dwordx2 s[16:17], s[4:5], 0x58
	v_mul_u32_u24_e32 v1, 0xccd, v0
	v_mov_b32_e32 v2, 20
	v_mul_lo_u16_sdwa v3, v1, v2 dst_sel:DWORD dst_unused:UNUSED_PAD src0_sel:WORD_1 src1_sel:DWORD
	s_waitcnt lgkmcnt(0)
	s_cmp_eq_u32 s10, 1
	s_cselect_b64 s[0:1], -1, 0
	s_cmp_lg_u32 s10, 1
	s_cselect_b64 s[20:21], -1, 0
	s_lshl_b64 s[10:11], s[6:7], 3
	s_add_u32 s24, s2, s10
	s_addc_u32 s25, s3, s11
	s_add_u32 s2, s24, 8
	s_addc_u32 s3, s25, 0
	s_add_u32 s10, s8, s10
	s_addc_u32 s11, s9, s11
	s_cmp_eq_u64 s[8:9], 0
	s_cselect_b32 s9, s3, s11
	s_cselect_b32 s8, s2, s10
	s_load_dwordx2 s[2:3], s[8:9], 0x0
	s_load_dwordx2 s[22:23], s[24:25], 0x0
	v_sub_u16_e32 v9, v0, v3
	v_mov_b32_e32 v8, 0
	v_lshlrev_b32_e32 v7, 2, v0
	s_waitcnt lgkmcnt(0)
	v_mov_b32_e32 v4, s3
	v_mov_b32_e32 v3, s2
	v_cmp_ge_i64_e32 vcc, s[22:23], v[3:4]
	s_cbranch_vccnz .LBB131_12
; %bb.8:
	v_mov_b32_e32 v3, 13
	v_mul_lo_u16_sdwa v3, v1, v3 dst_sel:DWORD dst_unused:UNUSED_PAD src0_sel:WORD_1 src1_sel:DWORD
	s_load_dwordx4 s[8:11], s[4:5], 0x38
	s_load_dwordx2 s[24:25], s[4:5], 0x48
	v_mul_lo_u16_sdwa v2, v3, v2 dst_sel:DWORD dst_unused:UNUSED_PAD src0_sel:BYTE_1 src1_sel:DWORD
	s_sub_u32 s2, s2, s18
	v_sub_u16_sdwa v1, v1, v2 dst_sel:DWORD dst_unused:UNUSED_PAD src0_sel:WORD_1 src1_sel:DWORD
	s_subb_u32 s3, s3, 0
	v_and_b32_e32 v1, 0xff, v1
	s_sub_u32 s4, s22, s18
	v_cndmask_b32_e64 v1, v9, v1, s[0:1]
	s_subb_u32 s5, s23, 0
	v_lshlrev_b32_e32 v1, 2, v1
	s_mul_i32 s0, s5, 0x640
	s_mul_hi_u32 s1, s4, 0x640
	s_waitcnt lgkmcnt(0)
	v_mov_b32_e32 v2, s25
	v_add_co_u32_e32 v1, vcc, s24, v1
	s_add_i32 s1, s1, s0
	s_mul_i32 s0, s4, 0x640
	v_addc_co_u32_e32 v2, vcc, 0, v2, vcc
	s_add_u32 s0, s10, s0
	s_addc_u32 s1, s11, s1
	v_add_co_u32_e32 v3, vcc, s0, v7
	s_movk_i32 s0, 0xa4
	v_mov_b32_e32 v4, s1
	v_mul_u32_u24_sdwa v5, v0, s0 dst_sel:DWORD dst_unused:UNUSED_PAD src0_sel:WORD_0 src1_sel:DWORD
	v_addc_co_u32_e32 v4, vcc, 0, v4, vcc
	v_lshrrev_b32_e32 v10, 16, v5
	v_mov_b32_e32 v5, s23
	v_add_co_u32_e32 v6, vcc, s22, v10
	v_addc_co_u32_e32 v11, vcc, 0, v5, vcc
	v_subrev_co_u32_e32 v5, vcc, s18, v6
	v_subbrev_co_u32_e32 v6, vcc, 0, v11, vcc
	v_lshlrev_b64 v[5:6], 3, v[5:6]
	v_mov_b32_e32 v11, s9
	v_add_co_u32_e32 v5, vcc, s8, v5
	v_mov_b32_e32 v8, 0
	v_addc_co_u32_e32 v6, vcc, v11, v6, vcc
	s_movk_i32 s8, 0x50
	s_branch .LBB131_10
.LBB131_9:                              ;   in Loop: Header=BB131_10 Depth=1
	s_or_b64 exec, exec, s[0:1]
	s_add_u32 s4, s4, 1
	v_mov_b32_e32 v12, s3
	s_addc_u32 s5, s5, 0
	v_mov_b32_e32 v11, s2
	v_cmp_lt_i64_e32 vcc, s[4:5], v[11:12]
	v_add_co_u32_e64 v5, s[0:1], 8, v5
	v_addc_co_u32_e64 v6, s[0:1], 0, v6, s[0:1]
	s_cbranch_vccz .LBB131_12
.LBB131_10:                             ; =>This Inner Loop Header: Depth=1
	v_mov_b32_e32 v12, s5
	v_add_co_u32_e32 v11, vcc, s4, v10
	v_addc_co_u32_e32 v12, vcc, 0, v12, vcc
	v_cmp_gt_i64_e32 vcc, s[2:3], v[11:12]
	s_and_saveexec_b64 s[0:1], vcc
	s_cbranch_execz .LBB131_9
; %bb.11:                               ;   in Loop: Header=BB131_10 Depth=1
	global_load_dwordx2 v[11:12], v[5:6], off
	s_waitcnt vmcnt(0)
	v_subrev_co_u32_e32 v11, vcc, s18, v11
	v_subbrev_co_u32_e32 v13, vcc, 0, v12, vcc
	v_mad_u64_u32 v[11:12], s[10:11], v11, s8, v[1:2]
	v_mad_u64_u32 v[12:13], s[10:11], v13, s8, v[12:13]
	global_load_dword v13, v[3:4], off
	s_nop 0
	global_load_dword v11, v[11:12], off
	v_add_co_u32_e32 v3, vcc, 0x640, v3
	v_addc_co_u32_e32 v4, vcc, 0, v4, vcc
	s_waitcnt vmcnt(0)
	v_fmac_f32_e32 v8, v13, v11
	s_branch .LBB131_9
.LBB131_12:
	s_and_b64 vcc, exec, s[20:21]
	ds_write_b32 v7, v8
	s_waitcnt lgkmcnt(0)
	s_barrier
	s_cbranch_vccz .LBB131_24
; %bb.13:
	v_cmp_gt_u16_e32 vcc, 4, v9
	s_and_saveexec_b64 s[0:1], vcc
	s_cbranch_execz .LBB131_15
; %bb.14:
	ds_read2_b32 v[1:2], v7 offset1:16
	s_waitcnt lgkmcnt(0)
	v_add_f32_e32 v1, v2, v1
	ds_write_b32 v7, v1
.LBB131_15:
	s_or_b64 exec, exec, s[0:1]
	v_cmp_gt_u16_e64 s[0:1], 8, v9
	s_waitcnt lgkmcnt(0)
	s_barrier
	s_and_saveexec_b64 s[2:3], s[0:1]
	s_cbranch_execz .LBB131_17
; %bb.16:
	ds_read2_b32 v[1:2], v7 offset1:8
	s_waitcnt lgkmcnt(0)
	v_add_f32_e32 v1, v2, v1
	ds_write_b32 v7, v1
.LBB131_17:
	s_or_b64 exec, exec, s[2:3]
	s_waitcnt lgkmcnt(0)
	s_barrier
	s_and_saveexec_b64 s[0:1], vcc
	s_cbranch_execz .LBB131_19
; %bb.18:
	ds_read2_b32 v[1:2], v7 offset1:4
	s_waitcnt lgkmcnt(0)
	v_add_f32_e32 v1, v2, v1
	ds_write_b32 v7, v1
.LBB131_19:
	s_or_b64 exec, exec, s[0:1]
	v_cmp_gt_u16_e32 vcc, 2, v9
	s_waitcnt lgkmcnt(0)
	s_barrier
	s_and_saveexec_b64 s[0:1], vcc
	s_cbranch_execz .LBB131_21
; %bb.20:
	ds_read2_b32 v[1:2], v7 offset1:2
	s_waitcnt lgkmcnt(0)
	v_add_f32_e32 v1, v2, v1
	ds_write_b32 v7, v1
.LBB131_21:
	s_or_b64 exec, exec, s[0:1]
	v_cmp_gt_u32_e32 vcc, 20, v0
	v_mov_b32_e32 v1, v8
	s_waitcnt lgkmcnt(0)
	s_barrier
	s_and_saveexec_b64 s[0:1], vcc
	s_cbranch_execz .LBB131_23
; %bb.22:
	s_movk_i32 s2, 0x4c
	v_mad_u32_u24 v1, v0, s2, v7
	ds_read_b64 v[1:2], v1
	s_waitcnt lgkmcnt(0)
	v_add_f32_e32 v1, v1, v2
.LBB131_23:
	s_or_b64 exec, exec, s[0:1]
	s_branch .LBB131_36
.LBB131_24:
                                        ; implicit-def: $vgpr1
	s_cbranch_execz .LBB131_36
; %bb.25:
	s_movk_i32 s0, 0x50
	v_cmp_gt_u32_e32 vcc, s0, v0
	s_and_saveexec_b64 s[0:1], vcc
	s_cbranch_execz .LBB131_27
; %bb.26:
	ds_read2st64_b32 v[1:2], v7 offset1:5
	s_waitcnt lgkmcnt(0)
	v_add_f32_e32 v1, v2, v1
	ds_write_b32 v7, v1
.LBB131_27:
	s_or_b64 exec, exec, s[0:1]
	s_movk_i32 s0, 0xa0
	v_cmp_gt_u32_e64 s[0:1], s0, v0
	s_waitcnt lgkmcnt(0)
	s_barrier
	s_and_saveexec_b64 s[2:3], s[0:1]
	s_cbranch_execz .LBB131_29
; %bb.28:
	ds_read2_b32 v[1:2], v7 offset1:160
	s_waitcnt lgkmcnt(0)
	v_add_f32_e32 v1, v2, v1
	ds_write_b32 v7, v1
.LBB131_29:
	s_or_b64 exec, exec, s[2:3]
	s_waitcnt lgkmcnt(0)
	s_barrier
	s_and_saveexec_b64 s[0:1], vcc
	s_cbranch_execz .LBB131_31
; %bb.30:
	ds_read2_b32 v[1:2], v7 offset1:80
	s_waitcnt lgkmcnt(0)
	v_add_f32_e32 v1, v2, v1
	ds_write_b32 v7, v1
.LBB131_31:
	s_or_b64 exec, exec, s[0:1]
	v_cmp_gt_u32_e32 vcc, 40, v0
	s_waitcnt lgkmcnt(0)
	s_barrier
	s_and_saveexec_b64 s[0:1], vcc
	s_cbranch_execz .LBB131_33
; %bb.32:
	ds_read2_b32 v[1:2], v7 offset1:40
	s_waitcnt lgkmcnt(0)
	v_add_f32_e32 v1, v2, v1
	ds_write_b32 v7, v1
.LBB131_33:
	s_or_b64 exec, exec, s[0:1]
	v_cmp_gt_u32_e32 vcc, 20, v0
	s_waitcnt lgkmcnt(0)
	s_and_saveexec_b64 s[0:1], vcc
	s_cbranch_execz .LBB131_35
; %bb.34:
	ds_read2_b32 v[1:2], v7 offset1:20
	s_waitcnt lgkmcnt(0)
	v_add_f32_e32 v8, v1, v2
.LBB131_35:
	s_or_b64 exec, exec, s[0:1]
	v_mov_b32_e32 v1, v8
.LBB131_36:
	v_cmp_gt_u32_e32 vcc, 20, v0
	s_and_saveexec_b64 s[0:1], vcc
	s_cbranch_execz .LBB131_40
; %bb.37:
	v_cmp_eq_f32_e64 s[0:1], s12, 0
	s_and_b64 vcc, exec, s[0:1]
	v_mul_f32_e32 v0, s14, v1
	s_mul_i32 s2, s7, 0x50
	s_mul_hi_u32 s3, s6, 0x50
	s_mul_i32 s4, s6, 0x50
	s_cbranch_vccz .LBB131_41
; %bb.38:
	s_add_i32 s1, s3, s2
	s_add_u32 s0, s16, s4
	s_addc_u32 s1, s17, s1
	global_store_dword v7, v0, s[0:1]
	s_cbranch_execnz .LBB131_40
.LBB131_39:
	s_add_i32 s3, s3, s2
	s_add_u32 s0, s16, s4
	s_addc_u32 s1, s17, s3
	global_load_dword v1, v7, s[0:1]
	s_waitcnt vmcnt(0)
	v_fmac_f32_e32 v0, s12, v1
	global_store_dword v7, v0, s[0:1]
.LBB131_40:
	s_endpgm
.LBB131_41:
	s_branch .LBB131_39
	.section	.rodata,"a",@progbits
	.p2align	6, 0x0
	.amdhsa_kernel _ZN9rocsparseL20bsrxmvn_17_32_kernelILj20EfllfffEEvT2_20rocsparse_direction_NS_24const_host_device_scalarIT0_EES1_PKS1_PKT1_SA_S7_PKT3_PKT4_S5_PT5_21rocsparse_index_base_b
		.amdhsa_group_segment_fixed_size 1600
		.amdhsa_private_segment_fixed_size 0
		.amdhsa_kernarg_size 104
		.amdhsa_user_sgpr_count 6
		.amdhsa_user_sgpr_private_segment_buffer 1
		.amdhsa_user_sgpr_dispatch_ptr 0
		.amdhsa_user_sgpr_queue_ptr 0
		.amdhsa_user_sgpr_kernarg_segment_ptr 1
		.amdhsa_user_sgpr_dispatch_id 0
		.amdhsa_user_sgpr_flat_scratch_init 0
		.amdhsa_user_sgpr_private_segment_size 0
		.amdhsa_uses_dynamic_stack 0
		.amdhsa_system_sgpr_private_segment_wavefront_offset 0
		.amdhsa_system_sgpr_workgroup_id_x 1
		.amdhsa_system_sgpr_workgroup_id_y 0
		.amdhsa_system_sgpr_workgroup_id_z 0
		.amdhsa_system_sgpr_workgroup_info 0
		.amdhsa_system_vgpr_workitem_id 0
		.amdhsa_next_free_vgpr 14
		.amdhsa_next_free_sgpr 26
		.amdhsa_reserve_vcc 1
		.amdhsa_reserve_flat_scratch 0
		.amdhsa_float_round_mode_32 0
		.amdhsa_float_round_mode_16_64 0
		.amdhsa_float_denorm_mode_32 3
		.amdhsa_float_denorm_mode_16_64 3
		.amdhsa_dx10_clamp 1
		.amdhsa_ieee_mode 1
		.amdhsa_fp16_overflow 0
		.amdhsa_exception_fp_ieee_invalid_op 0
		.amdhsa_exception_fp_denorm_src 0
		.amdhsa_exception_fp_ieee_div_zero 0
		.amdhsa_exception_fp_ieee_overflow 0
		.amdhsa_exception_fp_ieee_underflow 0
		.amdhsa_exception_fp_ieee_inexact 0
		.amdhsa_exception_int_div_zero 0
	.end_amdhsa_kernel
	.section	.text._ZN9rocsparseL20bsrxmvn_17_32_kernelILj20EfllfffEEvT2_20rocsparse_direction_NS_24const_host_device_scalarIT0_EES1_PKS1_PKT1_SA_S7_PKT3_PKT4_S5_PT5_21rocsparse_index_base_b,"axG",@progbits,_ZN9rocsparseL20bsrxmvn_17_32_kernelILj20EfllfffEEvT2_20rocsparse_direction_NS_24const_host_device_scalarIT0_EES1_PKS1_PKT1_SA_S7_PKT3_PKT4_S5_PT5_21rocsparse_index_base_b,comdat
.Lfunc_end131:
	.size	_ZN9rocsparseL20bsrxmvn_17_32_kernelILj20EfllfffEEvT2_20rocsparse_direction_NS_24const_host_device_scalarIT0_EES1_PKS1_PKT1_SA_S7_PKT3_PKT4_S5_PT5_21rocsparse_index_base_b, .Lfunc_end131-_ZN9rocsparseL20bsrxmvn_17_32_kernelILj20EfllfffEEvT2_20rocsparse_direction_NS_24const_host_device_scalarIT0_EES1_PKS1_PKT1_SA_S7_PKT3_PKT4_S5_PT5_21rocsparse_index_base_b
                                        ; -- End function
	.set _ZN9rocsparseL20bsrxmvn_17_32_kernelILj20EfllfffEEvT2_20rocsparse_direction_NS_24const_host_device_scalarIT0_EES1_PKS1_PKT1_SA_S7_PKT3_PKT4_S5_PT5_21rocsparse_index_base_b.num_vgpr, 14
	.set _ZN9rocsparseL20bsrxmvn_17_32_kernelILj20EfllfffEEvT2_20rocsparse_direction_NS_24const_host_device_scalarIT0_EES1_PKS1_PKT1_SA_S7_PKT3_PKT4_S5_PT5_21rocsparse_index_base_b.num_agpr, 0
	.set _ZN9rocsparseL20bsrxmvn_17_32_kernelILj20EfllfffEEvT2_20rocsparse_direction_NS_24const_host_device_scalarIT0_EES1_PKS1_PKT1_SA_S7_PKT3_PKT4_S5_PT5_21rocsparse_index_base_b.numbered_sgpr, 26
	.set _ZN9rocsparseL20bsrxmvn_17_32_kernelILj20EfllfffEEvT2_20rocsparse_direction_NS_24const_host_device_scalarIT0_EES1_PKS1_PKT1_SA_S7_PKT3_PKT4_S5_PT5_21rocsparse_index_base_b.num_named_barrier, 0
	.set _ZN9rocsparseL20bsrxmvn_17_32_kernelILj20EfllfffEEvT2_20rocsparse_direction_NS_24const_host_device_scalarIT0_EES1_PKS1_PKT1_SA_S7_PKT3_PKT4_S5_PT5_21rocsparse_index_base_b.private_seg_size, 0
	.set _ZN9rocsparseL20bsrxmvn_17_32_kernelILj20EfllfffEEvT2_20rocsparse_direction_NS_24const_host_device_scalarIT0_EES1_PKS1_PKT1_SA_S7_PKT3_PKT4_S5_PT5_21rocsparse_index_base_b.uses_vcc, 1
	.set _ZN9rocsparseL20bsrxmvn_17_32_kernelILj20EfllfffEEvT2_20rocsparse_direction_NS_24const_host_device_scalarIT0_EES1_PKS1_PKT1_SA_S7_PKT3_PKT4_S5_PT5_21rocsparse_index_base_b.uses_flat_scratch, 0
	.set _ZN9rocsparseL20bsrxmvn_17_32_kernelILj20EfllfffEEvT2_20rocsparse_direction_NS_24const_host_device_scalarIT0_EES1_PKS1_PKT1_SA_S7_PKT3_PKT4_S5_PT5_21rocsparse_index_base_b.has_dyn_sized_stack, 0
	.set _ZN9rocsparseL20bsrxmvn_17_32_kernelILj20EfllfffEEvT2_20rocsparse_direction_NS_24const_host_device_scalarIT0_EES1_PKS1_PKT1_SA_S7_PKT3_PKT4_S5_PT5_21rocsparse_index_base_b.has_recursion, 0
	.set _ZN9rocsparseL20bsrxmvn_17_32_kernelILj20EfllfffEEvT2_20rocsparse_direction_NS_24const_host_device_scalarIT0_EES1_PKS1_PKT1_SA_S7_PKT3_PKT4_S5_PT5_21rocsparse_index_base_b.has_indirect_call, 0
	.section	.AMDGPU.csdata,"",@progbits
; Kernel info:
; codeLenInByte = 1300
; TotalNumSgprs: 30
; NumVgprs: 14
; ScratchSize: 0
; MemoryBound: 0
; FloatMode: 240
; IeeeMode: 1
; LDSByteSize: 1600 bytes/workgroup (compile time only)
; SGPRBlocks: 3
; VGPRBlocks: 3
; NumSGPRsForWavesPerEU: 30
; NumVGPRsForWavesPerEU: 14
; Occupancy: 10
; WaveLimiterHint : 1
; COMPUTE_PGM_RSRC2:SCRATCH_EN: 0
; COMPUTE_PGM_RSRC2:USER_SGPR: 6
; COMPUTE_PGM_RSRC2:TRAP_HANDLER: 0
; COMPUTE_PGM_RSRC2:TGID_X_EN: 1
; COMPUTE_PGM_RSRC2:TGID_Y_EN: 0
; COMPUTE_PGM_RSRC2:TGID_Z_EN: 0
; COMPUTE_PGM_RSRC2:TIDIG_COMP_CNT: 0
	.section	.text._ZN9rocsparseL20bsrxmvn_17_32_kernelILj21EfllfffEEvT2_20rocsparse_direction_NS_24const_host_device_scalarIT0_EES1_PKS1_PKT1_SA_S7_PKT3_PKT4_S5_PT5_21rocsparse_index_base_b,"axG",@progbits,_ZN9rocsparseL20bsrxmvn_17_32_kernelILj21EfllfffEEvT2_20rocsparse_direction_NS_24const_host_device_scalarIT0_EES1_PKS1_PKT1_SA_S7_PKT3_PKT4_S5_PT5_21rocsparse_index_base_b,comdat
	.globl	_ZN9rocsparseL20bsrxmvn_17_32_kernelILj21EfllfffEEvT2_20rocsparse_direction_NS_24const_host_device_scalarIT0_EES1_PKS1_PKT1_SA_S7_PKT3_PKT4_S5_PT5_21rocsparse_index_base_b ; -- Begin function _ZN9rocsparseL20bsrxmvn_17_32_kernelILj21EfllfffEEvT2_20rocsparse_direction_NS_24const_host_device_scalarIT0_EES1_PKS1_PKT1_SA_S7_PKT3_PKT4_S5_PT5_21rocsparse_index_base_b
	.p2align	8
	.type	_ZN9rocsparseL20bsrxmvn_17_32_kernelILj21EfllfffEEvT2_20rocsparse_direction_NS_24const_host_device_scalarIT0_EES1_PKS1_PKT1_SA_S7_PKT3_PKT4_S5_PT5_21rocsparse_index_base_b,@function
_ZN9rocsparseL20bsrxmvn_17_32_kernelILj21EfllfffEEvT2_20rocsparse_direction_NS_24const_host_device_scalarIT0_EES1_PKS1_PKT1_SA_S7_PKT3_PKT4_S5_PT5_21rocsparse_index_base_b: ; @_ZN9rocsparseL20bsrxmvn_17_32_kernelILj21EfllfffEEvT2_20rocsparse_direction_NS_24const_host_device_scalarIT0_EES1_PKS1_PKT1_SA_S7_PKT3_PKT4_S5_PT5_21rocsparse_index_base_b
; %bb.0:
	s_load_dwordx2 s[18:19], s[4:5], 0x60
	s_load_dwordx2 s[14:15], s[4:5], 0x10
	;; [unrolled: 1-line block ×3, first 2 shown]
	s_waitcnt lgkmcnt(0)
	s_bitcmp1_b32 s19, 0
	s_cselect_b64 s[2:3], -1, 0
	s_xor_b64 s[0:1], s[2:3], -1
	s_and_b64 vcc, exec, s[2:3]
	s_cbranch_vccnz .LBB132_2
; %bb.1:
	s_load_dword s14, s[14:15], 0x0
.LBB132_2:
	s_andn2_b64 vcc, exec, s[0:1]
	s_cbranch_vccnz .LBB132_4
; %bb.3:
	s_load_dword s12, s[12:13], 0x0
.LBB132_4:
	s_waitcnt lgkmcnt(0)
	v_cmp_neq_f32_e64 s[0:1], s14, 0
	v_cmp_neq_f32_e64 s[2:3], s12, 1.0
	s_or_b64 s[0:1], s[0:1], s[2:3]
	s_andn2_b64 vcc, exec, s[0:1]
	s_mov_b32 s7, 0
	s_cbranch_vccnz .LBB132_40
; %bb.5:
	s_load_dwordx4 s[0:3], s[4:5], 0x20
	s_load_dwordx2 s[8:9], s[4:5], 0x30
	s_waitcnt lgkmcnt(0)
	s_cmp_eq_u64 s[0:1], 0
	s_cbranch_scc1 .LBB132_7
; %bb.6:
	s_lshl_b64 s[6:7], s[6:7], 3
	s_add_u32 s0, s0, s6
	s_addc_u32 s1, s1, s7
	s_load_dwordx2 s[0:1], s[0:1], 0x0
	s_waitcnt lgkmcnt(0)
	s_sub_u32 s6, s0, s18
	s_subb_u32 s7, s1, 0
.LBB132_7:
	s_load_dword s10, s[4:5], 0x8
	s_load_dwordx2 s[16:17], s[4:5], 0x58
	v_mul_u32_u24_e32 v1, 0xc31, v0
	v_mov_b32_e32 v2, 21
	v_mul_lo_u16_sdwa v2, v1, v2 dst_sel:DWORD dst_unused:UNUSED_PAD src0_sel:WORD_1 src1_sel:DWORD
	s_waitcnt lgkmcnt(0)
	s_cmp_eq_u32 s10, 1
	s_cselect_b64 s[0:1], -1, 0
	s_cmp_lg_u32 s10, 1
	s_cselect_b64 s[20:21], -1, 0
	s_lshl_b64 s[10:11], s[6:7], 3
	s_add_u32 s24, s2, s10
	s_addc_u32 s25, s3, s11
	s_add_u32 s2, s24, 8
	s_addc_u32 s3, s25, 0
	;; [unrolled: 2-line block ×3, first 2 shown]
	s_cmp_eq_u64 s[8:9], 0
	s_cselect_b32 s9, s3, s11
	s_cselect_b32 s8, s2, s10
	s_load_dwordx2 s[2:3], s[8:9], 0x0
	s_load_dwordx2 s[22:23], s[24:25], 0x0
	v_sub_u16_e32 v9, v0, v2
	v_mov_b32_e32 v8, 0
	v_lshlrev_b32_e32 v7, 2, v0
	s_waitcnt lgkmcnt(0)
	v_mov_b32_e32 v2, s2
	v_mov_b32_e32 v3, s3
	v_cmp_ge_i64_e32 vcc, s[22:23], v[2:3]
	s_cbranch_vccnz .LBB132_12
; %bb.8:
	v_mov_b32_e32 v2, 25
	v_mul_lo_u16_sdwa v2, v1, v2 dst_sel:DWORD dst_unused:UNUSED_PAD src0_sel:WORD_1 src1_sel:DWORD
	v_lshrrev_b16_e32 v2, 9, v2
	s_load_dwordx4 s[8:11], s[4:5], 0x38
	s_load_dwordx2 s[24:25], s[4:5], 0x48
	v_mul_lo_u16_e32 v2, 21, v2
	s_sub_u32 s2, s2, s18
	v_sub_u16_sdwa v1, v1, v2 dst_sel:DWORD dst_unused:UNUSED_PAD src0_sel:WORD_1 src1_sel:DWORD
	s_subb_u32 s3, s3, 0
	v_and_b32_e32 v1, 0xff, v1
	s_sub_u32 s4, s22, s18
	v_cndmask_b32_e64 v1, v9, v1, s[0:1]
	s_subb_u32 s5, s23, 0
	v_lshlrev_b32_e32 v1, 2, v1
	s_mul_i32 s0, s5, 0x6e4
	s_mul_hi_u32 s1, s4, 0x6e4
	s_waitcnt lgkmcnt(0)
	v_mov_b32_e32 v2, s25
	v_add_co_u32_e32 v1, vcc, s24, v1
	s_add_i32 s1, s1, s0
	s_mul_i32 s0, s4, 0x6e4
	v_addc_co_u32_e32 v2, vcc, 0, v2, vcc
	s_add_u32 s0, s10, s0
	s_addc_u32 s1, s11, s1
	v_add_co_u32_e32 v3, vcc, s0, v7
	s_movk_i32 s0, 0x253
	v_mov_b32_e32 v4, s1
	v_mul_u32_u24_sdwa v5, v0, s0 dst_sel:DWORD dst_unused:UNUSED_PAD src0_sel:WORD_0 src1_sel:DWORD
	v_addc_co_u32_e32 v4, vcc, 0, v4, vcc
	v_lshrrev_b32_e32 v10, 18, v5
	v_mov_b32_e32 v5, s23
	v_add_co_u32_e32 v6, vcc, s22, v10
	v_addc_co_u32_e32 v11, vcc, 0, v5, vcc
	v_subrev_co_u32_e32 v5, vcc, s18, v6
	v_subbrev_co_u32_e32 v6, vcc, 0, v11, vcc
	v_lshlrev_b64 v[5:6], 3, v[5:6]
	v_mov_b32_e32 v11, s9
	v_add_co_u32_e32 v5, vcc, s8, v5
	v_mov_b32_e32 v8, 0
	v_addc_co_u32_e32 v6, vcc, v11, v6, vcc
	s_movk_i32 s8, 0x54
	s_branch .LBB132_10
.LBB132_9:                              ;   in Loop: Header=BB132_10 Depth=1
	s_or_b64 exec, exec, s[0:1]
	s_add_u32 s4, s4, 1
	v_mov_b32_e32 v12, s3
	s_addc_u32 s5, s5, 0
	v_mov_b32_e32 v11, s2
	v_cmp_lt_i64_e32 vcc, s[4:5], v[11:12]
	v_add_co_u32_e64 v5, s[0:1], 8, v5
	v_addc_co_u32_e64 v6, s[0:1], 0, v6, s[0:1]
	s_cbranch_vccz .LBB132_12
.LBB132_10:                             ; =>This Inner Loop Header: Depth=1
	v_mov_b32_e32 v12, s5
	v_add_co_u32_e32 v11, vcc, s4, v10
	v_addc_co_u32_e32 v12, vcc, 0, v12, vcc
	v_cmp_gt_i64_e32 vcc, s[2:3], v[11:12]
	s_and_saveexec_b64 s[0:1], vcc
	s_cbranch_execz .LBB132_9
; %bb.11:                               ;   in Loop: Header=BB132_10 Depth=1
	global_load_dwordx2 v[11:12], v[5:6], off
	s_waitcnt vmcnt(0)
	v_subrev_co_u32_e32 v11, vcc, s18, v11
	v_subbrev_co_u32_e32 v13, vcc, 0, v12, vcc
	v_mad_u64_u32 v[11:12], s[10:11], v11, s8, v[1:2]
	v_mad_u64_u32 v[12:13], s[10:11], v13, s8, v[12:13]
	global_load_dword v13, v[3:4], off
	s_nop 0
	global_load_dword v11, v[11:12], off
	v_add_co_u32_e32 v3, vcc, 0x6e4, v3
	v_addc_co_u32_e32 v4, vcc, 0, v4, vcc
	s_waitcnt vmcnt(0)
	v_fmac_f32_e32 v8, v13, v11
	s_branch .LBB132_9
.LBB132_12:
	s_and_b64 vcc, exec, s[20:21]
	ds_write_b32 v7, v8
	s_waitcnt lgkmcnt(0)
	s_barrier
	s_cbranch_vccz .LBB132_24
; %bb.13:
	v_cmp_gt_u16_e32 vcc, 5, v9
	s_and_saveexec_b64 s[0:1], vcc
	s_cbranch_execz .LBB132_15
; %bb.14:
	ds_read2_b32 v[1:2], v7 offset1:16
	s_waitcnt lgkmcnt(0)
	v_add_f32_e32 v1, v2, v1
	ds_write_b32 v7, v1
.LBB132_15:
	s_or_b64 exec, exec, s[0:1]
	v_cmp_gt_u16_e32 vcc, 8, v9
	s_waitcnt lgkmcnt(0)
	s_barrier
	s_and_saveexec_b64 s[0:1], vcc
	s_cbranch_execz .LBB132_17
; %bb.16:
	ds_read2_b32 v[1:2], v7 offset1:8
	s_waitcnt lgkmcnt(0)
	v_add_f32_e32 v1, v2, v1
	ds_write_b32 v7, v1
.LBB132_17:
	s_or_b64 exec, exec, s[0:1]
	v_cmp_gt_u16_e32 vcc, 4, v9
	s_waitcnt lgkmcnt(0)
	s_barrier
	;; [unrolled: 12-line block ×3, first 2 shown]
	s_and_saveexec_b64 s[0:1], vcc
	s_cbranch_execz .LBB132_21
; %bb.20:
	ds_read2_b32 v[1:2], v7 offset1:2
	s_waitcnt lgkmcnt(0)
	v_add_f32_e32 v1, v2, v1
	ds_write_b32 v7, v1
.LBB132_21:
	s_or_b64 exec, exec, s[0:1]
	v_cmp_gt_u32_e32 vcc, 21, v0
	v_mov_b32_e32 v1, v8
	s_waitcnt lgkmcnt(0)
	s_barrier
	s_and_saveexec_b64 s[0:1], vcc
	s_cbranch_execz .LBB132_23
; %bb.22:
	s_movk_i32 s2, 0x50
	v_mad_u32_u24 v1, v0, s2, v7
	ds_read2_b32 v[1:2], v1 offset1:1
	s_waitcnt lgkmcnt(0)
	v_add_f32_e32 v1, v1, v2
.LBB132_23:
	s_or_b64 exec, exec, s[0:1]
	s_branch .LBB132_36
.LBB132_24:
                                        ; implicit-def: $vgpr1
	s_cbranch_execz .LBB132_36
; %bb.25:
	s_movk_i32 s0, 0x69
	v_cmp_gt_u32_e32 vcc, s0, v0
	s_and_saveexec_b64 s[0:1], vcc
	s_cbranch_execz .LBB132_27
; %bb.26:
	ds_read_b32 v1, v7 offset:1344
	ds_read_b32 v2, v7
	s_waitcnt lgkmcnt(0)
	v_add_f32_e32 v1, v1, v2
	ds_write_b32 v7, v1
.LBB132_27:
	s_or_b64 exec, exec, s[0:1]
	s_movk_i32 s0, 0xa8
	v_cmp_gt_u32_e32 vcc, s0, v0
	s_waitcnt lgkmcnt(0)
	s_barrier
	s_and_saveexec_b64 s[0:1], vcc
	s_cbranch_execz .LBB132_29
; %bb.28:
	ds_read2_b32 v[1:2], v7 offset1:168
	s_waitcnt lgkmcnt(0)
	v_add_f32_e32 v1, v2, v1
	ds_write_b32 v7, v1
.LBB132_29:
	s_or_b64 exec, exec, s[0:1]
	s_movk_i32 s0, 0x54
	v_cmp_gt_u32_e32 vcc, s0, v0
	s_waitcnt lgkmcnt(0)
	s_barrier
	s_and_saveexec_b64 s[0:1], vcc
	s_cbranch_execz .LBB132_31
; %bb.30:
	ds_read2_b32 v[1:2], v7 offset1:84
	s_waitcnt lgkmcnt(0)
	v_add_f32_e32 v1, v2, v1
	ds_write_b32 v7, v1
.LBB132_31:
	s_or_b64 exec, exec, s[0:1]
	v_cmp_gt_u32_e32 vcc, 42, v0
	s_waitcnt lgkmcnt(0)
	s_barrier
	s_and_saveexec_b64 s[0:1], vcc
	s_cbranch_execz .LBB132_33
; %bb.32:
	ds_read2_b32 v[1:2], v7 offset1:42
	s_waitcnt lgkmcnt(0)
	v_add_f32_e32 v1, v2, v1
	ds_write_b32 v7, v1
.LBB132_33:
	s_or_b64 exec, exec, s[0:1]
	v_cmp_gt_u32_e32 vcc, 21, v0
	s_waitcnt lgkmcnt(0)
	s_and_saveexec_b64 s[0:1], vcc
	s_cbranch_execz .LBB132_35
; %bb.34:
	ds_read2_b32 v[1:2], v7 offset1:21
	s_waitcnt lgkmcnt(0)
	v_add_f32_e32 v8, v1, v2
.LBB132_35:
	s_or_b64 exec, exec, s[0:1]
	v_mov_b32_e32 v1, v8
.LBB132_36:
	v_cmp_gt_u32_e32 vcc, 21, v0
	s_and_saveexec_b64 s[0:1], vcc
	s_cbranch_execz .LBB132_40
; %bb.37:
	v_cmp_eq_f32_e64 s[0:1], s12, 0
	s_and_b64 vcc, exec, s[0:1]
	v_mul_f32_e32 v0, s14, v1
	s_mul_i32 s2, s7, 0x54
	s_mul_hi_u32 s3, s6, 0x54
	s_mul_i32 s4, s6, 0x54
	s_cbranch_vccz .LBB132_41
; %bb.38:
	s_add_i32 s1, s3, s2
	s_add_u32 s0, s16, s4
	s_addc_u32 s1, s17, s1
	global_store_dword v7, v0, s[0:1]
	s_cbranch_execnz .LBB132_40
.LBB132_39:
	s_add_i32 s3, s3, s2
	s_add_u32 s0, s16, s4
	s_addc_u32 s1, s17, s3
	global_load_dword v1, v7, s[0:1]
	s_waitcnt vmcnt(0)
	v_fmac_f32_e32 v0, s12, v1
	global_store_dword v7, v0, s[0:1]
.LBB132_40:
	s_endpgm
.LBB132_41:
	s_branch .LBB132_39
	.section	.rodata,"a",@progbits
	.p2align	6, 0x0
	.amdhsa_kernel _ZN9rocsparseL20bsrxmvn_17_32_kernelILj21EfllfffEEvT2_20rocsparse_direction_NS_24const_host_device_scalarIT0_EES1_PKS1_PKT1_SA_S7_PKT3_PKT4_S5_PT5_21rocsparse_index_base_b
		.amdhsa_group_segment_fixed_size 1764
		.amdhsa_private_segment_fixed_size 0
		.amdhsa_kernarg_size 104
		.amdhsa_user_sgpr_count 6
		.amdhsa_user_sgpr_private_segment_buffer 1
		.amdhsa_user_sgpr_dispatch_ptr 0
		.amdhsa_user_sgpr_queue_ptr 0
		.amdhsa_user_sgpr_kernarg_segment_ptr 1
		.amdhsa_user_sgpr_dispatch_id 0
		.amdhsa_user_sgpr_flat_scratch_init 0
		.amdhsa_user_sgpr_private_segment_size 0
		.amdhsa_uses_dynamic_stack 0
		.amdhsa_system_sgpr_private_segment_wavefront_offset 0
		.amdhsa_system_sgpr_workgroup_id_x 1
		.amdhsa_system_sgpr_workgroup_id_y 0
		.amdhsa_system_sgpr_workgroup_id_z 0
		.amdhsa_system_sgpr_workgroup_info 0
		.amdhsa_system_vgpr_workitem_id 0
		.amdhsa_next_free_vgpr 14
		.amdhsa_next_free_sgpr 26
		.amdhsa_reserve_vcc 1
		.amdhsa_reserve_flat_scratch 0
		.amdhsa_float_round_mode_32 0
		.amdhsa_float_round_mode_16_64 0
		.amdhsa_float_denorm_mode_32 3
		.amdhsa_float_denorm_mode_16_64 3
		.amdhsa_dx10_clamp 1
		.amdhsa_ieee_mode 1
		.amdhsa_fp16_overflow 0
		.amdhsa_exception_fp_ieee_invalid_op 0
		.amdhsa_exception_fp_denorm_src 0
		.amdhsa_exception_fp_ieee_div_zero 0
		.amdhsa_exception_fp_ieee_overflow 0
		.amdhsa_exception_fp_ieee_underflow 0
		.amdhsa_exception_fp_ieee_inexact 0
		.amdhsa_exception_int_div_zero 0
	.end_amdhsa_kernel
	.section	.text._ZN9rocsparseL20bsrxmvn_17_32_kernelILj21EfllfffEEvT2_20rocsparse_direction_NS_24const_host_device_scalarIT0_EES1_PKS1_PKT1_SA_S7_PKT3_PKT4_S5_PT5_21rocsparse_index_base_b,"axG",@progbits,_ZN9rocsparseL20bsrxmvn_17_32_kernelILj21EfllfffEEvT2_20rocsparse_direction_NS_24const_host_device_scalarIT0_EES1_PKS1_PKT1_SA_S7_PKT3_PKT4_S5_PT5_21rocsparse_index_base_b,comdat
.Lfunc_end132:
	.size	_ZN9rocsparseL20bsrxmvn_17_32_kernelILj21EfllfffEEvT2_20rocsparse_direction_NS_24const_host_device_scalarIT0_EES1_PKS1_PKT1_SA_S7_PKT3_PKT4_S5_PT5_21rocsparse_index_base_b, .Lfunc_end132-_ZN9rocsparseL20bsrxmvn_17_32_kernelILj21EfllfffEEvT2_20rocsparse_direction_NS_24const_host_device_scalarIT0_EES1_PKS1_PKT1_SA_S7_PKT3_PKT4_S5_PT5_21rocsparse_index_base_b
                                        ; -- End function
	.set _ZN9rocsparseL20bsrxmvn_17_32_kernelILj21EfllfffEEvT2_20rocsparse_direction_NS_24const_host_device_scalarIT0_EES1_PKS1_PKT1_SA_S7_PKT3_PKT4_S5_PT5_21rocsparse_index_base_b.num_vgpr, 14
	.set _ZN9rocsparseL20bsrxmvn_17_32_kernelILj21EfllfffEEvT2_20rocsparse_direction_NS_24const_host_device_scalarIT0_EES1_PKS1_PKT1_SA_S7_PKT3_PKT4_S5_PT5_21rocsparse_index_base_b.num_agpr, 0
	.set _ZN9rocsparseL20bsrxmvn_17_32_kernelILj21EfllfffEEvT2_20rocsparse_direction_NS_24const_host_device_scalarIT0_EES1_PKS1_PKT1_SA_S7_PKT3_PKT4_S5_PT5_21rocsparse_index_base_b.numbered_sgpr, 26
	.set _ZN9rocsparseL20bsrxmvn_17_32_kernelILj21EfllfffEEvT2_20rocsparse_direction_NS_24const_host_device_scalarIT0_EES1_PKS1_PKT1_SA_S7_PKT3_PKT4_S5_PT5_21rocsparse_index_base_b.num_named_barrier, 0
	.set _ZN9rocsparseL20bsrxmvn_17_32_kernelILj21EfllfffEEvT2_20rocsparse_direction_NS_24const_host_device_scalarIT0_EES1_PKS1_PKT1_SA_S7_PKT3_PKT4_S5_PT5_21rocsparse_index_base_b.private_seg_size, 0
	.set _ZN9rocsparseL20bsrxmvn_17_32_kernelILj21EfllfffEEvT2_20rocsparse_direction_NS_24const_host_device_scalarIT0_EES1_PKS1_PKT1_SA_S7_PKT3_PKT4_S5_PT5_21rocsparse_index_base_b.uses_vcc, 1
	.set _ZN9rocsparseL20bsrxmvn_17_32_kernelILj21EfllfffEEvT2_20rocsparse_direction_NS_24const_host_device_scalarIT0_EES1_PKS1_PKT1_SA_S7_PKT3_PKT4_S5_PT5_21rocsparse_index_base_b.uses_flat_scratch, 0
	.set _ZN9rocsparseL20bsrxmvn_17_32_kernelILj21EfllfffEEvT2_20rocsparse_direction_NS_24const_host_device_scalarIT0_EES1_PKS1_PKT1_SA_S7_PKT3_PKT4_S5_PT5_21rocsparse_index_base_b.has_dyn_sized_stack, 0
	.set _ZN9rocsparseL20bsrxmvn_17_32_kernelILj21EfllfffEEvT2_20rocsparse_direction_NS_24const_host_device_scalarIT0_EES1_PKS1_PKT1_SA_S7_PKT3_PKT4_S5_PT5_21rocsparse_index_base_b.has_recursion, 0
	.set _ZN9rocsparseL20bsrxmvn_17_32_kernelILj21EfllfffEEvT2_20rocsparse_direction_NS_24const_host_device_scalarIT0_EES1_PKS1_PKT1_SA_S7_PKT3_PKT4_S5_PT5_21rocsparse_index_base_b.has_indirect_call, 0
	.section	.AMDGPU.csdata,"",@progbits
; Kernel info:
; codeLenInByte = 1312
; TotalNumSgprs: 30
; NumVgprs: 14
; ScratchSize: 0
; MemoryBound: 0
; FloatMode: 240
; IeeeMode: 1
; LDSByteSize: 1764 bytes/workgroup (compile time only)
; SGPRBlocks: 3
; VGPRBlocks: 3
; NumSGPRsForWavesPerEU: 30
; NumVGPRsForWavesPerEU: 14
; Occupancy: 10
; WaveLimiterHint : 1
; COMPUTE_PGM_RSRC2:SCRATCH_EN: 0
; COMPUTE_PGM_RSRC2:USER_SGPR: 6
; COMPUTE_PGM_RSRC2:TRAP_HANDLER: 0
; COMPUTE_PGM_RSRC2:TGID_X_EN: 1
; COMPUTE_PGM_RSRC2:TGID_Y_EN: 0
; COMPUTE_PGM_RSRC2:TGID_Z_EN: 0
; COMPUTE_PGM_RSRC2:TIDIG_COMP_CNT: 0
	.section	.text._ZN9rocsparseL20bsrxmvn_17_32_kernelILj22EfllfffEEvT2_20rocsparse_direction_NS_24const_host_device_scalarIT0_EES1_PKS1_PKT1_SA_S7_PKT3_PKT4_S5_PT5_21rocsparse_index_base_b,"axG",@progbits,_ZN9rocsparseL20bsrxmvn_17_32_kernelILj22EfllfffEEvT2_20rocsparse_direction_NS_24const_host_device_scalarIT0_EES1_PKS1_PKT1_SA_S7_PKT3_PKT4_S5_PT5_21rocsparse_index_base_b,comdat
	.globl	_ZN9rocsparseL20bsrxmvn_17_32_kernelILj22EfllfffEEvT2_20rocsparse_direction_NS_24const_host_device_scalarIT0_EES1_PKS1_PKT1_SA_S7_PKT3_PKT4_S5_PT5_21rocsparse_index_base_b ; -- Begin function _ZN9rocsparseL20bsrxmvn_17_32_kernelILj22EfllfffEEvT2_20rocsparse_direction_NS_24const_host_device_scalarIT0_EES1_PKS1_PKT1_SA_S7_PKT3_PKT4_S5_PT5_21rocsparse_index_base_b
	.p2align	8
	.type	_ZN9rocsparseL20bsrxmvn_17_32_kernelILj22EfllfffEEvT2_20rocsparse_direction_NS_24const_host_device_scalarIT0_EES1_PKS1_PKT1_SA_S7_PKT3_PKT4_S5_PT5_21rocsparse_index_base_b,@function
_ZN9rocsparseL20bsrxmvn_17_32_kernelILj22EfllfffEEvT2_20rocsparse_direction_NS_24const_host_device_scalarIT0_EES1_PKS1_PKT1_SA_S7_PKT3_PKT4_S5_PT5_21rocsparse_index_base_b: ; @_ZN9rocsparseL20bsrxmvn_17_32_kernelILj22EfllfffEEvT2_20rocsparse_direction_NS_24const_host_device_scalarIT0_EES1_PKS1_PKT1_SA_S7_PKT3_PKT4_S5_PT5_21rocsparse_index_base_b
; %bb.0:
	s_load_dwordx2 s[18:19], s[4:5], 0x60
	s_load_dwordx2 s[14:15], s[4:5], 0x10
	;; [unrolled: 1-line block ×3, first 2 shown]
	s_waitcnt lgkmcnt(0)
	s_bitcmp1_b32 s19, 0
	s_cselect_b64 s[2:3], -1, 0
	s_xor_b64 s[0:1], s[2:3], -1
	s_and_b64 vcc, exec, s[2:3]
	s_cbranch_vccnz .LBB133_2
; %bb.1:
	s_load_dword s14, s[14:15], 0x0
.LBB133_2:
	s_andn2_b64 vcc, exec, s[0:1]
	s_cbranch_vccnz .LBB133_4
; %bb.3:
	s_load_dword s12, s[12:13], 0x0
.LBB133_4:
	s_waitcnt lgkmcnt(0)
	v_cmp_neq_f32_e64 s[0:1], s14, 0
	v_cmp_neq_f32_e64 s[2:3], s12, 1.0
	s_or_b64 s[0:1], s[0:1], s[2:3]
	s_andn2_b64 vcc, exec, s[0:1]
	s_mov_b32 s7, 0
	s_cbranch_vccnz .LBB133_40
; %bb.5:
	s_load_dwordx4 s[0:3], s[4:5], 0x20
	s_load_dwordx2 s[8:9], s[4:5], 0x30
	s_waitcnt lgkmcnt(0)
	s_cmp_eq_u64 s[0:1], 0
	s_cbranch_scc1 .LBB133_7
; %bb.6:
	s_lshl_b64 s[6:7], s[6:7], 3
	s_add_u32 s0, s0, s6
	s_addc_u32 s1, s1, s7
	s_load_dwordx2 s[0:1], s[0:1], 0x0
	s_waitcnt lgkmcnt(0)
	s_sub_u32 s6, s0, s18
	s_subb_u32 s7, s1, 0
.LBB133_7:
	s_load_dword s10, s[4:5], 0x8
	s_load_dwordx2 s[16:17], s[4:5], 0x58
	v_mul_u32_u24_e32 v1, 0xba3, v0
	v_mov_b32_e32 v2, 22
	v_mul_lo_u16_sdwa v3, v1, v2 dst_sel:DWORD dst_unused:UNUSED_PAD src0_sel:WORD_1 src1_sel:DWORD
	s_waitcnt lgkmcnt(0)
	s_cmp_eq_u32 s10, 1
	s_cselect_b64 s[0:1], -1, 0
	s_cmp_lg_u32 s10, 1
	s_cselect_b64 s[20:21], -1, 0
	s_lshl_b64 s[10:11], s[6:7], 3
	s_add_u32 s24, s2, s10
	s_addc_u32 s25, s3, s11
	s_add_u32 s2, s24, 8
	s_addc_u32 s3, s25, 0
	;; [unrolled: 2-line block ×3, first 2 shown]
	s_cmp_eq_u64 s[8:9], 0
	s_cselect_b32 s9, s3, s11
	s_cselect_b32 s8, s2, s10
	s_load_dwordx2 s[2:3], s[8:9], 0x0
	s_load_dwordx2 s[22:23], s[24:25], 0x0
	v_sub_u16_e32 v9, v0, v3
	v_mov_b32_e32 v8, 0
	v_lshlrev_b32_e32 v7, 2, v0
	s_waitcnt lgkmcnt(0)
	v_mov_b32_e32 v4, s3
	v_mov_b32_e32 v3, s2
	v_cmp_ge_i64_e32 vcc, s[22:23], v[3:4]
	s_cbranch_vccnz .LBB133_12
; %bb.8:
	v_mov_b32_e32 v3, 12
	v_mul_lo_u16_sdwa v3, v1, v3 dst_sel:DWORD dst_unused:UNUSED_PAD src0_sel:WORD_1 src1_sel:DWORD
	s_load_dwordx4 s[8:11], s[4:5], 0x38
	s_load_dwordx2 s[24:25], s[4:5], 0x48
	v_mul_lo_u16_sdwa v2, v3, v2 dst_sel:DWORD dst_unused:UNUSED_PAD src0_sel:BYTE_1 src1_sel:DWORD
	s_sub_u32 s2, s2, s18
	v_sub_u16_sdwa v1, v1, v2 dst_sel:DWORD dst_unused:UNUSED_PAD src0_sel:WORD_1 src1_sel:DWORD
	s_subb_u32 s3, s3, 0
	v_and_b32_e32 v1, 0xff, v1
	s_sub_u32 s4, s22, s18
	v_cndmask_b32_e64 v1, v9, v1, s[0:1]
	s_subb_u32 s5, s23, 0
	v_lshlrev_b32_e32 v1, 2, v1
	s_mul_i32 s0, s5, 0x790
	s_mul_hi_u32 s1, s4, 0x790
	s_waitcnt lgkmcnt(0)
	v_mov_b32_e32 v2, s25
	v_add_co_u32_e32 v1, vcc, s24, v1
	s_add_i32 s1, s1, s0
	s_mul_i32 s0, s4, 0x790
	v_addc_co_u32_e32 v2, vcc, 0, v2, vcc
	s_add_u32 s0, s10, s0
	s_addc_u32 s1, s11, s1
	v_add_co_u32_e32 v3, vcc, s0, v7
	s_movk_i32 s0, 0x10f
	v_mov_b32_e32 v4, s1
	v_mul_u32_u24_sdwa v5, v0, s0 dst_sel:DWORD dst_unused:UNUSED_PAD src0_sel:WORD_0 src1_sel:DWORD
	v_addc_co_u32_e32 v4, vcc, 0, v4, vcc
	v_lshrrev_b32_e32 v10, 17, v5
	v_mov_b32_e32 v5, s23
	v_add_co_u32_e32 v6, vcc, s22, v10
	v_addc_co_u32_e32 v11, vcc, 0, v5, vcc
	v_subrev_co_u32_e32 v5, vcc, s18, v6
	v_subbrev_co_u32_e32 v6, vcc, 0, v11, vcc
	v_lshlrev_b64 v[5:6], 3, v[5:6]
	v_mov_b32_e32 v11, s9
	v_add_co_u32_e32 v5, vcc, s8, v5
	v_mov_b32_e32 v8, 0
	v_addc_co_u32_e32 v6, vcc, v11, v6, vcc
	s_movk_i32 s8, 0x58
	s_branch .LBB133_10
.LBB133_9:                              ;   in Loop: Header=BB133_10 Depth=1
	s_or_b64 exec, exec, s[0:1]
	s_add_u32 s4, s4, 1
	v_mov_b32_e32 v12, s3
	s_addc_u32 s5, s5, 0
	v_mov_b32_e32 v11, s2
	v_cmp_lt_i64_e32 vcc, s[4:5], v[11:12]
	v_add_co_u32_e64 v5, s[0:1], 8, v5
	v_addc_co_u32_e64 v6, s[0:1], 0, v6, s[0:1]
	s_cbranch_vccz .LBB133_12
.LBB133_10:                             ; =>This Inner Loop Header: Depth=1
	v_mov_b32_e32 v12, s5
	v_add_co_u32_e32 v11, vcc, s4, v10
	v_addc_co_u32_e32 v12, vcc, 0, v12, vcc
	v_cmp_gt_i64_e32 vcc, s[2:3], v[11:12]
	s_and_saveexec_b64 s[0:1], vcc
	s_cbranch_execz .LBB133_9
; %bb.11:                               ;   in Loop: Header=BB133_10 Depth=1
	global_load_dwordx2 v[11:12], v[5:6], off
	s_waitcnt vmcnt(0)
	v_subrev_co_u32_e32 v11, vcc, s18, v11
	v_subbrev_co_u32_e32 v13, vcc, 0, v12, vcc
	v_mad_u64_u32 v[11:12], s[10:11], v11, s8, v[1:2]
	v_mad_u64_u32 v[12:13], s[10:11], v13, s8, v[12:13]
	global_load_dword v13, v[3:4], off
	s_nop 0
	global_load_dword v11, v[11:12], off
	v_add_co_u32_e32 v3, vcc, 0x790, v3
	v_addc_co_u32_e32 v4, vcc, 0, v4, vcc
	s_waitcnt vmcnt(0)
	v_fmac_f32_e32 v8, v13, v11
	s_branch .LBB133_9
.LBB133_12:
	s_and_b64 vcc, exec, s[20:21]
	ds_write_b32 v7, v8
	s_waitcnt lgkmcnt(0)
	s_barrier
	s_cbranch_vccz .LBB133_24
; %bb.13:
	v_cmp_gt_u16_e32 vcc, 6, v9
	s_and_saveexec_b64 s[0:1], vcc
	s_cbranch_execz .LBB133_15
; %bb.14:
	ds_read2_b32 v[1:2], v7 offset1:16
	s_waitcnt lgkmcnt(0)
	v_add_f32_e32 v1, v2, v1
	ds_write_b32 v7, v1
.LBB133_15:
	s_or_b64 exec, exec, s[0:1]
	v_cmp_gt_u16_e32 vcc, 8, v9
	s_waitcnt lgkmcnt(0)
	s_barrier
	s_and_saveexec_b64 s[0:1], vcc
	s_cbranch_execz .LBB133_17
; %bb.16:
	ds_read2_b32 v[1:2], v7 offset1:8
	s_waitcnt lgkmcnt(0)
	v_add_f32_e32 v1, v2, v1
	ds_write_b32 v7, v1
.LBB133_17:
	s_or_b64 exec, exec, s[0:1]
	v_cmp_gt_u16_e32 vcc, 4, v9
	s_waitcnt lgkmcnt(0)
	s_barrier
	;; [unrolled: 12-line block ×3, first 2 shown]
	s_and_saveexec_b64 s[0:1], vcc
	s_cbranch_execz .LBB133_21
; %bb.20:
	ds_read2_b32 v[1:2], v7 offset1:2
	s_waitcnt lgkmcnt(0)
	v_add_f32_e32 v1, v2, v1
	ds_write_b32 v7, v1
.LBB133_21:
	s_or_b64 exec, exec, s[0:1]
	v_cmp_gt_u32_e32 vcc, 22, v0
	v_mov_b32_e32 v1, v8
	s_waitcnt lgkmcnt(0)
	s_barrier
	s_and_saveexec_b64 s[0:1], vcc
	s_cbranch_execz .LBB133_23
; %bb.22:
	s_movk_i32 s2, 0x54
	v_mad_u32_u24 v1, v0, s2, v7
	ds_read_b64 v[1:2], v1
	s_waitcnt lgkmcnt(0)
	v_add_f32_e32 v1, v1, v2
.LBB133_23:
	s_or_b64 exec, exec, s[0:1]
	s_branch .LBB133_36
.LBB133_24:
                                        ; implicit-def: $vgpr1
	s_cbranch_execz .LBB133_36
; %bb.25:
	s_movk_i32 s0, 0x84
	v_cmp_gt_u32_e32 vcc, s0, v0
	s_and_saveexec_b64 s[0:1], vcc
	s_cbranch_execz .LBB133_27
; %bb.26:
	ds_read_b32 v1, v7 offset:1408
	ds_read_b32 v2, v7
	s_waitcnt lgkmcnt(0)
	v_add_f32_e32 v1, v1, v2
	ds_write_b32 v7, v1
.LBB133_27:
	s_or_b64 exec, exec, s[0:1]
	s_movk_i32 s0, 0xb0
	v_cmp_gt_u32_e32 vcc, s0, v0
	s_waitcnt lgkmcnt(0)
	s_barrier
	s_and_saveexec_b64 s[0:1], vcc
	s_cbranch_execz .LBB133_29
; %bb.28:
	ds_read2_b32 v[1:2], v7 offset1:176
	s_waitcnt lgkmcnt(0)
	v_add_f32_e32 v1, v2, v1
	ds_write_b32 v7, v1
.LBB133_29:
	s_or_b64 exec, exec, s[0:1]
	s_movk_i32 s0, 0x58
	v_cmp_gt_u32_e32 vcc, s0, v0
	s_waitcnt lgkmcnt(0)
	s_barrier
	s_and_saveexec_b64 s[0:1], vcc
	s_cbranch_execz .LBB133_31
; %bb.30:
	ds_read2_b32 v[1:2], v7 offset1:88
	s_waitcnt lgkmcnt(0)
	v_add_f32_e32 v1, v2, v1
	ds_write_b32 v7, v1
.LBB133_31:
	s_or_b64 exec, exec, s[0:1]
	v_cmp_gt_u32_e32 vcc, 44, v0
	s_waitcnt lgkmcnt(0)
	s_barrier
	s_and_saveexec_b64 s[0:1], vcc
	s_cbranch_execz .LBB133_33
; %bb.32:
	ds_read2_b32 v[1:2], v7 offset1:44
	s_waitcnt lgkmcnt(0)
	v_add_f32_e32 v1, v2, v1
	ds_write_b32 v7, v1
.LBB133_33:
	s_or_b64 exec, exec, s[0:1]
	v_cmp_gt_u32_e32 vcc, 22, v0
	s_waitcnt lgkmcnt(0)
	s_and_saveexec_b64 s[0:1], vcc
	s_cbranch_execz .LBB133_35
; %bb.34:
	ds_read2_b32 v[1:2], v7 offset1:22
	s_waitcnt lgkmcnt(0)
	v_add_f32_e32 v8, v1, v2
.LBB133_35:
	s_or_b64 exec, exec, s[0:1]
	v_mov_b32_e32 v1, v8
.LBB133_36:
	v_cmp_gt_u32_e32 vcc, 22, v0
	s_and_saveexec_b64 s[0:1], vcc
	s_cbranch_execz .LBB133_40
; %bb.37:
	v_cmp_eq_f32_e64 s[0:1], s12, 0
	s_and_b64 vcc, exec, s[0:1]
	v_mul_f32_e32 v0, s14, v1
	s_mul_i32 s2, s7, 0x58
	s_mul_hi_u32 s3, s6, 0x58
	s_mul_i32 s4, s6, 0x58
	s_cbranch_vccz .LBB133_41
; %bb.38:
	s_add_i32 s1, s3, s2
	s_add_u32 s0, s16, s4
	s_addc_u32 s1, s17, s1
	global_store_dword v7, v0, s[0:1]
	s_cbranch_execnz .LBB133_40
.LBB133_39:
	s_add_i32 s3, s3, s2
	s_add_u32 s0, s16, s4
	s_addc_u32 s1, s17, s3
	global_load_dword v1, v7, s[0:1]
	s_waitcnt vmcnt(0)
	v_fmac_f32_e32 v0, s12, v1
	global_store_dword v7, v0, s[0:1]
.LBB133_40:
	s_endpgm
.LBB133_41:
	s_branch .LBB133_39
	.section	.rodata,"a",@progbits
	.p2align	6, 0x0
	.amdhsa_kernel _ZN9rocsparseL20bsrxmvn_17_32_kernelILj22EfllfffEEvT2_20rocsparse_direction_NS_24const_host_device_scalarIT0_EES1_PKS1_PKT1_SA_S7_PKT3_PKT4_S5_PT5_21rocsparse_index_base_b
		.amdhsa_group_segment_fixed_size 1936
		.amdhsa_private_segment_fixed_size 0
		.amdhsa_kernarg_size 104
		.amdhsa_user_sgpr_count 6
		.amdhsa_user_sgpr_private_segment_buffer 1
		.amdhsa_user_sgpr_dispatch_ptr 0
		.amdhsa_user_sgpr_queue_ptr 0
		.amdhsa_user_sgpr_kernarg_segment_ptr 1
		.amdhsa_user_sgpr_dispatch_id 0
		.amdhsa_user_sgpr_flat_scratch_init 0
		.amdhsa_user_sgpr_private_segment_size 0
		.amdhsa_uses_dynamic_stack 0
		.amdhsa_system_sgpr_private_segment_wavefront_offset 0
		.amdhsa_system_sgpr_workgroup_id_x 1
		.amdhsa_system_sgpr_workgroup_id_y 0
		.amdhsa_system_sgpr_workgroup_id_z 0
		.amdhsa_system_sgpr_workgroup_info 0
		.amdhsa_system_vgpr_workitem_id 0
		.amdhsa_next_free_vgpr 14
		.amdhsa_next_free_sgpr 26
		.amdhsa_reserve_vcc 1
		.amdhsa_reserve_flat_scratch 0
		.amdhsa_float_round_mode_32 0
		.amdhsa_float_round_mode_16_64 0
		.amdhsa_float_denorm_mode_32 3
		.amdhsa_float_denorm_mode_16_64 3
		.amdhsa_dx10_clamp 1
		.amdhsa_ieee_mode 1
		.amdhsa_fp16_overflow 0
		.amdhsa_exception_fp_ieee_invalid_op 0
		.amdhsa_exception_fp_denorm_src 0
		.amdhsa_exception_fp_ieee_div_zero 0
		.amdhsa_exception_fp_ieee_overflow 0
		.amdhsa_exception_fp_ieee_underflow 0
		.amdhsa_exception_fp_ieee_inexact 0
		.amdhsa_exception_int_div_zero 0
	.end_amdhsa_kernel
	.section	.text._ZN9rocsparseL20bsrxmvn_17_32_kernelILj22EfllfffEEvT2_20rocsparse_direction_NS_24const_host_device_scalarIT0_EES1_PKS1_PKT1_SA_S7_PKT3_PKT4_S5_PT5_21rocsparse_index_base_b,"axG",@progbits,_ZN9rocsparseL20bsrxmvn_17_32_kernelILj22EfllfffEEvT2_20rocsparse_direction_NS_24const_host_device_scalarIT0_EES1_PKS1_PKT1_SA_S7_PKT3_PKT4_S5_PT5_21rocsparse_index_base_b,comdat
.Lfunc_end133:
	.size	_ZN9rocsparseL20bsrxmvn_17_32_kernelILj22EfllfffEEvT2_20rocsparse_direction_NS_24const_host_device_scalarIT0_EES1_PKS1_PKT1_SA_S7_PKT3_PKT4_S5_PT5_21rocsparse_index_base_b, .Lfunc_end133-_ZN9rocsparseL20bsrxmvn_17_32_kernelILj22EfllfffEEvT2_20rocsparse_direction_NS_24const_host_device_scalarIT0_EES1_PKS1_PKT1_SA_S7_PKT3_PKT4_S5_PT5_21rocsparse_index_base_b
                                        ; -- End function
	.set _ZN9rocsparseL20bsrxmvn_17_32_kernelILj22EfllfffEEvT2_20rocsparse_direction_NS_24const_host_device_scalarIT0_EES1_PKS1_PKT1_SA_S7_PKT3_PKT4_S5_PT5_21rocsparse_index_base_b.num_vgpr, 14
	.set _ZN9rocsparseL20bsrxmvn_17_32_kernelILj22EfllfffEEvT2_20rocsparse_direction_NS_24const_host_device_scalarIT0_EES1_PKS1_PKT1_SA_S7_PKT3_PKT4_S5_PT5_21rocsparse_index_base_b.num_agpr, 0
	.set _ZN9rocsparseL20bsrxmvn_17_32_kernelILj22EfllfffEEvT2_20rocsparse_direction_NS_24const_host_device_scalarIT0_EES1_PKS1_PKT1_SA_S7_PKT3_PKT4_S5_PT5_21rocsparse_index_base_b.numbered_sgpr, 26
	.set _ZN9rocsparseL20bsrxmvn_17_32_kernelILj22EfllfffEEvT2_20rocsparse_direction_NS_24const_host_device_scalarIT0_EES1_PKS1_PKT1_SA_S7_PKT3_PKT4_S5_PT5_21rocsparse_index_base_b.num_named_barrier, 0
	.set _ZN9rocsparseL20bsrxmvn_17_32_kernelILj22EfllfffEEvT2_20rocsparse_direction_NS_24const_host_device_scalarIT0_EES1_PKS1_PKT1_SA_S7_PKT3_PKT4_S5_PT5_21rocsparse_index_base_b.private_seg_size, 0
	.set _ZN9rocsparseL20bsrxmvn_17_32_kernelILj22EfllfffEEvT2_20rocsparse_direction_NS_24const_host_device_scalarIT0_EES1_PKS1_PKT1_SA_S7_PKT3_PKT4_S5_PT5_21rocsparse_index_base_b.uses_vcc, 1
	.set _ZN9rocsparseL20bsrxmvn_17_32_kernelILj22EfllfffEEvT2_20rocsparse_direction_NS_24const_host_device_scalarIT0_EES1_PKS1_PKT1_SA_S7_PKT3_PKT4_S5_PT5_21rocsparse_index_base_b.uses_flat_scratch, 0
	.set _ZN9rocsparseL20bsrxmvn_17_32_kernelILj22EfllfffEEvT2_20rocsparse_direction_NS_24const_host_device_scalarIT0_EES1_PKS1_PKT1_SA_S7_PKT3_PKT4_S5_PT5_21rocsparse_index_base_b.has_dyn_sized_stack, 0
	.set _ZN9rocsparseL20bsrxmvn_17_32_kernelILj22EfllfffEEvT2_20rocsparse_direction_NS_24const_host_device_scalarIT0_EES1_PKS1_PKT1_SA_S7_PKT3_PKT4_S5_PT5_21rocsparse_index_base_b.has_recursion, 0
	.set _ZN9rocsparseL20bsrxmvn_17_32_kernelILj22EfllfffEEvT2_20rocsparse_direction_NS_24const_host_device_scalarIT0_EES1_PKS1_PKT1_SA_S7_PKT3_PKT4_S5_PT5_21rocsparse_index_base_b.has_indirect_call, 0
	.section	.AMDGPU.csdata,"",@progbits
; Kernel info:
; codeLenInByte = 1312
; TotalNumSgprs: 30
; NumVgprs: 14
; ScratchSize: 0
; MemoryBound: 0
; FloatMode: 240
; IeeeMode: 1
; LDSByteSize: 1936 bytes/workgroup (compile time only)
; SGPRBlocks: 3
; VGPRBlocks: 3
; NumSGPRsForWavesPerEU: 30
; NumVGPRsForWavesPerEU: 14
; Occupancy: 10
; WaveLimiterHint : 1
; COMPUTE_PGM_RSRC2:SCRATCH_EN: 0
; COMPUTE_PGM_RSRC2:USER_SGPR: 6
; COMPUTE_PGM_RSRC2:TRAP_HANDLER: 0
; COMPUTE_PGM_RSRC2:TGID_X_EN: 1
; COMPUTE_PGM_RSRC2:TGID_Y_EN: 0
; COMPUTE_PGM_RSRC2:TGID_Z_EN: 0
; COMPUTE_PGM_RSRC2:TIDIG_COMP_CNT: 0
	.section	.text._ZN9rocsparseL20bsrxmvn_17_32_kernelILj23EfllfffEEvT2_20rocsparse_direction_NS_24const_host_device_scalarIT0_EES1_PKS1_PKT1_SA_S7_PKT3_PKT4_S5_PT5_21rocsparse_index_base_b,"axG",@progbits,_ZN9rocsparseL20bsrxmvn_17_32_kernelILj23EfllfffEEvT2_20rocsparse_direction_NS_24const_host_device_scalarIT0_EES1_PKS1_PKT1_SA_S7_PKT3_PKT4_S5_PT5_21rocsparse_index_base_b,comdat
	.globl	_ZN9rocsparseL20bsrxmvn_17_32_kernelILj23EfllfffEEvT2_20rocsparse_direction_NS_24const_host_device_scalarIT0_EES1_PKS1_PKT1_SA_S7_PKT3_PKT4_S5_PT5_21rocsparse_index_base_b ; -- Begin function _ZN9rocsparseL20bsrxmvn_17_32_kernelILj23EfllfffEEvT2_20rocsparse_direction_NS_24const_host_device_scalarIT0_EES1_PKS1_PKT1_SA_S7_PKT3_PKT4_S5_PT5_21rocsparse_index_base_b
	.p2align	8
	.type	_ZN9rocsparseL20bsrxmvn_17_32_kernelILj23EfllfffEEvT2_20rocsparse_direction_NS_24const_host_device_scalarIT0_EES1_PKS1_PKT1_SA_S7_PKT3_PKT4_S5_PT5_21rocsparse_index_base_b,@function
_ZN9rocsparseL20bsrxmvn_17_32_kernelILj23EfllfffEEvT2_20rocsparse_direction_NS_24const_host_device_scalarIT0_EES1_PKS1_PKT1_SA_S7_PKT3_PKT4_S5_PT5_21rocsparse_index_base_b: ; @_ZN9rocsparseL20bsrxmvn_17_32_kernelILj23EfllfffEEvT2_20rocsparse_direction_NS_24const_host_device_scalarIT0_EES1_PKS1_PKT1_SA_S7_PKT3_PKT4_S5_PT5_21rocsparse_index_base_b
; %bb.0:
	s_load_dwordx2 s[18:19], s[4:5], 0x60
	s_load_dwordx2 s[14:15], s[4:5], 0x10
	;; [unrolled: 1-line block ×3, first 2 shown]
	s_waitcnt lgkmcnt(0)
	s_bitcmp1_b32 s19, 0
	s_cselect_b64 s[2:3], -1, 0
	s_xor_b64 s[0:1], s[2:3], -1
	s_and_b64 vcc, exec, s[2:3]
	s_cbranch_vccnz .LBB134_2
; %bb.1:
	s_load_dword s14, s[14:15], 0x0
.LBB134_2:
	s_andn2_b64 vcc, exec, s[0:1]
	s_cbranch_vccnz .LBB134_4
; %bb.3:
	s_load_dword s12, s[12:13], 0x0
.LBB134_4:
	s_waitcnt lgkmcnt(0)
	v_cmp_neq_f32_e64 s[0:1], s14, 0
	v_cmp_neq_f32_e64 s[2:3], s12, 1.0
	s_or_b64 s[0:1], s[0:1], s[2:3]
	s_andn2_b64 vcc, exec, s[0:1]
	s_mov_b32 s7, 0
	s_cbranch_vccnz .LBB134_40
; %bb.5:
	s_load_dwordx4 s[0:3], s[4:5], 0x20
	s_load_dwordx2 s[8:9], s[4:5], 0x30
	s_waitcnt lgkmcnt(0)
	s_cmp_eq_u64 s[0:1], 0
	s_cbranch_scc1 .LBB134_7
; %bb.6:
	s_lshl_b64 s[6:7], s[6:7], 3
	s_add_u32 s0, s0, s6
	s_addc_u32 s1, s1, s7
	s_load_dwordx2 s[0:1], s[0:1], 0x0
	s_waitcnt lgkmcnt(0)
	s_sub_u32 s6, s0, s18
	s_subb_u32 s7, s1, 0
.LBB134_7:
	s_load_dword s10, s[4:5], 0x8
	s_load_dwordx2 s[16:17], s[4:5], 0x58
	v_mul_u32_u24_e32 v1, 0xb22, v0
	v_mov_b32_e32 v2, 23
	v_mul_lo_u16_sdwa v2, v1, v2 dst_sel:DWORD dst_unused:UNUSED_PAD src0_sel:WORD_1 src1_sel:DWORD
	s_waitcnt lgkmcnt(0)
	s_cmp_eq_u32 s10, 1
	s_cselect_b64 s[0:1], -1, 0
	s_cmp_lg_u32 s10, 1
	s_cselect_b64 s[20:21], -1, 0
	s_lshl_b64 s[10:11], s[6:7], 3
	s_add_u32 s24, s2, s10
	s_addc_u32 s25, s3, s11
	s_add_u32 s2, s24, 8
	s_addc_u32 s3, s25, 0
	;; [unrolled: 2-line block ×3, first 2 shown]
	s_cmp_eq_u64 s[8:9], 0
	s_cselect_b32 s9, s3, s11
	s_cselect_b32 s8, s2, s10
	s_load_dwordx2 s[2:3], s[8:9], 0x0
	s_load_dwordx2 s[22:23], s[24:25], 0x0
	v_sub_u16_e32 v10, v0, v2
	v_lshlrev_b32_e32 v9, 2, v0
	s_waitcnt lgkmcnt(0)
	v_mov_b32_e32 v2, s2
	v_mov_b32_e32 v3, s3
	v_cmp_ge_i64_e32 vcc, s[22:23], v[2:3]
	v_mov_b32_e32 v2, 0
	s_cbranch_vccnz .LBB134_12
; %bb.8:
	s_load_dwordx4 s[8:11], s[4:5], 0x38
	s_load_dwordx2 s[24:25], s[4:5], 0x48
	s_mov_b32 s4, 0xffff
	s_movk_i32 s5, 0x211
	v_and_b32_sdwa v1, s4, v1 dst_sel:DWORD dst_unused:UNUSED_PAD src0_sel:DWORD src1_sel:WORD_1
	s_sub_u32 s2, s2, s18
	v_subrev_u32_e32 v2, 23, v1
	v_cmp_gt_u32_e32 vcc, s5, v0
	s_subb_u32 s3, s3, 0
	v_cndmask_b32_e32 v1, v2, v1, vcc
	s_sub_u32 s4, s22, s18
	v_cndmask_b32_e64 v1, v10, v1, s[0:1]
	v_mov_b32_e32 v2, 0
	s_subb_u32 s5, s23, 0
	v_lshlrev_b64 v[3:4], 2, v[1:2]
	s_mul_i32 s0, s5, 0x844
	s_mul_hi_u32 s1, s4, 0x844
	s_add_i32 s1, s1, s0
	s_mul_i32 s0, s4, 0x844
	s_waitcnt lgkmcnt(0)
	v_mov_b32_e32 v1, s25
	v_add_co_u32_e32 v3, vcc, s24, v3
	s_add_u32 s0, s10, s0
	v_addc_co_u32_e32 v4, vcc, v1, v4, vcc
	s_addc_u32 s1, s11, s1
	v_mov_b32_e32 v1, s1
	v_add_co_u32_e32 v5, vcc, s0, v9
	v_addc_co_u32_e32 v6, vcc, 0, v1, vcc
	s_movk_i32 s0, 0x210
	v_cmp_lt_u32_e32 vcc, s0, v0
	v_cndmask_b32_e64 v1, 0, 1, vcc
	v_mov_b32_e32 v7, s23
	v_add_co_u32_e32 v8, vcc, s22, v1
	v_addc_co_u32_e32 v11, vcc, 0, v7, vcc
	v_subrev_co_u32_e32 v7, vcc, s18, v8
	v_subbrev_co_u32_e32 v8, vcc, 0, v11, vcc
	v_lshlrev_b64 v[7:8], 3, v[7:8]
	v_mov_b32_e32 v11, s9
	v_add_co_u32_e32 v7, vcc, s8, v7
	v_addc_co_u32_e32 v8, vcc, v11, v8, vcc
	s_movk_i32 s8, 0x5c
	s_branch .LBB134_10
.LBB134_9:                              ;   in Loop: Header=BB134_10 Depth=1
	s_or_b64 exec, exec, s[0:1]
	s_add_u32 s4, s4, 1
	v_mov_b32_e32 v12, s3
	s_addc_u32 s5, s5, 0
	v_mov_b32_e32 v11, s2
	v_cmp_lt_i64_e32 vcc, s[4:5], v[11:12]
	v_add_co_u32_e64 v7, s[0:1], 8, v7
	v_addc_co_u32_e64 v8, s[0:1], 0, v8, s[0:1]
	s_cbranch_vccz .LBB134_12
.LBB134_10:                             ; =>This Inner Loop Header: Depth=1
	v_mov_b32_e32 v12, s5
	v_add_co_u32_e32 v11, vcc, s4, v1
	v_addc_co_u32_e32 v12, vcc, 0, v12, vcc
	v_cmp_gt_i64_e32 vcc, s[2:3], v[11:12]
	s_and_saveexec_b64 s[0:1], vcc
	s_cbranch_execz .LBB134_9
; %bb.11:                               ;   in Loop: Header=BB134_10 Depth=1
	global_load_dwordx2 v[11:12], v[7:8], off
	s_waitcnt vmcnt(0)
	v_subrev_co_u32_e32 v11, vcc, s18, v11
	v_subbrev_co_u32_e32 v13, vcc, 0, v12, vcc
	v_mad_u64_u32 v[11:12], s[10:11], v11, s8, v[3:4]
	v_mad_u64_u32 v[12:13], s[10:11], v13, s8, v[12:13]
	global_load_dword v13, v[5:6], off
	s_nop 0
	global_load_dword v11, v[11:12], off
	v_add_co_u32_e32 v5, vcc, 0x844, v5
	v_addc_co_u32_e32 v6, vcc, 0, v6, vcc
	s_waitcnt vmcnt(0)
	v_fmac_f32_e32 v2, v13, v11
	s_branch .LBB134_9
.LBB134_12:
	s_and_b64 vcc, exec, s[20:21]
	ds_write_b32 v9, v2
	s_waitcnt lgkmcnt(0)
	s_barrier
	s_cbranch_vccz .LBB134_24
; %bb.13:
	v_cmp_gt_u16_e32 vcc, 7, v10
	s_and_saveexec_b64 s[0:1], vcc
	s_cbranch_execz .LBB134_15
; %bb.14:
	ds_read2_b32 v[3:4], v9 offset1:16
	s_waitcnt lgkmcnt(0)
	v_add_f32_e32 v1, v4, v3
	ds_write_b32 v9, v1
.LBB134_15:
	s_or_b64 exec, exec, s[0:1]
	v_cmp_gt_u16_e32 vcc, 8, v10
	s_waitcnt lgkmcnt(0)
	s_barrier
	s_and_saveexec_b64 s[0:1], vcc
	s_cbranch_execz .LBB134_17
; %bb.16:
	ds_read2_b32 v[3:4], v9 offset1:8
	s_waitcnt lgkmcnt(0)
	v_add_f32_e32 v1, v4, v3
	ds_write_b32 v9, v1
.LBB134_17:
	s_or_b64 exec, exec, s[0:1]
	v_cmp_gt_u16_e32 vcc, 4, v10
	s_waitcnt lgkmcnt(0)
	s_barrier
	;; [unrolled: 12-line block ×3, first 2 shown]
	s_and_saveexec_b64 s[0:1], vcc
	s_cbranch_execz .LBB134_21
; %bb.20:
	ds_read2_b32 v[3:4], v9 offset1:2
	s_waitcnt lgkmcnt(0)
	v_add_f32_e32 v1, v4, v3
	ds_write_b32 v9, v1
.LBB134_21:
	s_or_b64 exec, exec, s[0:1]
	v_cmp_gt_u32_e32 vcc, 23, v0
	v_mov_b32_e32 v1, v2
	s_waitcnt lgkmcnt(0)
	s_barrier
	s_and_saveexec_b64 s[0:1], vcc
	s_cbranch_execz .LBB134_23
; %bb.22:
	s_movk_i32 s2, 0x58
	v_mad_u32_u24 v1, v0, s2, v9
	ds_read2_b32 v[3:4], v1 offset1:1
	s_waitcnt lgkmcnt(0)
	v_add_f32_e32 v1, v3, v4
.LBB134_23:
	s_or_b64 exec, exec, s[0:1]
	s_branch .LBB134_36
.LBB134_24:
                                        ; implicit-def: $vgpr1
	s_cbranch_execz .LBB134_36
; %bb.25:
	s_movk_i32 s0, 0xa1
	v_cmp_gt_u32_e32 vcc, s0, v0
	s_and_saveexec_b64 s[0:1], vcc
	s_cbranch_execz .LBB134_27
; %bb.26:
	ds_read_b32 v1, v9 offset:1472
	ds_read_b32 v3, v9
	s_waitcnt lgkmcnt(0)
	v_add_f32_e32 v1, v1, v3
	ds_write_b32 v9, v1
.LBB134_27:
	s_or_b64 exec, exec, s[0:1]
	s_movk_i32 s0, 0xb8
	v_cmp_gt_u32_e32 vcc, s0, v0
	s_waitcnt lgkmcnt(0)
	s_barrier
	s_and_saveexec_b64 s[0:1], vcc
	s_cbranch_execz .LBB134_29
; %bb.28:
	ds_read2_b32 v[3:4], v9 offset1:184
	s_waitcnt lgkmcnt(0)
	v_add_f32_e32 v1, v4, v3
	ds_write_b32 v9, v1
.LBB134_29:
	s_or_b64 exec, exec, s[0:1]
	s_movk_i32 s0, 0x5c
	v_cmp_gt_u32_e32 vcc, s0, v0
	s_waitcnt lgkmcnt(0)
	s_barrier
	s_and_saveexec_b64 s[0:1], vcc
	s_cbranch_execz .LBB134_31
; %bb.30:
	ds_read2_b32 v[3:4], v9 offset1:92
	s_waitcnt lgkmcnt(0)
	v_add_f32_e32 v1, v4, v3
	ds_write_b32 v9, v1
.LBB134_31:
	s_or_b64 exec, exec, s[0:1]
	v_cmp_gt_u32_e32 vcc, 46, v0
	s_waitcnt lgkmcnt(0)
	s_barrier
	s_and_saveexec_b64 s[0:1], vcc
	s_cbranch_execz .LBB134_33
; %bb.32:
	ds_read2_b32 v[3:4], v9 offset1:46
	s_waitcnt lgkmcnt(0)
	v_add_f32_e32 v1, v4, v3
	ds_write_b32 v9, v1
.LBB134_33:
	s_or_b64 exec, exec, s[0:1]
	v_cmp_gt_u32_e32 vcc, 23, v0
	s_waitcnt lgkmcnt(0)
	s_and_saveexec_b64 s[0:1], vcc
	s_cbranch_execz .LBB134_35
; %bb.34:
	ds_read2_b32 v[1:2], v9 offset1:23
	s_waitcnt lgkmcnt(0)
	v_add_f32_e32 v2, v1, v2
.LBB134_35:
	s_or_b64 exec, exec, s[0:1]
	v_mov_b32_e32 v1, v2
.LBB134_36:
	v_cmp_gt_u32_e32 vcc, 23, v0
	s_and_saveexec_b64 s[0:1], vcc
	s_cbranch_execz .LBB134_40
; %bb.37:
	v_cmp_eq_f32_e64 s[0:1], s12, 0
	s_and_b64 vcc, exec, s[0:1]
	v_mul_f32_e32 v0, s14, v1
	s_mul_i32 s2, s7, 0x5c
	s_mul_hi_u32 s3, s6, 0x5c
	s_mul_i32 s4, s6, 0x5c
	s_cbranch_vccz .LBB134_41
; %bb.38:
	s_add_i32 s1, s3, s2
	s_add_u32 s0, s16, s4
	s_addc_u32 s1, s17, s1
	global_store_dword v9, v0, s[0:1]
	s_cbranch_execnz .LBB134_40
.LBB134_39:
	s_add_i32 s3, s3, s2
	s_add_u32 s0, s16, s4
	s_addc_u32 s1, s17, s3
	global_load_dword v1, v9, s[0:1]
	s_waitcnt vmcnt(0)
	v_fmac_f32_e32 v0, s12, v1
	global_store_dword v9, v0, s[0:1]
.LBB134_40:
	s_endpgm
.LBB134_41:
	s_branch .LBB134_39
	.section	.rodata,"a",@progbits
	.p2align	6, 0x0
	.amdhsa_kernel _ZN9rocsparseL20bsrxmvn_17_32_kernelILj23EfllfffEEvT2_20rocsparse_direction_NS_24const_host_device_scalarIT0_EES1_PKS1_PKT1_SA_S7_PKT3_PKT4_S5_PT5_21rocsparse_index_base_b
		.amdhsa_group_segment_fixed_size 2116
		.amdhsa_private_segment_fixed_size 0
		.amdhsa_kernarg_size 104
		.amdhsa_user_sgpr_count 6
		.amdhsa_user_sgpr_private_segment_buffer 1
		.amdhsa_user_sgpr_dispatch_ptr 0
		.amdhsa_user_sgpr_queue_ptr 0
		.amdhsa_user_sgpr_kernarg_segment_ptr 1
		.amdhsa_user_sgpr_dispatch_id 0
		.amdhsa_user_sgpr_flat_scratch_init 0
		.amdhsa_user_sgpr_private_segment_size 0
		.amdhsa_uses_dynamic_stack 0
		.amdhsa_system_sgpr_private_segment_wavefront_offset 0
		.amdhsa_system_sgpr_workgroup_id_x 1
		.amdhsa_system_sgpr_workgroup_id_y 0
		.amdhsa_system_sgpr_workgroup_id_z 0
		.amdhsa_system_sgpr_workgroup_info 0
		.amdhsa_system_vgpr_workitem_id 0
		.amdhsa_next_free_vgpr 25
		.amdhsa_next_free_sgpr 61
		.amdhsa_reserve_vcc 1
		.amdhsa_reserve_flat_scratch 0
		.amdhsa_float_round_mode_32 0
		.amdhsa_float_round_mode_16_64 0
		.amdhsa_float_denorm_mode_32 3
		.amdhsa_float_denorm_mode_16_64 3
		.amdhsa_dx10_clamp 1
		.amdhsa_ieee_mode 1
		.amdhsa_fp16_overflow 0
		.amdhsa_exception_fp_ieee_invalid_op 0
		.amdhsa_exception_fp_denorm_src 0
		.amdhsa_exception_fp_ieee_div_zero 0
		.amdhsa_exception_fp_ieee_overflow 0
		.amdhsa_exception_fp_ieee_underflow 0
		.amdhsa_exception_fp_ieee_inexact 0
		.amdhsa_exception_int_div_zero 0
	.end_amdhsa_kernel
	.section	.text._ZN9rocsparseL20bsrxmvn_17_32_kernelILj23EfllfffEEvT2_20rocsparse_direction_NS_24const_host_device_scalarIT0_EES1_PKS1_PKT1_SA_S7_PKT3_PKT4_S5_PT5_21rocsparse_index_base_b,"axG",@progbits,_ZN9rocsparseL20bsrxmvn_17_32_kernelILj23EfllfffEEvT2_20rocsparse_direction_NS_24const_host_device_scalarIT0_EES1_PKS1_PKT1_SA_S7_PKT3_PKT4_S5_PT5_21rocsparse_index_base_b,comdat
.Lfunc_end134:
	.size	_ZN9rocsparseL20bsrxmvn_17_32_kernelILj23EfllfffEEvT2_20rocsparse_direction_NS_24const_host_device_scalarIT0_EES1_PKS1_PKT1_SA_S7_PKT3_PKT4_S5_PT5_21rocsparse_index_base_b, .Lfunc_end134-_ZN9rocsparseL20bsrxmvn_17_32_kernelILj23EfllfffEEvT2_20rocsparse_direction_NS_24const_host_device_scalarIT0_EES1_PKS1_PKT1_SA_S7_PKT3_PKT4_S5_PT5_21rocsparse_index_base_b
                                        ; -- End function
	.set _ZN9rocsparseL20bsrxmvn_17_32_kernelILj23EfllfffEEvT2_20rocsparse_direction_NS_24const_host_device_scalarIT0_EES1_PKS1_PKT1_SA_S7_PKT3_PKT4_S5_PT5_21rocsparse_index_base_b.num_vgpr, 14
	.set _ZN9rocsparseL20bsrxmvn_17_32_kernelILj23EfllfffEEvT2_20rocsparse_direction_NS_24const_host_device_scalarIT0_EES1_PKS1_PKT1_SA_S7_PKT3_PKT4_S5_PT5_21rocsparse_index_base_b.num_agpr, 0
	.set _ZN9rocsparseL20bsrxmvn_17_32_kernelILj23EfllfffEEvT2_20rocsparse_direction_NS_24const_host_device_scalarIT0_EES1_PKS1_PKT1_SA_S7_PKT3_PKT4_S5_PT5_21rocsparse_index_base_b.numbered_sgpr, 26
	.set _ZN9rocsparseL20bsrxmvn_17_32_kernelILj23EfllfffEEvT2_20rocsparse_direction_NS_24const_host_device_scalarIT0_EES1_PKS1_PKT1_SA_S7_PKT3_PKT4_S5_PT5_21rocsparse_index_base_b.num_named_barrier, 0
	.set _ZN9rocsparseL20bsrxmvn_17_32_kernelILj23EfllfffEEvT2_20rocsparse_direction_NS_24const_host_device_scalarIT0_EES1_PKS1_PKT1_SA_S7_PKT3_PKT4_S5_PT5_21rocsparse_index_base_b.private_seg_size, 0
	.set _ZN9rocsparseL20bsrxmvn_17_32_kernelILj23EfllfffEEvT2_20rocsparse_direction_NS_24const_host_device_scalarIT0_EES1_PKS1_PKT1_SA_S7_PKT3_PKT4_S5_PT5_21rocsparse_index_base_b.uses_vcc, 1
	.set _ZN9rocsparseL20bsrxmvn_17_32_kernelILj23EfllfffEEvT2_20rocsparse_direction_NS_24const_host_device_scalarIT0_EES1_PKS1_PKT1_SA_S7_PKT3_PKT4_S5_PT5_21rocsparse_index_base_b.uses_flat_scratch, 0
	.set _ZN9rocsparseL20bsrxmvn_17_32_kernelILj23EfllfffEEvT2_20rocsparse_direction_NS_24const_host_device_scalarIT0_EES1_PKS1_PKT1_SA_S7_PKT3_PKT4_S5_PT5_21rocsparse_index_base_b.has_dyn_sized_stack, 0
	.set _ZN9rocsparseL20bsrxmvn_17_32_kernelILj23EfllfffEEvT2_20rocsparse_direction_NS_24const_host_device_scalarIT0_EES1_PKS1_PKT1_SA_S7_PKT3_PKT4_S5_PT5_21rocsparse_index_base_b.has_recursion, 0
	.set _ZN9rocsparseL20bsrxmvn_17_32_kernelILj23EfllfffEEvT2_20rocsparse_direction_NS_24const_host_device_scalarIT0_EES1_PKS1_PKT1_SA_S7_PKT3_PKT4_S5_PT5_21rocsparse_index_base_b.has_indirect_call, 0
	.section	.AMDGPU.csdata,"",@progbits
; Kernel info:
; codeLenInByte = 1312
; TotalNumSgprs: 30
; NumVgprs: 14
; ScratchSize: 0
; MemoryBound: 0
; FloatMode: 240
; IeeeMode: 1
; LDSByteSize: 2116 bytes/workgroup (compile time only)
; SGPRBlocks: 8
; VGPRBlocks: 6
; NumSGPRsForWavesPerEU: 65
; NumVGPRsForWavesPerEU: 25
; Occupancy: 9
; WaveLimiterHint : 1
; COMPUTE_PGM_RSRC2:SCRATCH_EN: 0
; COMPUTE_PGM_RSRC2:USER_SGPR: 6
; COMPUTE_PGM_RSRC2:TRAP_HANDLER: 0
; COMPUTE_PGM_RSRC2:TGID_X_EN: 1
; COMPUTE_PGM_RSRC2:TGID_Y_EN: 0
; COMPUTE_PGM_RSRC2:TGID_Z_EN: 0
; COMPUTE_PGM_RSRC2:TIDIG_COMP_CNT: 0
	.section	.text._ZN9rocsparseL20bsrxmvn_17_32_kernelILj24EfllfffEEvT2_20rocsparse_direction_NS_24const_host_device_scalarIT0_EES1_PKS1_PKT1_SA_S7_PKT3_PKT4_S5_PT5_21rocsparse_index_base_b,"axG",@progbits,_ZN9rocsparseL20bsrxmvn_17_32_kernelILj24EfllfffEEvT2_20rocsparse_direction_NS_24const_host_device_scalarIT0_EES1_PKS1_PKT1_SA_S7_PKT3_PKT4_S5_PT5_21rocsparse_index_base_b,comdat
	.globl	_ZN9rocsparseL20bsrxmvn_17_32_kernelILj24EfllfffEEvT2_20rocsparse_direction_NS_24const_host_device_scalarIT0_EES1_PKS1_PKT1_SA_S7_PKT3_PKT4_S5_PT5_21rocsparse_index_base_b ; -- Begin function _ZN9rocsparseL20bsrxmvn_17_32_kernelILj24EfllfffEEvT2_20rocsparse_direction_NS_24const_host_device_scalarIT0_EES1_PKS1_PKT1_SA_S7_PKT3_PKT4_S5_PT5_21rocsparse_index_base_b
	.p2align	8
	.type	_ZN9rocsparseL20bsrxmvn_17_32_kernelILj24EfllfffEEvT2_20rocsparse_direction_NS_24const_host_device_scalarIT0_EES1_PKS1_PKT1_SA_S7_PKT3_PKT4_S5_PT5_21rocsparse_index_base_b,@function
_ZN9rocsparseL20bsrxmvn_17_32_kernelILj24EfllfffEEvT2_20rocsparse_direction_NS_24const_host_device_scalarIT0_EES1_PKS1_PKT1_SA_S7_PKT3_PKT4_S5_PT5_21rocsparse_index_base_b: ; @_ZN9rocsparseL20bsrxmvn_17_32_kernelILj24EfllfffEEvT2_20rocsparse_direction_NS_24const_host_device_scalarIT0_EES1_PKS1_PKT1_SA_S7_PKT3_PKT4_S5_PT5_21rocsparse_index_base_b
; %bb.0:
	s_load_dwordx2 s[18:19], s[4:5], 0x60
	s_load_dwordx2 s[14:15], s[4:5], 0x10
	;; [unrolled: 1-line block ×3, first 2 shown]
	s_waitcnt lgkmcnt(0)
	s_bitcmp1_b32 s19, 0
	s_cselect_b64 s[2:3], -1, 0
	s_xor_b64 s[0:1], s[2:3], -1
	s_and_b64 vcc, exec, s[2:3]
	s_cbranch_vccnz .LBB135_2
; %bb.1:
	s_load_dword s14, s[14:15], 0x0
.LBB135_2:
	s_andn2_b64 vcc, exec, s[0:1]
	s_cbranch_vccnz .LBB135_4
; %bb.3:
	s_load_dword s12, s[12:13], 0x0
.LBB135_4:
	s_waitcnt lgkmcnt(0)
	v_cmp_neq_f32_e64 s[0:1], s14, 0
	v_cmp_neq_f32_e64 s[2:3], s12, 1.0
	s_or_b64 s[0:1], s[0:1], s[2:3]
	s_andn2_b64 vcc, exec, s[0:1]
	s_mov_b32 s7, 0
	s_cbranch_vccnz .LBB135_40
; %bb.5:
	s_load_dwordx4 s[0:3], s[4:5], 0x20
	s_load_dwordx2 s[8:9], s[4:5], 0x30
	s_waitcnt lgkmcnt(0)
	s_cmp_eq_u64 s[0:1], 0
	s_cbranch_scc1 .LBB135_7
; %bb.6:
	s_lshl_b64 s[6:7], s[6:7], 3
	s_add_u32 s0, s0, s6
	s_addc_u32 s1, s1, s7
	s_load_dwordx2 s[0:1], s[0:1], 0x0
	s_waitcnt lgkmcnt(0)
	s_sub_u32 s6, s0, s18
	s_subb_u32 s7, s1, 0
.LBB135_7:
	s_load_dword s10, s[4:5], 0x8
	s_load_dwordx2 s[16:17], s[4:5], 0x58
	v_mul_u32_u24_e32 v1, 0xaab, v0
	v_mov_b32_e32 v2, 24
	v_mul_lo_u16_sdwa v2, v1, v2 dst_sel:DWORD dst_unused:UNUSED_PAD src0_sel:WORD_1 src1_sel:DWORD
	s_waitcnt lgkmcnt(0)
	s_cmp_eq_u32 s10, 1
	s_cselect_b64 s[0:1], -1, 0
	s_cmp_lg_u32 s10, 1
	s_cselect_b64 s[20:21], -1, 0
	s_lshl_b64 s[10:11], s[6:7], 3
	s_add_u32 s24, s2, s10
	s_addc_u32 s25, s3, s11
	s_add_u32 s2, s24, 8
	s_addc_u32 s3, s25, 0
	;; [unrolled: 2-line block ×3, first 2 shown]
	s_cmp_eq_u64 s[8:9], 0
	s_cselect_b32 s9, s3, s11
	s_cselect_b32 s8, s2, s10
	s_load_dwordx2 s[2:3], s[8:9], 0x0
	s_load_dwordx2 s[22:23], s[24:25], 0x0
	v_sub_u16_e32 v10, v0, v2
	v_lshlrev_b32_e32 v9, 2, v0
	s_waitcnt lgkmcnt(0)
	v_mov_b32_e32 v2, s2
	v_mov_b32_e32 v3, s3
	v_cmp_ge_i64_e32 vcc, s[22:23], v[2:3]
	v_mov_b32_e32 v2, 0
	s_cbranch_vccnz .LBB135_12
; %bb.8:
	s_load_dwordx4 s[8:11], s[4:5], 0x38
	s_load_dwordx2 s[24:25], s[4:5], 0x48
	s_mov_b32 s4, 0xffff
	s_movk_i32 s5, 0x240
	v_and_b32_sdwa v1, s4, v1 dst_sel:DWORD dst_unused:UNUSED_PAD src0_sel:DWORD src1_sel:WORD_1
	s_sub_u32 s2, s2, s18
	v_subrev_u32_e32 v2, 24, v1
	v_cmp_gt_u32_e32 vcc, s5, v0
	s_subb_u32 s3, s3, 0
	v_cndmask_b32_e32 v1, v2, v1, vcc
	s_sub_u32 s4, s22, s18
	v_cndmask_b32_e64 v1, v10, v1, s[0:1]
	v_mov_b32_e32 v2, 0
	s_subb_u32 s5, s23, 0
	v_lshlrev_b64 v[3:4], 2, v[1:2]
	s_mul_i32 s0, s5, 0x900
	s_mul_hi_u32 s1, s4, 0x900
	s_add_i32 s1, s1, s0
	s_mul_i32 s0, s4, 0x900
	s_waitcnt lgkmcnt(0)
	v_mov_b32_e32 v1, s25
	v_add_co_u32_e32 v3, vcc, s24, v3
	s_add_u32 s0, s10, s0
	v_addc_co_u32_e32 v4, vcc, v1, v4, vcc
	s_addc_u32 s1, s11, s1
	v_mov_b32_e32 v1, s1
	v_add_co_u32_e32 v5, vcc, s0, v9
	v_addc_co_u32_e32 v6, vcc, 0, v1, vcc
	s_movk_i32 s0, 0x23f
	v_cmp_lt_u32_e32 vcc, s0, v0
	v_cndmask_b32_e64 v1, 0, 1, vcc
	v_mov_b32_e32 v7, s23
	v_add_co_u32_e32 v8, vcc, s22, v1
	v_addc_co_u32_e32 v11, vcc, 0, v7, vcc
	v_subrev_co_u32_e32 v7, vcc, s18, v8
	v_subbrev_co_u32_e32 v8, vcc, 0, v11, vcc
	v_lshlrev_b64 v[7:8], 3, v[7:8]
	v_mov_b32_e32 v11, s9
	v_add_co_u32_e32 v7, vcc, s8, v7
	v_addc_co_u32_e32 v8, vcc, v11, v8, vcc
	s_movk_i32 s8, 0x60
	s_branch .LBB135_10
.LBB135_9:                              ;   in Loop: Header=BB135_10 Depth=1
	s_or_b64 exec, exec, s[0:1]
	s_add_u32 s4, s4, 1
	v_mov_b32_e32 v12, s3
	s_addc_u32 s5, s5, 0
	v_mov_b32_e32 v11, s2
	v_cmp_lt_i64_e32 vcc, s[4:5], v[11:12]
	v_add_co_u32_e64 v7, s[0:1], 8, v7
	v_addc_co_u32_e64 v8, s[0:1], 0, v8, s[0:1]
	s_cbranch_vccz .LBB135_12
.LBB135_10:                             ; =>This Inner Loop Header: Depth=1
	v_mov_b32_e32 v12, s5
	v_add_co_u32_e32 v11, vcc, s4, v1
	v_addc_co_u32_e32 v12, vcc, 0, v12, vcc
	v_cmp_gt_i64_e32 vcc, s[2:3], v[11:12]
	s_and_saveexec_b64 s[0:1], vcc
	s_cbranch_execz .LBB135_9
; %bb.11:                               ;   in Loop: Header=BB135_10 Depth=1
	global_load_dwordx2 v[11:12], v[7:8], off
	s_waitcnt vmcnt(0)
	v_subrev_co_u32_e32 v11, vcc, s18, v11
	v_subbrev_co_u32_e32 v13, vcc, 0, v12, vcc
	v_mad_u64_u32 v[11:12], s[10:11], v11, s8, v[3:4]
	v_mad_u64_u32 v[12:13], s[10:11], v13, s8, v[12:13]
	global_load_dword v13, v[5:6], off
	s_nop 0
	global_load_dword v11, v[11:12], off
	v_add_co_u32_e32 v5, vcc, 0x900, v5
	v_addc_co_u32_e32 v6, vcc, 0, v6, vcc
	s_waitcnt vmcnt(0)
	v_fmac_f32_e32 v2, v13, v11
	s_branch .LBB135_9
.LBB135_12:
	s_and_b64 vcc, exec, s[20:21]
	ds_write_b32 v9, v2
	s_waitcnt lgkmcnt(0)
	s_barrier
	s_cbranch_vccz .LBB135_24
; %bb.13:
	v_cmp_gt_u16_e32 vcc, 8, v10
	s_and_saveexec_b64 s[0:1], vcc
	s_cbranch_execz .LBB135_15
; %bb.14:
	ds_read2_b32 v[3:4], v9 offset1:16
	s_waitcnt lgkmcnt(0)
	v_add_f32_e32 v1, v4, v3
	ds_write_b32 v9, v1
.LBB135_15:
	s_or_b64 exec, exec, s[0:1]
	s_waitcnt lgkmcnt(0)
	s_barrier
	s_and_saveexec_b64 s[0:1], vcc
	s_cbranch_execz .LBB135_17
; %bb.16:
	ds_read2_b32 v[3:4], v9 offset1:8
	s_waitcnt lgkmcnt(0)
	v_add_f32_e32 v1, v4, v3
	ds_write_b32 v9, v1
.LBB135_17:
	s_or_b64 exec, exec, s[0:1]
	v_cmp_gt_u16_e32 vcc, 4, v10
	s_waitcnt lgkmcnt(0)
	s_barrier
	s_and_saveexec_b64 s[0:1], vcc
	s_cbranch_execz .LBB135_19
; %bb.18:
	ds_read2_b32 v[3:4], v9 offset1:4
	s_waitcnt lgkmcnt(0)
	v_add_f32_e32 v1, v4, v3
	ds_write_b32 v9, v1
.LBB135_19:
	s_or_b64 exec, exec, s[0:1]
	v_cmp_gt_u16_e32 vcc, 2, v10
	s_waitcnt lgkmcnt(0)
	s_barrier
	s_and_saveexec_b64 s[0:1], vcc
	s_cbranch_execz .LBB135_21
; %bb.20:
	ds_read2_b32 v[3:4], v9 offset1:2
	s_waitcnt lgkmcnt(0)
	v_add_f32_e32 v1, v4, v3
	ds_write_b32 v9, v1
.LBB135_21:
	s_or_b64 exec, exec, s[0:1]
	v_cmp_gt_u32_e32 vcc, 24, v0
	v_mov_b32_e32 v1, v2
	s_waitcnt lgkmcnt(0)
	s_barrier
	s_and_saveexec_b64 s[0:1], vcc
	s_cbranch_execz .LBB135_23
; %bb.22:
	s_movk_i32 s2, 0x5c
	v_mad_u32_u24 v1, v0, s2, v9
	ds_read_b64 v[3:4], v1
	s_waitcnt lgkmcnt(0)
	v_add_f32_e32 v1, v3, v4
.LBB135_23:
	s_or_b64 exec, exec, s[0:1]
	s_branch .LBB135_36
.LBB135_24:
                                        ; implicit-def: $vgpr1
	s_cbranch_execz .LBB135_36
; %bb.25:
	s_movk_i32 s0, 0xc0
	v_cmp_gt_u32_e32 vcc, s0, v0
	s_and_saveexec_b64 s[0:1], vcc
	s_cbranch_execz .LBB135_27
; %bb.26:
	ds_read2st64_b32 v[3:4], v9 offset1:6
	s_waitcnt lgkmcnt(0)
	v_add_f32_e32 v1, v4, v3
	ds_write_b32 v9, v1
.LBB135_27:
	s_or_b64 exec, exec, s[0:1]
	s_waitcnt lgkmcnt(0)
	s_barrier
	s_and_saveexec_b64 s[0:1], vcc
	s_cbranch_execz .LBB135_29
; %bb.28:
	ds_read2st64_b32 v[3:4], v9 offset1:3
	s_waitcnt lgkmcnt(0)
	v_add_f32_e32 v1, v4, v3
	ds_write_b32 v9, v1
.LBB135_29:
	s_or_b64 exec, exec, s[0:1]
	s_movk_i32 s0, 0x60
	v_cmp_gt_u32_e32 vcc, s0, v0
	s_waitcnt lgkmcnt(0)
	s_barrier
	s_and_saveexec_b64 s[0:1], vcc
	s_cbranch_execz .LBB135_31
; %bb.30:
	ds_read2_b32 v[3:4], v9 offset1:96
	s_waitcnt lgkmcnt(0)
	v_add_f32_e32 v1, v4, v3
	ds_write_b32 v9, v1
.LBB135_31:
	s_or_b64 exec, exec, s[0:1]
	v_cmp_gt_u32_e32 vcc, 48, v0
	s_waitcnt lgkmcnt(0)
	s_barrier
	s_and_saveexec_b64 s[0:1], vcc
	s_cbranch_execz .LBB135_33
; %bb.32:
	ds_read2_b32 v[3:4], v9 offset1:48
	s_waitcnt lgkmcnt(0)
	v_add_f32_e32 v1, v4, v3
	ds_write_b32 v9, v1
.LBB135_33:
	s_or_b64 exec, exec, s[0:1]
	v_cmp_gt_u32_e32 vcc, 24, v0
	s_waitcnt lgkmcnt(0)
	s_and_saveexec_b64 s[0:1], vcc
	s_cbranch_execz .LBB135_35
; %bb.34:
	ds_read2_b32 v[1:2], v9 offset1:24
	s_waitcnt lgkmcnt(0)
	v_add_f32_e32 v2, v1, v2
.LBB135_35:
	s_or_b64 exec, exec, s[0:1]
	v_mov_b32_e32 v1, v2
.LBB135_36:
	v_cmp_gt_u32_e32 vcc, 24, v0
	s_and_saveexec_b64 s[0:1], vcc
	s_cbranch_execz .LBB135_40
; %bb.37:
	v_cmp_eq_f32_e64 s[0:1], s12, 0
	s_and_b64 vcc, exec, s[0:1]
	v_mul_f32_e32 v0, s14, v1
	s_mul_i32 s2, s7, 0x60
	s_mul_hi_u32 s3, s6, 0x60
	s_mul_i32 s4, s6, 0x60
	s_cbranch_vccz .LBB135_41
; %bb.38:
	s_add_i32 s1, s3, s2
	s_add_u32 s0, s16, s4
	s_addc_u32 s1, s17, s1
	global_store_dword v9, v0, s[0:1]
	s_cbranch_execnz .LBB135_40
.LBB135_39:
	s_add_i32 s3, s3, s2
	s_add_u32 s0, s16, s4
	s_addc_u32 s1, s17, s3
	global_load_dword v1, v9, s[0:1]
	s_waitcnt vmcnt(0)
	v_fmac_f32_e32 v0, s12, v1
	global_store_dword v9, v0, s[0:1]
.LBB135_40:
	s_endpgm
.LBB135_41:
	s_branch .LBB135_39
	.section	.rodata,"a",@progbits
	.p2align	6, 0x0
	.amdhsa_kernel _ZN9rocsparseL20bsrxmvn_17_32_kernelILj24EfllfffEEvT2_20rocsparse_direction_NS_24const_host_device_scalarIT0_EES1_PKS1_PKT1_SA_S7_PKT3_PKT4_S5_PT5_21rocsparse_index_base_b
		.amdhsa_group_segment_fixed_size 2304
		.amdhsa_private_segment_fixed_size 0
		.amdhsa_kernarg_size 104
		.amdhsa_user_sgpr_count 6
		.amdhsa_user_sgpr_private_segment_buffer 1
		.amdhsa_user_sgpr_dispatch_ptr 0
		.amdhsa_user_sgpr_queue_ptr 0
		.amdhsa_user_sgpr_kernarg_segment_ptr 1
		.amdhsa_user_sgpr_dispatch_id 0
		.amdhsa_user_sgpr_flat_scratch_init 0
		.amdhsa_user_sgpr_private_segment_size 0
		.amdhsa_uses_dynamic_stack 0
		.amdhsa_system_sgpr_private_segment_wavefront_offset 0
		.amdhsa_system_sgpr_workgroup_id_x 1
		.amdhsa_system_sgpr_workgroup_id_y 0
		.amdhsa_system_sgpr_workgroup_id_z 0
		.amdhsa_system_sgpr_workgroup_info 0
		.amdhsa_system_vgpr_workitem_id 0
		.amdhsa_next_free_vgpr 25
		.amdhsa_next_free_sgpr 61
		.amdhsa_reserve_vcc 1
		.amdhsa_reserve_flat_scratch 0
		.amdhsa_float_round_mode_32 0
		.amdhsa_float_round_mode_16_64 0
		.amdhsa_float_denorm_mode_32 3
		.amdhsa_float_denorm_mode_16_64 3
		.amdhsa_dx10_clamp 1
		.amdhsa_ieee_mode 1
		.amdhsa_fp16_overflow 0
		.amdhsa_exception_fp_ieee_invalid_op 0
		.amdhsa_exception_fp_denorm_src 0
		.amdhsa_exception_fp_ieee_div_zero 0
		.amdhsa_exception_fp_ieee_overflow 0
		.amdhsa_exception_fp_ieee_underflow 0
		.amdhsa_exception_fp_ieee_inexact 0
		.amdhsa_exception_int_div_zero 0
	.end_amdhsa_kernel
	.section	.text._ZN9rocsparseL20bsrxmvn_17_32_kernelILj24EfllfffEEvT2_20rocsparse_direction_NS_24const_host_device_scalarIT0_EES1_PKS1_PKT1_SA_S7_PKT3_PKT4_S5_PT5_21rocsparse_index_base_b,"axG",@progbits,_ZN9rocsparseL20bsrxmvn_17_32_kernelILj24EfllfffEEvT2_20rocsparse_direction_NS_24const_host_device_scalarIT0_EES1_PKS1_PKT1_SA_S7_PKT3_PKT4_S5_PT5_21rocsparse_index_base_b,comdat
.Lfunc_end135:
	.size	_ZN9rocsparseL20bsrxmvn_17_32_kernelILj24EfllfffEEvT2_20rocsparse_direction_NS_24const_host_device_scalarIT0_EES1_PKS1_PKT1_SA_S7_PKT3_PKT4_S5_PT5_21rocsparse_index_base_b, .Lfunc_end135-_ZN9rocsparseL20bsrxmvn_17_32_kernelILj24EfllfffEEvT2_20rocsparse_direction_NS_24const_host_device_scalarIT0_EES1_PKS1_PKT1_SA_S7_PKT3_PKT4_S5_PT5_21rocsparse_index_base_b
                                        ; -- End function
	.set _ZN9rocsparseL20bsrxmvn_17_32_kernelILj24EfllfffEEvT2_20rocsparse_direction_NS_24const_host_device_scalarIT0_EES1_PKS1_PKT1_SA_S7_PKT3_PKT4_S5_PT5_21rocsparse_index_base_b.num_vgpr, 14
	.set _ZN9rocsparseL20bsrxmvn_17_32_kernelILj24EfllfffEEvT2_20rocsparse_direction_NS_24const_host_device_scalarIT0_EES1_PKS1_PKT1_SA_S7_PKT3_PKT4_S5_PT5_21rocsparse_index_base_b.num_agpr, 0
	.set _ZN9rocsparseL20bsrxmvn_17_32_kernelILj24EfllfffEEvT2_20rocsparse_direction_NS_24const_host_device_scalarIT0_EES1_PKS1_PKT1_SA_S7_PKT3_PKT4_S5_PT5_21rocsparse_index_base_b.numbered_sgpr, 26
	.set _ZN9rocsparseL20bsrxmvn_17_32_kernelILj24EfllfffEEvT2_20rocsparse_direction_NS_24const_host_device_scalarIT0_EES1_PKS1_PKT1_SA_S7_PKT3_PKT4_S5_PT5_21rocsparse_index_base_b.num_named_barrier, 0
	.set _ZN9rocsparseL20bsrxmvn_17_32_kernelILj24EfllfffEEvT2_20rocsparse_direction_NS_24const_host_device_scalarIT0_EES1_PKS1_PKT1_SA_S7_PKT3_PKT4_S5_PT5_21rocsparse_index_base_b.private_seg_size, 0
	.set _ZN9rocsparseL20bsrxmvn_17_32_kernelILj24EfllfffEEvT2_20rocsparse_direction_NS_24const_host_device_scalarIT0_EES1_PKS1_PKT1_SA_S7_PKT3_PKT4_S5_PT5_21rocsparse_index_base_b.uses_vcc, 1
	.set _ZN9rocsparseL20bsrxmvn_17_32_kernelILj24EfllfffEEvT2_20rocsparse_direction_NS_24const_host_device_scalarIT0_EES1_PKS1_PKT1_SA_S7_PKT3_PKT4_S5_PT5_21rocsparse_index_base_b.uses_flat_scratch, 0
	.set _ZN9rocsparseL20bsrxmvn_17_32_kernelILj24EfllfffEEvT2_20rocsparse_direction_NS_24const_host_device_scalarIT0_EES1_PKS1_PKT1_SA_S7_PKT3_PKT4_S5_PT5_21rocsparse_index_base_b.has_dyn_sized_stack, 0
	.set _ZN9rocsparseL20bsrxmvn_17_32_kernelILj24EfllfffEEvT2_20rocsparse_direction_NS_24const_host_device_scalarIT0_EES1_PKS1_PKT1_SA_S7_PKT3_PKT4_S5_PT5_21rocsparse_index_base_b.has_recursion, 0
	.set _ZN9rocsparseL20bsrxmvn_17_32_kernelILj24EfllfffEEvT2_20rocsparse_direction_NS_24const_host_device_scalarIT0_EES1_PKS1_PKT1_SA_S7_PKT3_PKT4_S5_PT5_21rocsparse_index_base_b.has_indirect_call, 0
	.section	.AMDGPU.csdata,"",@progbits
; Kernel info:
; codeLenInByte = 1292
; TotalNumSgprs: 30
; NumVgprs: 14
; ScratchSize: 0
; MemoryBound: 0
; FloatMode: 240
; IeeeMode: 1
; LDSByteSize: 2304 bytes/workgroup (compile time only)
; SGPRBlocks: 8
; VGPRBlocks: 6
; NumSGPRsForWavesPerEU: 65
; NumVGPRsForWavesPerEU: 25
; Occupancy: 9
; WaveLimiterHint : 1
; COMPUTE_PGM_RSRC2:SCRATCH_EN: 0
; COMPUTE_PGM_RSRC2:USER_SGPR: 6
; COMPUTE_PGM_RSRC2:TRAP_HANDLER: 0
; COMPUTE_PGM_RSRC2:TGID_X_EN: 1
; COMPUTE_PGM_RSRC2:TGID_Y_EN: 0
; COMPUTE_PGM_RSRC2:TGID_Z_EN: 0
; COMPUTE_PGM_RSRC2:TIDIG_COMP_CNT: 0
	.section	.text._ZN9rocsparseL20bsrxmvn_17_32_kernelILj25EfllfffEEvT2_20rocsparse_direction_NS_24const_host_device_scalarIT0_EES1_PKS1_PKT1_SA_S7_PKT3_PKT4_S5_PT5_21rocsparse_index_base_b,"axG",@progbits,_ZN9rocsparseL20bsrxmvn_17_32_kernelILj25EfllfffEEvT2_20rocsparse_direction_NS_24const_host_device_scalarIT0_EES1_PKS1_PKT1_SA_S7_PKT3_PKT4_S5_PT5_21rocsparse_index_base_b,comdat
	.globl	_ZN9rocsparseL20bsrxmvn_17_32_kernelILj25EfllfffEEvT2_20rocsparse_direction_NS_24const_host_device_scalarIT0_EES1_PKS1_PKT1_SA_S7_PKT3_PKT4_S5_PT5_21rocsparse_index_base_b ; -- Begin function _ZN9rocsparseL20bsrxmvn_17_32_kernelILj25EfllfffEEvT2_20rocsparse_direction_NS_24const_host_device_scalarIT0_EES1_PKS1_PKT1_SA_S7_PKT3_PKT4_S5_PT5_21rocsparse_index_base_b
	.p2align	8
	.type	_ZN9rocsparseL20bsrxmvn_17_32_kernelILj25EfllfffEEvT2_20rocsparse_direction_NS_24const_host_device_scalarIT0_EES1_PKS1_PKT1_SA_S7_PKT3_PKT4_S5_PT5_21rocsparse_index_base_b,@function
_ZN9rocsparseL20bsrxmvn_17_32_kernelILj25EfllfffEEvT2_20rocsparse_direction_NS_24const_host_device_scalarIT0_EES1_PKS1_PKT1_SA_S7_PKT3_PKT4_S5_PT5_21rocsparse_index_base_b: ; @_ZN9rocsparseL20bsrxmvn_17_32_kernelILj25EfllfffEEvT2_20rocsparse_direction_NS_24const_host_device_scalarIT0_EES1_PKS1_PKT1_SA_S7_PKT3_PKT4_S5_PT5_21rocsparse_index_base_b
; %bb.0:
	s_load_dwordx2 s[18:19], s[4:5], 0x60
	s_load_dwordx2 s[14:15], s[4:5], 0x10
	;; [unrolled: 1-line block ×3, first 2 shown]
	s_waitcnt lgkmcnt(0)
	s_bitcmp1_b32 s19, 0
	s_cselect_b64 s[2:3], -1, 0
	s_xor_b64 s[0:1], s[2:3], -1
	s_and_b64 vcc, exec, s[2:3]
	s_cbranch_vccnz .LBB136_2
; %bb.1:
	s_load_dword s14, s[14:15], 0x0
.LBB136_2:
	s_andn2_b64 vcc, exec, s[0:1]
	s_cbranch_vccnz .LBB136_4
; %bb.3:
	s_load_dword s12, s[12:13], 0x0
.LBB136_4:
	s_waitcnt lgkmcnt(0)
	v_cmp_neq_f32_e64 s[0:1], s14, 0
	v_cmp_neq_f32_e64 s[2:3], s12, 1.0
	s_or_b64 s[0:1], s[0:1], s[2:3]
	s_andn2_b64 vcc, exec, s[0:1]
	s_mov_b32 s7, 0
	s_cbranch_vccnz .LBB136_40
; %bb.5:
	s_load_dwordx4 s[0:3], s[4:5], 0x20
	s_load_dwordx2 s[8:9], s[4:5], 0x30
	s_waitcnt lgkmcnt(0)
	s_cmp_eq_u64 s[0:1], 0
	s_cbranch_scc1 .LBB136_7
; %bb.6:
	s_lshl_b64 s[6:7], s[6:7], 3
	s_add_u32 s0, s0, s6
	s_addc_u32 s1, s1, s7
	s_load_dwordx2 s[0:1], s[0:1], 0x0
	s_waitcnt lgkmcnt(0)
	s_sub_u32 s6, s0, s18
	s_subb_u32 s7, s1, 0
.LBB136_7:
	s_load_dword s10, s[4:5], 0x8
	s_load_dwordx2 s[16:17], s[4:5], 0x58
	v_mul_u32_u24_e32 v1, 0xa3e, v0
	v_mov_b32_e32 v2, 25
	v_mul_lo_u16_sdwa v2, v1, v2 dst_sel:DWORD dst_unused:UNUSED_PAD src0_sel:WORD_1 src1_sel:DWORD
	s_waitcnt lgkmcnt(0)
	s_cmp_eq_u32 s10, 1
	s_cselect_b64 s[0:1], -1, 0
	s_cmp_lg_u32 s10, 1
	s_cselect_b64 s[20:21], -1, 0
	s_lshl_b64 s[10:11], s[6:7], 3
	s_add_u32 s24, s2, s10
	s_addc_u32 s25, s3, s11
	s_add_u32 s2, s24, 8
	s_addc_u32 s3, s25, 0
	;; [unrolled: 2-line block ×3, first 2 shown]
	s_cmp_eq_u64 s[8:9], 0
	s_cselect_b32 s9, s3, s11
	s_cselect_b32 s8, s2, s10
	s_load_dwordx2 s[2:3], s[8:9], 0x0
	s_load_dwordx2 s[22:23], s[24:25], 0x0
	v_sub_u16_e32 v12, v0, v2
	v_lshlrev_b32_e32 v11, 2, v0
	s_waitcnt lgkmcnt(0)
	v_mov_b32_e32 v2, s2
	v_mov_b32_e32 v3, s3
	v_cmp_ge_i64_e32 vcc, s[22:23], v[2:3]
	v_mov_b32_e32 v2, 0
	s_cbranch_vccnz .LBB136_12
; %bb.8:
	s_load_dwordx4 s[8:11], s[4:5], 0x38
	s_load_dwordx2 s[24:25], s[4:5], 0x48
	s_mov_b32 s4, 0xffff
	s_movk_i32 s5, 0x271
	v_and_b32_sdwa v1, s4, v1 dst_sel:DWORD dst_unused:UNUSED_PAD src0_sel:DWORD src1_sel:WORD_1
	s_sub_u32 s2, s2, s18
	v_subrev_u32_e32 v2, 25, v1
	v_cmp_gt_u32_e32 vcc, s5, v0
	s_subb_u32 s3, s3, 0
	v_cndmask_b32_e32 v1, v2, v1, vcc
	s_sub_u32 s4, s22, s18
	v_cndmask_b32_e64 v1, v12, v1, s[0:1]
	v_mov_b32_e32 v2, 0
	s_subb_u32 s5, s23, 0
	v_lshlrev_b64 v[3:4], 2, v[1:2]
	s_mul_i32 s0, s5, 0x9c4
	s_mul_hi_u32 s1, s4, 0x9c4
	s_add_i32 s1, s1, s0
	s_mul_i32 s0, s4, 0x9c4
	s_waitcnt lgkmcnt(0)
	v_mov_b32_e32 v1, s25
	v_add_co_u32_e32 v3, vcc, s24, v3
	s_add_u32 s0, s10, s0
	v_addc_co_u32_e32 v4, vcc, v1, v4, vcc
	s_addc_u32 s1, s11, s1
	v_mov_b32_e32 v1, s1
	v_add_co_u32_e32 v5, vcc, s0, v11
	v_addc_co_u32_e32 v6, vcc, 0, v1, vcc
	s_movk_i32 s0, 0x270
	v_cmp_lt_u32_e32 vcc, s0, v0
	v_cndmask_b32_e64 v1, 0, 1, vcc
	v_mov_b32_e32 v7, s23
	v_add_co_u32_e32 v8, vcc, s22, v1
	v_addc_co_u32_e32 v9, vcc, 0, v7, vcc
	v_subrev_co_u32_e32 v7, vcc, s18, v8
	v_subbrev_co_u32_e32 v8, vcc, 0, v9, vcc
	v_lshlrev_b64 v[7:8], 3, v[7:8]
	v_mov_b32_e32 v9, s9
	v_add_co_u32_e32 v7, vcc, s8, v7
	v_addc_co_u32_e32 v8, vcc, v9, v8, vcc
	v_mov_b32_e32 v10, s3
	s_movk_i32 s8, 0x64
	v_mov_b32_e32 v9, s2
	s_branch .LBB136_10
.LBB136_9:                              ;   in Loop: Header=BB136_10 Depth=1
	s_or_b64 exec, exec, s[0:1]
	s_add_u32 s4, s4, 1
	s_addc_u32 s5, s5, 0
	v_cmp_lt_i64_e32 vcc, s[4:5], v[9:10]
	v_add_co_u32_e64 v7, s[0:1], 8, v7
	v_addc_co_u32_e64 v8, s[0:1], 0, v8, s[0:1]
	s_cbranch_vccz .LBB136_12
.LBB136_10:                             ; =>This Inner Loop Header: Depth=1
	v_mov_b32_e32 v14, s5
	v_add_co_u32_e32 v13, vcc, s4, v1
	v_addc_co_u32_e32 v14, vcc, 0, v14, vcc
	v_cmp_gt_i64_e32 vcc, s[2:3], v[13:14]
	s_and_saveexec_b64 s[0:1], vcc
	s_cbranch_execz .LBB136_9
; %bb.11:                               ;   in Loop: Header=BB136_10 Depth=1
	global_load_dwordx2 v[13:14], v[7:8], off
	s_waitcnt vmcnt(0)
	v_subrev_co_u32_e32 v13, vcc, s18, v13
	v_subbrev_co_u32_e32 v15, vcc, 0, v14, vcc
	v_mad_u64_u32 v[13:14], s[10:11], v13, s8, v[3:4]
	v_mad_u64_u32 v[14:15], s[10:11], v15, s8, v[14:15]
	global_load_dword v15, v[5:6], off
	s_nop 0
	global_load_dword v13, v[13:14], off
	v_add_co_u32_e32 v5, vcc, 0x9c4, v5
	v_addc_co_u32_e32 v6, vcc, 0, v6, vcc
	s_waitcnt vmcnt(0)
	v_fmac_f32_e32 v2, v15, v13
	s_branch .LBB136_9
.LBB136_12:
	s_and_b64 vcc, exec, s[20:21]
	ds_write_b32 v11, v2
	s_waitcnt lgkmcnt(0)
	s_barrier
	s_cbranch_vccz .LBB136_24
; %bb.13:
	v_cmp_gt_u16_e32 vcc, 9, v12
	s_and_saveexec_b64 s[0:1], vcc
	s_cbranch_execz .LBB136_15
; %bb.14:
	ds_read2_b32 v[3:4], v11 offset1:16
	s_waitcnt lgkmcnt(0)
	v_add_f32_e32 v1, v4, v3
	ds_write_b32 v11, v1
.LBB136_15:
	s_or_b64 exec, exec, s[0:1]
	v_cmp_gt_u16_e32 vcc, 8, v12
	s_waitcnt lgkmcnt(0)
	s_barrier
	s_and_saveexec_b64 s[0:1], vcc
	s_cbranch_execz .LBB136_17
; %bb.16:
	ds_read2_b32 v[3:4], v11 offset1:8
	s_waitcnt lgkmcnt(0)
	v_add_f32_e32 v1, v4, v3
	ds_write_b32 v11, v1
.LBB136_17:
	s_or_b64 exec, exec, s[0:1]
	v_cmp_gt_u16_e32 vcc, 4, v12
	s_waitcnt lgkmcnt(0)
	s_barrier
	;; [unrolled: 12-line block ×3, first 2 shown]
	s_and_saveexec_b64 s[0:1], vcc
	s_cbranch_execz .LBB136_21
; %bb.20:
	ds_read2_b32 v[3:4], v11 offset1:2
	s_waitcnt lgkmcnt(0)
	v_add_f32_e32 v1, v4, v3
	ds_write_b32 v11, v1
.LBB136_21:
	s_or_b64 exec, exec, s[0:1]
	v_cmp_gt_u32_e32 vcc, 25, v0
	v_mov_b32_e32 v1, v2
	s_waitcnt lgkmcnt(0)
	s_barrier
	s_and_saveexec_b64 s[0:1], vcc
	s_cbranch_execz .LBB136_23
; %bb.22:
	s_movk_i32 s2, 0x60
	v_mad_u32_u24 v1, v0, s2, v11
	ds_read2_b32 v[3:4], v1 offset1:1
	s_waitcnt lgkmcnt(0)
	v_add_f32_e32 v1, v3, v4
.LBB136_23:
	s_or_b64 exec, exec, s[0:1]
	s_branch .LBB136_36
.LBB136_24:
                                        ; implicit-def: $vgpr1
	s_cbranch_execz .LBB136_36
; %bb.25:
	s_movk_i32 s0, 0xe1
	v_cmp_gt_u32_e32 vcc, s0, v0
	s_and_saveexec_b64 s[0:1], vcc
	s_cbranch_execz .LBB136_27
; %bb.26:
	ds_read_b32 v1, v11 offset:1600
	ds_read_b32 v3, v11
	s_waitcnt lgkmcnt(0)
	v_add_f32_e32 v1, v1, v3
	ds_write_b32 v11, v1
.LBB136_27:
	s_or_b64 exec, exec, s[0:1]
	s_movk_i32 s0, 0xc8
	v_cmp_gt_u32_e32 vcc, s0, v0
	s_waitcnt lgkmcnt(0)
	s_barrier
	s_and_saveexec_b64 s[0:1], vcc
	s_cbranch_execz .LBB136_29
; %bb.28:
	ds_read2_b32 v[3:4], v11 offset1:200
	s_waitcnt lgkmcnt(0)
	v_add_f32_e32 v1, v4, v3
	ds_write_b32 v11, v1
.LBB136_29:
	s_or_b64 exec, exec, s[0:1]
	s_movk_i32 s0, 0x64
	v_cmp_gt_u32_e32 vcc, s0, v0
	s_waitcnt lgkmcnt(0)
	s_barrier
	s_and_saveexec_b64 s[0:1], vcc
	s_cbranch_execz .LBB136_31
; %bb.30:
	ds_read2_b32 v[3:4], v11 offset1:100
	s_waitcnt lgkmcnt(0)
	v_add_f32_e32 v1, v4, v3
	ds_write_b32 v11, v1
.LBB136_31:
	s_or_b64 exec, exec, s[0:1]
	v_cmp_gt_u32_e32 vcc, 50, v0
	s_waitcnt lgkmcnt(0)
	s_barrier
	s_and_saveexec_b64 s[0:1], vcc
	s_cbranch_execz .LBB136_33
; %bb.32:
	ds_read2_b32 v[3:4], v11 offset1:50
	s_waitcnt lgkmcnt(0)
	v_add_f32_e32 v1, v4, v3
	ds_write_b32 v11, v1
.LBB136_33:
	s_or_b64 exec, exec, s[0:1]
	v_cmp_gt_u32_e32 vcc, 25, v0
	s_waitcnt lgkmcnt(0)
	s_and_saveexec_b64 s[0:1], vcc
	s_cbranch_execz .LBB136_35
; %bb.34:
	ds_read2_b32 v[1:2], v11 offset1:25
	s_waitcnt lgkmcnt(0)
	v_add_f32_e32 v2, v1, v2
.LBB136_35:
	s_or_b64 exec, exec, s[0:1]
	v_mov_b32_e32 v1, v2
.LBB136_36:
	v_cmp_gt_u32_e32 vcc, 25, v0
	s_and_saveexec_b64 s[0:1], vcc
	s_cbranch_execz .LBB136_40
; %bb.37:
	v_cmp_eq_f32_e64 s[0:1], s12, 0
	s_and_b64 vcc, exec, s[0:1]
	v_mul_f32_e32 v0, s14, v1
	s_mul_i32 s2, s7, 0x64
	s_mul_hi_u32 s3, s6, 0x64
	s_mul_i32 s4, s6, 0x64
	s_cbranch_vccz .LBB136_41
; %bb.38:
	s_add_i32 s1, s3, s2
	s_add_u32 s0, s16, s4
	s_addc_u32 s1, s17, s1
	global_store_dword v11, v0, s[0:1]
	s_cbranch_execnz .LBB136_40
.LBB136_39:
	s_add_i32 s3, s3, s2
	s_add_u32 s0, s16, s4
	s_addc_u32 s1, s17, s3
	global_load_dword v1, v11, s[0:1]
	s_waitcnt vmcnt(0)
	v_fmac_f32_e32 v0, s12, v1
	global_store_dword v11, v0, s[0:1]
.LBB136_40:
	s_endpgm
.LBB136_41:
	s_branch .LBB136_39
	.section	.rodata,"a",@progbits
	.p2align	6, 0x0
	.amdhsa_kernel _ZN9rocsparseL20bsrxmvn_17_32_kernelILj25EfllfffEEvT2_20rocsparse_direction_NS_24const_host_device_scalarIT0_EES1_PKS1_PKT1_SA_S7_PKT3_PKT4_S5_PT5_21rocsparse_index_base_b
		.amdhsa_group_segment_fixed_size 2500
		.amdhsa_private_segment_fixed_size 0
		.amdhsa_kernarg_size 104
		.amdhsa_user_sgpr_count 6
		.amdhsa_user_sgpr_private_segment_buffer 1
		.amdhsa_user_sgpr_dispatch_ptr 0
		.amdhsa_user_sgpr_queue_ptr 0
		.amdhsa_user_sgpr_kernarg_segment_ptr 1
		.amdhsa_user_sgpr_dispatch_id 0
		.amdhsa_user_sgpr_flat_scratch_init 0
		.amdhsa_user_sgpr_private_segment_size 0
		.amdhsa_uses_dynamic_stack 0
		.amdhsa_system_sgpr_private_segment_wavefront_offset 0
		.amdhsa_system_sgpr_workgroup_id_x 1
		.amdhsa_system_sgpr_workgroup_id_y 0
		.amdhsa_system_sgpr_workgroup_id_z 0
		.amdhsa_system_sgpr_workgroup_info 0
		.amdhsa_system_vgpr_workitem_id 0
		.amdhsa_next_free_vgpr 16
		.amdhsa_next_free_sgpr 26
		.amdhsa_reserve_vcc 1
		.amdhsa_reserve_flat_scratch 0
		.amdhsa_float_round_mode_32 0
		.amdhsa_float_round_mode_16_64 0
		.amdhsa_float_denorm_mode_32 3
		.amdhsa_float_denorm_mode_16_64 3
		.amdhsa_dx10_clamp 1
		.amdhsa_ieee_mode 1
		.amdhsa_fp16_overflow 0
		.amdhsa_exception_fp_ieee_invalid_op 0
		.amdhsa_exception_fp_denorm_src 0
		.amdhsa_exception_fp_ieee_div_zero 0
		.amdhsa_exception_fp_ieee_overflow 0
		.amdhsa_exception_fp_ieee_underflow 0
		.amdhsa_exception_fp_ieee_inexact 0
		.amdhsa_exception_int_div_zero 0
	.end_amdhsa_kernel
	.section	.text._ZN9rocsparseL20bsrxmvn_17_32_kernelILj25EfllfffEEvT2_20rocsparse_direction_NS_24const_host_device_scalarIT0_EES1_PKS1_PKT1_SA_S7_PKT3_PKT4_S5_PT5_21rocsparse_index_base_b,"axG",@progbits,_ZN9rocsparseL20bsrxmvn_17_32_kernelILj25EfllfffEEvT2_20rocsparse_direction_NS_24const_host_device_scalarIT0_EES1_PKS1_PKT1_SA_S7_PKT3_PKT4_S5_PT5_21rocsparse_index_base_b,comdat
.Lfunc_end136:
	.size	_ZN9rocsparseL20bsrxmvn_17_32_kernelILj25EfllfffEEvT2_20rocsparse_direction_NS_24const_host_device_scalarIT0_EES1_PKS1_PKT1_SA_S7_PKT3_PKT4_S5_PT5_21rocsparse_index_base_b, .Lfunc_end136-_ZN9rocsparseL20bsrxmvn_17_32_kernelILj25EfllfffEEvT2_20rocsparse_direction_NS_24const_host_device_scalarIT0_EES1_PKS1_PKT1_SA_S7_PKT3_PKT4_S5_PT5_21rocsparse_index_base_b
                                        ; -- End function
	.set _ZN9rocsparseL20bsrxmvn_17_32_kernelILj25EfllfffEEvT2_20rocsparse_direction_NS_24const_host_device_scalarIT0_EES1_PKS1_PKT1_SA_S7_PKT3_PKT4_S5_PT5_21rocsparse_index_base_b.num_vgpr, 16
	.set _ZN9rocsparseL20bsrxmvn_17_32_kernelILj25EfllfffEEvT2_20rocsparse_direction_NS_24const_host_device_scalarIT0_EES1_PKS1_PKT1_SA_S7_PKT3_PKT4_S5_PT5_21rocsparse_index_base_b.num_agpr, 0
	.set _ZN9rocsparseL20bsrxmvn_17_32_kernelILj25EfllfffEEvT2_20rocsparse_direction_NS_24const_host_device_scalarIT0_EES1_PKS1_PKT1_SA_S7_PKT3_PKT4_S5_PT5_21rocsparse_index_base_b.numbered_sgpr, 26
	.set _ZN9rocsparseL20bsrxmvn_17_32_kernelILj25EfllfffEEvT2_20rocsparse_direction_NS_24const_host_device_scalarIT0_EES1_PKS1_PKT1_SA_S7_PKT3_PKT4_S5_PT5_21rocsparse_index_base_b.num_named_barrier, 0
	.set _ZN9rocsparseL20bsrxmvn_17_32_kernelILj25EfllfffEEvT2_20rocsparse_direction_NS_24const_host_device_scalarIT0_EES1_PKS1_PKT1_SA_S7_PKT3_PKT4_S5_PT5_21rocsparse_index_base_b.private_seg_size, 0
	.set _ZN9rocsparseL20bsrxmvn_17_32_kernelILj25EfllfffEEvT2_20rocsparse_direction_NS_24const_host_device_scalarIT0_EES1_PKS1_PKT1_SA_S7_PKT3_PKT4_S5_PT5_21rocsparse_index_base_b.uses_vcc, 1
	.set _ZN9rocsparseL20bsrxmvn_17_32_kernelILj25EfllfffEEvT2_20rocsparse_direction_NS_24const_host_device_scalarIT0_EES1_PKS1_PKT1_SA_S7_PKT3_PKT4_S5_PT5_21rocsparse_index_base_b.uses_flat_scratch, 0
	.set _ZN9rocsparseL20bsrxmvn_17_32_kernelILj25EfllfffEEvT2_20rocsparse_direction_NS_24const_host_device_scalarIT0_EES1_PKS1_PKT1_SA_S7_PKT3_PKT4_S5_PT5_21rocsparse_index_base_b.has_dyn_sized_stack, 0
	.set _ZN9rocsparseL20bsrxmvn_17_32_kernelILj25EfllfffEEvT2_20rocsparse_direction_NS_24const_host_device_scalarIT0_EES1_PKS1_PKT1_SA_S7_PKT3_PKT4_S5_PT5_21rocsparse_index_base_b.has_recursion, 0
	.set _ZN9rocsparseL20bsrxmvn_17_32_kernelILj25EfllfffEEvT2_20rocsparse_direction_NS_24const_host_device_scalarIT0_EES1_PKS1_PKT1_SA_S7_PKT3_PKT4_S5_PT5_21rocsparse_index_base_b.has_indirect_call, 0
	.section	.AMDGPU.csdata,"",@progbits
; Kernel info:
; codeLenInByte = 1312
; TotalNumSgprs: 30
; NumVgprs: 16
; ScratchSize: 0
; MemoryBound: 0
; FloatMode: 240
; IeeeMode: 1
; LDSByteSize: 2500 bytes/workgroup (compile time only)
; SGPRBlocks: 3
; VGPRBlocks: 3
; NumSGPRsForWavesPerEU: 30
; NumVGPRsForWavesPerEU: 16
; Occupancy: 10
; WaveLimiterHint : 1
; COMPUTE_PGM_RSRC2:SCRATCH_EN: 0
; COMPUTE_PGM_RSRC2:USER_SGPR: 6
; COMPUTE_PGM_RSRC2:TRAP_HANDLER: 0
; COMPUTE_PGM_RSRC2:TGID_X_EN: 1
; COMPUTE_PGM_RSRC2:TGID_Y_EN: 0
; COMPUTE_PGM_RSRC2:TGID_Z_EN: 0
; COMPUTE_PGM_RSRC2:TIDIG_COMP_CNT: 0
	.section	.text._ZN9rocsparseL20bsrxmvn_17_32_kernelILj26EfllfffEEvT2_20rocsparse_direction_NS_24const_host_device_scalarIT0_EES1_PKS1_PKT1_SA_S7_PKT3_PKT4_S5_PT5_21rocsparse_index_base_b,"axG",@progbits,_ZN9rocsparseL20bsrxmvn_17_32_kernelILj26EfllfffEEvT2_20rocsparse_direction_NS_24const_host_device_scalarIT0_EES1_PKS1_PKT1_SA_S7_PKT3_PKT4_S5_PT5_21rocsparse_index_base_b,comdat
	.globl	_ZN9rocsparseL20bsrxmvn_17_32_kernelILj26EfllfffEEvT2_20rocsparse_direction_NS_24const_host_device_scalarIT0_EES1_PKS1_PKT1_SA_S7_PKT3_PKT4_S5_PT5_21rocsparse_index_base_b ; -- Begin function _ZN9rocsparseL20bsrxmvn_17_32_kernelILj26EfllfffEEvT2_20rocsparse_direction_NS_24const_host_device_scalarIT0_EES1_PKS1_PKT1_SA_S7_PKT3_PKT4_S5_PT5_21rocsparse_index_base_b
	.p2align	8
	.type	_ZN9rocsparseL20bsrxmvn_17_32_kernelILj26EfllfffEEvT2_20rocsparse_direction_NS_24const_host_device_scalarIT0_EES1_PKS1_PKT1_SA_S7_PKT3_PKT4_S5_PT5_21rocsparse_index_base_b,@function
_ZN9rocsparseL20bsrxmvn_17_32_kernelILj26EfllfffEEvT2_20rocsparse_direction_NS_24const_host_device_scalarIT0_EES1_PKS1_PKT1_SA_S7_PKT3_PKT4_S5_PT5_21rocsparse_index_base_b: ; @_ZN9rocsparseL20bsrxmvn_17_32_kernelILj26EfllfffEEvT2_20rocsparse_direction_NS_24const_host_device_scalarIT0_EES1_PKS1_PKT1_SA_S7_PKT3_PKT4_S5_PT5_21rocsparse_index_base_b
; %bb.0:
	s_load_dwordx2 s[18:19], s[4:5], 0x60
	s_load_dwordx2 s[14:15], s[4:5], 0x10
	;; [unrolled: 1-line block ×3, first 2 shown]
	s_waitcnt lgkmcnt(0)
	s_bitcmp1_b32 s19, 0
	s_cselect_b64 s[2:3], -1, 0
	s_xor_b64 s[0:1], s[2:3], -1
	s_and_b64 vcc, exec, s[2:3]
	s_cbranch_vccnz .LBB137_2
; %bb.1:
	s_load_dword s14, s[14:15], 0x0
.LBB137_2:
	s_andn2_b64 vcc, exec, s[0:1]
	s_cbranch_vccnz .LBB137_4
; %bb.3:
	s_load_dword s12, s[12:13], 0x0
.LBB137_4:
	s_waitcnt lgkmcnt(0)
	v_cmp_neq_f32_e64 s[0:1], s14, 0
	v_cmp_neq_f32_e64 s[2:3], s12, 1.0
	s_or_b64 s[0:1], s[0:1], s[2:3]
	s_andn2_b64 vcc, exec, s[0:1]
	s_mov_b32 s7, 0
	s_cbranch_vccnz .LBB137_40
; %bb.5:
	s_load_dwordx4 s[0:3], s[4:5], 0x20
	s_load_dwordx2 s[8:9], s[4:5], 0x30
	s_waitcnt lgkmcnt(0)
	s_cmp_eq_u64 s[0:1], 0
	s_cbranch_scc1 .LBB137_7
; %bb.6:
	s_lshl_b64 s[6:7], s[6:7], 3
	s_add_u32 s0, s0, s6
	s_addc_u32 s1, s1, s7
	s_load_dwordx2 s[0:1], s[0:1], 0x0
	s_waitcnt lgkmcnt(0)
	s_sub_u32 s6, s0, s18
	s_subb_u32 s7, s1, 0
.LBB137_7:
	s_load_dword s10, s[4:5], 0x8
	s_load_dwordx2 s[16:17], s[4:5], 0x58
	v_mul_u32_u24_e32 v1, 0x9d9, v0
	v_mov_b32_e32 v2, 26
	v_mul_lo_u16_sdwa v2, v1, v2 dst_sel:DWORD dst_unused:UNUSED_PAD src0_sel:WORD_1 src1_sel:DWORD
	s_waitcnt lgkmcnt(0)
	s_cmp_eq_u32 s10, 1
	s_cselect_b64 s[0:1], -1, 0
	s_cmp_lg_u32 s10, 1
	s_cselect_b64 s[20:21], -1, 0
	s_lshl_b64 s[10:11], s[6:7], 3
	s_add_u32 s24, s2, s10
	s_addc_u32 s25, s3, s11
	s_add_u32 s2, s24, 8
	s_addc_u32 s3, s25, 0
	;; [unrolled: 2-line block ×3, first 2 shown]
	s_cmp_eq_u64 s[8:9], 0
	s_cselect_b32 s9, s3, s11
	s_cselect_b32 s8, s2, s10
	s_load_dwordx2 s[2:3], s[8:9], 0x0
	s_load_dwordx2 s[22:23], s[24:25], 0x0
	v_sub_u16_e32 v12, v0, v2
	v_lshlrev_b32_e32 v11, 2, v0
	s_waitcnt lgkmcnt(0)
	v_mov_b32_e32 v2, s2
	v_mov_b32_e32 v3, s3
	v_cmp_ge_i64_e32 vcc, s[22:23], v[2:3]
	v_mov_b32_e32 v2, 0
	s_cbranch_vccnz .LBB137_12
; %bb.8:
	s_load_dwordx4 s[8:11], s[4:5], 0x38
	s_load_dwordx2 s[24:25], s[4:5], 0x48
	s_mov_b32 s4, 0xffff
	s_movk_i32 s5, 0x2a4
	v_and_b32_sdwa v1, s4, v1 dst_sel:DWORD dst_unused:UNUSED_PAD src0_sel:DWORD src1_sel:WORD_1
	s_sub_u32 s2, s2, s18
	v_subrev_u32_e32 v2, 26, v1
	v_cmp_gt_u32_e32 vcc, s5, v0
	s_subb_u32 s3, s3, 0
	v_cndmask_b32_e32 v1, v2, v1, vcc
	s_sub_u32 s4, s22, s18
	v_cndmask_b32_e64 v1, v12, v1, s[0:1]
	v_mov_b32_e32 v2, 0
	s_subb_u32 s5, s23, 0
	v_lshlrev_b64 v[3:4], 2, v[1:2]
	s_mul_i32 s0, s5, 0xa90
	s_mul_hi_u32 s1, s4, 0xa90
	s_add_i32 s1, s1, s0
	s_mul_i32 s0, s4, 0xa90
	s_waitcnt lgkmcnt(0)
	v_mov_b32_e32 v1, s25
	v_add_co_u32_e32 v3, vcc, s24, v3
	s_add_u32 s0, s10, s0
	v_addc_co_u32_e32 v4, vcc, v1, v4, vcc
	s_addc_u32 s1, s11, s1
	v_mov_b32_e32 v1, s1
	v_add_co_u32_e32 v5, vcc, s0, v11
	v_addc_co_u32_e32 v6, vcc, 0, v1, vcc
	s_movk_i32 s0, 0x2a3
	v_cmp_lt_u32_e32 vcc, s0, v0
	v_cndmask_b32_e64 v1, 0, 1, vcc
	v_mov_b32_e32 v7, s23
	v_add_co_u32_e32 v8, vcc, s22, v1
	v_addc_co_u32_e32 v9, vcc, 0, v7, vcc
	v_subrev_co_u32_e32 v7, vcc, s18, v8
	v_subbrev_co_u32_e32 v8, vcc, 0, v9, vcc
	v_lshlrev_b64 v[7:8], 3, v[7:8]
	v_mov_b32_e32 v9, s9
	v_add_co_u32_e32 v7, vcc, s8, v7
	v_addc_co_u32_e32 v8, vcc, v9, v8, vcc
	v_mov_b32_e32 v10, s3
	s_movk_i32 s8, 0x68
	v_mov_b32_e32 v9, s2
	s_branch .LBB137_10
.LBB137_9:                              ;   in Loop: Header=BB137_10 Depth=1
	s_or_b64 exec, exec, s[0:1]
	s_add_u32 s4, s4, 1
	s_addc_u32 s5, s5, 0
	v_cmp_lt_i64_e32 vcc, s[4:5], v[9:10]
	v_add_co_u32_e64 v7, s[0:1], 8, v7
	v_addc_co_u32_e64 v8, s[0:1], 0, v8, s[0:1]
	s_cbranch_vccz .LBB137_12
.LBB137_10:                             ; =>This Inner Loop Header: Depth=1
	v_mov_b32_e32 v14, s5
	v_add_co_u32_e32 v13, vcc, s4, v1
	v_addc_co_u32_e32 v14, vcc, 0, v14, vcc
	v_cmp_gt_i64_e32 vcc, s[2:3], v[13:14]
	s_and_saveexec_b64 s[0:1], vcc
	s_cbranch_execz .LBB137_9
; %bb.11:                               ;   in Loop: Header=BB137_10 Depth=1
	global_load_dwordx2 v[13:14], v[7:8], off
	s_waitcnt vmcnt(0)
	v_subrev_co_u32_e32 v13, vcc, s18, v13
	v_subbrev_co_u32_e32 v15, vcc, 0, v14, vcc
	v_mad_u64_u32 v[13:14], s[10:11], v13, s8, v[3:4]
	v_mad_u64_u32 v[14:15], s[10:11], v15, s8, v[14:15]
	global_load_dword v15, v[5:6], off
	s_nop 0
	global_load_dword v13, v[13:14], off
	v_add_co_u32_e32 v5, vcc, 0xa90, v5
	v_addc_co_u32_e32 v6, vcc, 0, v6, vcc
	s_waitcnt vmcnt(0)
	v_fmac_f32_e32 v2, v15, v13
	s_branch .LBB137_9
.LBB137_12:
	s_and_b64 vcc, exec, s[20:21]
	ds_write_b32 v11, v2
	s_waitcnt lgkmcnt(0)
	s_barrier
	s_cbranch_vccz .LBB137_24
; %bb.13:
	v_cmp_gt_u16_e32 vcc, 10, v12
	s_and_saveexec_b64 s[0:1], vcc
	s_cbranch_execz .LBB137_15
; %bb.14:
	ds_read2_b32 v[3:4], v11 offset1:16
	s_waitcnt lgkmcnt(0)
	v_add_f32_e32 v1, v4, v3
	ds_write_b32 v11, v1
.LBB137_15:
	s_or_b64 exec, exec, s[0:1]
	v_cmp_gt_u16_e32 vcc, 8, v12
	s_waitcnt lgkmcnt(0)
	s_barrier
	s_and_saveexec_b64 s[0:1], vcc
	s_cbranch_execz .LBB137_17
; %bb.16:
	ds_read2_b32 v[3:4], v11 offset1:8
	s_waitcnt lgkmcnt(0)
	v_add_f32_e32 v1, v4, v3
	ds_write_b32 v11, v1
.LBB137_17:
	s_or_b64 exec, exec, s[0:1]
	v_cmp_gt_u16_e32 vcc, 4, v12
	s_waitcnt lgkmcnt(0)
	s_barrier
	;; [unrolled: 12-line block ×3, first 2 shown]
	s_and_saveexec_b64 s[0:1], vcc
	s_cbranch_execz .LBB137_21
; %bb.20:
	ds_read2_b32 v[3:4], v11 offset1:2
	s_waitcnt lgkmcnt(0)
	v_add_f32_e32 v1, v4, v3
	ds_write_b32 v11, v1
.LBB137_21:
	s_or_b64 exec, exec, s[0:1]
	v_cmp_gt_u32_e32 vcc, 26, v0
	v_mov_b32_e32 v1, v2
	s_waitcnt lgkmcnt(0)
	s_barrier
	s_and_saveexec_b64 s[0:1], vcc
	s_cbranch_execz .LBB137_23
; %bb.22:
	s_movk_i32 s2, 0x64
	v_mad_u32_u24 v1, v0, s2, v11
	ds_read_b64 v[3:4], v1
	s_waitcnt lgkmcnt(0)
	v_add_f32_e32 v1, v3, v4
.LBB137_23:
	s_or_b64 exec, exec, s[0:1]
	s_branch .LBB137_36
.LBB137_24:
                                        ; implicit-def: $vgpr1
	s_cbranch_execz .LBB137_36
; %bb.25:
	s_movk_i32 s0, 0x104
	v_cmp_gt_u32_e32 vcc, s0, v0
	s_and_saveexec_b64 s[0:1], vcc
	s_cbranch_execz .LBB137_27
; %bb.26:
	ds_read_b32 v1, v11 offset:1664
	ds_read_b32 v3, v11
	s_waitcnt lgkmcnt(0)
	v_add_f32_e32 v1, v1, v3
	ds_write_b32 v11, v1
.LBB137_27:
	s_or_b64 exec, exec, s[0:1]
	s_movk_i32 s0, 0xd0
	v_cmp_gt_u32_e32 vcc, s0, v0
	s_waitcnt lgkmcnt(0)
	s_barrier
	s_and_saveexec_b64 s[0:1], vcc
	s_cbranch_execz .LBB137_29
; %bb.28:
	ds_read2_b32 v[3:4], v11 offset1:208
	s_waitcnt lgkmcnt(0)
	v_add_f32_e32 v1, v4, v3
	ds_write_b32 v11, v1
.LBB137_29:
	s_or_b64 exec, exec, s[0:1]
	s_movk_i32 s0, 0x68
	v_cmp_gt_u32_e32 vcc, s0, v0
	s_waitcnt lgkmcnt(0)
	s_barrier
	s_and_saveexec_b64 s[0:1], vcc
	s_cbranch_execz .LBB137_31
; %bb.30:
	ds_read2_b32 v[3:4], v11 offset1:104
	s_waitcnt lgkmcnt(0)
	v_add_f32_e32 v1, v4, v3
	ds_write_b32 v11, v1
.LBB137_31:
	s_or_b64 exec, exec, s[0:1]
	v_cmp_gt_u32_e32 vcc, 52, v0
	s_waitcnt lgkmcnt(0)
	s_barrier
	s_and_saveexec_b64 s[0:1], vcc
	s_cbranch_execz .LBB137_33
; %bb.32:
	ds_read2_b32 v[3:4], v11 offset1:52
	s_waitcnt lgkmcnt(0)
	v_add_f32_e32 v1, v4, v3
	ds_write_b32 v11, v1
.LBB137_33:
	s_or_b64 exec, exec, s[0:1]
	v_cmp_gt_u32_e32 vcc, 26, v0
	s_waitcnt lgkmcnt(0)
	s_and_saveexec_b64 s[0:1], vcc
	s_cbranch_execz .LBB137_35
; %bb.34:
	ds_read2_b32 v[1:2], v11 offset1:26
	s_waitcnt lgkmcnt(0)
	v_add_f32_e32 v2, v1, v2
.LBB137_35:
	s_or_b64 exec, exec, s[0:1]
	v_mov_b32_e32 v1, v2
.LBB137_36:
	v_cmp_gt_u32_e32 vcc, 26, v0
	s_and_saveexec_b64 s[0:1], vcc
	s_cbranch_execz .LBB137_40
; %bb.37:
	v_cmp_eq_f32_e64 s[0:1], s12, 0
	s_and_b64 vcc, exec, s[0:1]
	v_mul_f32_e32 v0, s14, v1
	s_mul_i32 s2, s7, 0x68
	s_mul_hi_u32 s3, s6, 0x68
	s_mul_i32 s4, s6, 0x68
	s_cbranch_vccz .LBB137_41
; %bb.38:
	s_add_i32 s1, s3, s2
	s_add_u32 s0, s16, s4
	s_addc_u32 s1, s17, s1
	global_store_dword v11, v0, s[0:1]
	s_cbranch_execnz .LBB137_40
.LBB137_39:
	s_add_i32 s3, s3, s2
	s_add_u32 s0, s16, s4
	s_addc_u32 s1, s17, s3
	global_load_dword v1, v11, s[0:1]
	s_waitcnt vmcnt(0)
	v_fmac_f32_e32 v0, s12, v1
	global_store_dword v11, v0, s[0:1]
.LBB137_40:
	s_endpgm
.LBB137_41:
	s_branch .LBB137_39
	.section	.rodata,"a",@progbits
	.p2align	6, 0x0
	.amdhsa_kernel _ZN9rocsparseL20bsrxmvn_17_32_kernelILj26EfllfffEEvT2_20rocsparse_direction_NS_24const_host_device_scalarIT0_EES1_PKS1_PKT1_SA_S7_PKT3_PKT4_S5_PT5_21rocsparse_index_base_b
		.amdhsa_group_segment_fixed_size 2704
		.amdhsa_private_segment_fixed_size 0
		.amdhsa_kernarg_size 104
		.amdhsa_user_sgpr_count 6
		.amdhsa_user_sgpr_private_segment_buffer 1
		.amdhsa_user_sgpr_dispatch_ptr 0
		.amdhsa_user_sgpr_queue_ptr 0
		.amdhsa_user_sgpr_kernarg_segment_ptr 1
		.amdhsa_user_sgpr_dispatch_id 0
		.amdhsa_user_sgpr_flat_scratch_init 0
		.amdhsa_user_sgpr_private_segment_size 0
		.amdhsa_uses_dynamic_stack 0
		.amdhsa_system_sgpr_private_segment_wavefront_offset 0
		.amdhsa_system_sgpr_workgroup_id_x 1
		.amdhsa_system_sgpr_workgroup_id_y 0
		.amdhsa_system_sgpr_workgroup_id_z 0
		.amdhsa_system_sgpr_workgroup_info 0
		.amdhsa_system_vgpr_workitem_id 0
		.amdhsa_next_free_vgpr 25
		.amdhsa_next_free_sgpr 61
		.amdhsa_reserve_vcc 1
		.amdhsa_reserve_flat_scratch 0
		.amdhsa_float_round_mode_32 0
		.amdhsa_float_round_mode_16_64 0
		.amdhsa_float_denorm_mode_32 3
		.amdhsa_float_denorm_mode_16_64 3
		.amdhsa_dx10_clamp 1
		.amdhsa_ieee_mode 1
		.amdhsa_fp16_overflow 0
		.amdhsa_exception_fp_ieee_invalid_op 0
		.amdhsa_exception_fp_denorm_src 0
		.amdhsa_exception_fp_ieee_div_zero 0
		.amdhsa_exception_fp_ieee_overflow 0
		.amdhsa_exception_fp_ieee_underflow 0
		.amdhsa_exception_fp_ieee_inexact 0
		.amdhsa_exception_int_div_zero 0
	.end_amdhsa_kernel
	.section	.text._ZN9rocsparseL20bsrxmvn_17_32_kernelILj26EfllfffEEvT2_20rocsparse_direction_NS_24const_host_device_scalarIT0_EES1_PKS1_PKT1_SA_S7_PKT3_PKT4_S5_PT5_21rocsparse_index_base_b,"axG",@progbits,_ZN9rocsparseL20bsrxmvn_17_32_kernelILj26EfllfffEEvT2_20rocsparse_direction_NS_24const_host_device_scalarIT0_EES1_PKS1_PKT1_SA_S7_PKT3_PKT4_S5_PT5_21rocsparse_index_base_b,comdat
.Lfunc_end137:
	.size	_ZN9rocsparseL20bsrxmvn_17_32_kernelILj26EfllfffEEvT2_20rocsparse_direction_NS_24const_host_device_scalarIT0_EES1_PKS1_PKT1_SA_S7_PKT3_PKT4_S5_PT5_21rocsparse_index_base_b, .Lfunc_end137-_ZN9rocsparseL20bsrxmvn_17_32_kernelILj26EfllfffEEvT2_20rocsparse_direction_NS_24const_host_device_scalarIT0_EES1_PKS1_PKT1_SA_S7_PKT3_PKT4_S5_PT5_21rocsparse_index_base_b
                                        ; -- End function
	.set _ZN9rocsparseL20bsrxmvn_17_32_kernelILj26EfllfffEEvT2_20rocsparse_direction_NS_24const_host_device_scalarIT0_EES1_PKS1_PKT1_SA_S7_PKT3_PKT4_S5_PT5_21rocsparse_index_base_b.num_vgpr, 16
	.set _ZN9rocsparseL20bsrxmvn_17_32_kernelILj26EfllfffEEvT2_20rocsparse_direction_NS_24const_host_device_scalarIT0_EES1_PKS1_PKT1_SA_S7_PKT3_PKT4_S5_PT5_21rocsparse_index_base_b.num_agpr, 0
	.set _ZN9rocsparseL20bsrxmvn_17_32_kernelILj26EfllfffEEvT2_20rocsparse_direction_NS_24const_host_device_scalarIT0_EES1_PKS1_PKT1_SA_S7_PKT3_PKT4_S5_PT5_21rocsparse_index_base_b.numbered_sgpr, 26
	.set _ZN9rocsparseL20bsrxmvn_17_32_kernelILj26EfllfffEEvT2_20rocsparse_direction_NS_24const_host_device_scalarIT0_EES1_PKS1_PKT1_SA_S7_PKT3_PKT4_S5_PT5_21rocsparse_index_base_b.num_named_barrier, 0
	.set _ZN9rocsparseL20bsrxmvn_17_32_kernelILj26EfllfffEEvT2_20rocsparse_direction_NS_24const_host_device_scalarIT0_EES1_PKS1_PKT1_SA_S7_PKT3_PKT4_S5_PT5_21rocsparse_index_base_b.private_seg_size, 0
	.set _ZN9rocsparseL20bsrxmvn_17_32_kernelILj26EfllfffEEvT2_20rocsparse_direction_NS_24const_host_device_scalarIT0_EES1_PKS1_PKT1_SA_S7_PKT3_PKT4_S5_PT5_21rocsparse_index_base_b.uses_vcc, 1
	.set _ZN9rocsparseL20bsrxmvn_17_32_kernelILj26EfllfffEEvT2_20rocsparse_direction_NS_24const_host_device_scalarIT0_EES1_PKS1_PKT1_SA_S7_PKT3_PKT4_S5_PT5_21rocsparse_index_base_b.uses_flat_scratch, 0
	.set _ZN9rocsparseL20bsrxmvn_17_32_kernelILj26EfllfffEEvT2_20rocsparse_direction_NS_24const_host_device_scalarIT0_EES1_PKS1_PKT1_SA_S7_PKT3_PKT4_S5_PT5_21rocsparse_index_base_b.has_dyn_sized_stack, 0
	.set _ZN9rocsparseL20bsrxmvn_17_32_kernelILj26EfllfffEEvT2_20rocsparse_direction_NS_24const_host_device_scalarIT0_EES1_PKS1_PKT1_SA_S7_PKT3_PKT4_S5_PT5_21rocsparse_index_base_b.has_recursion, 0
	.set _ZN9rocsparseL20bsrxmvn_17_32_kernelILj26EfllfffEEvT2_20rocsparse_direction_NS_24const_host_device_scalarIT0_EES1_PKS1_PKT1_SA_S7_PKT3_PKT4_S5_PT5_21rocsparse_index_base_b.has_indirect_call, 0
	.section	.AMDGPU.csdata,"",@progbits
; Kernel info:
; codeLenInByte = 1312
; TotalNumSgprs: 30
; NumVgprs: 16
; ScratchSize: 0
; MemoryBound: 0
; FloatMode: 240
; IeeeMode: 1
; LDSByteSize: 2704 bytes/workgroup (compile time only)
; SGPRBlocks: 8
; VGPRBlocks: 6
; NumSGPRsForWavesPerEU: 65
; NumVGPRsForWavesPerEU: 25
; Occupancy: 9
; WaveLimiterHint : 1
; COMPUTE_PGM_RSRC2:SCRATCH_EN: 0
; COMPUTE_PGM_RSRC2:USER_SGPR: 6
; COMPUTE_PGM_RSRC2:TRAP_HANDLER: 0
; COMPUTE_PGM_RSRC2:TGID_X_EN: 1
; COMPUTE_PGM_RSRC2:TGID_Y_EN: 0
; COMPUTE_PGM_RSRC2:TGID_Z_EN: 0
; COMPUTE_PGM_RSRC2:TIDIG_COMP_CNT: 0
	.section	.text._ZN9rocsparseL20bsrxmvn_17_32_kernelILj27EfllfffEEvT2_20rocsparse_direction_NS_24const_host_device_scalarIT0_EES1_PKS1_PKT1_SA_S7_PKT3_PKT4_S5_PT5_21rocsparse_index_base_b,"axG",@progbits,_ZN9rocsparseL20bsrxmvn_17_32_kernelILj27EfllfffEEvT2_20rocsparse_direction_NS_24const_host_device_scalarIT0_EES1_PKS1_PKT1_SA_S7_PKT3_PKT4_S5_PT5_21rocsparse_index_base_b,comdat
	.globl	_ZN9rocsparseL20bsrxmvn_17_32_kernelILj27EfllfffEEvT2_20rocsparse_direction_NS_24const_host_device_scalarIT0_EES1_PKS1_PKT1_SA_S7_PKT3_PKT4_S5_PT5_21rocsparse_index_base_b ; -- Begin function _ZN9rocsparseL20bsrxmvn_17_32_kernelILj27EfllfffEEvT2_20rocsparse_direction_NS_24const_host_device_scalarIT0_EES1_PKS1_PKT1_SA_S7_PKT3_PKT4_S5_PT5_21rocsparse_index_base_b
	.p2align	8
	.type	_ZN9rocsparseL20bsrxmvn_17_32_kernelILj27EfllfffEEvT2_20rocsparse_direction_NS_24const_host_device_scalarIT0_EES1_PKS1_PKT1_SA_S7_PKT3_PKT4_S5_PT5_21rocsparse_index_base_b,@function
_ZN9rocsparseL20bsrxmvn_17_32_kernelILj27EfllfffEEvT2_20rocsparse_direction_NS_24const_host_device_scalarIT0_EES1_PKS1_PKT1_SA_S7_PKT3_PKT4_S5_PT5_21rocsparse_index_base_b: ; @_ZN9rocsparseL20bsrxmvn_17_32_kernelILj27EfllfffEEvT2_20rocsparse_direction_NS_24const_host_device_scalarIT0_EES1_PKS1_PKT1_SA_S7_PKT3_PKT4_S5_PT5_21rocsparse_index_base_b
; %bb.0:
	s_load_dwordx2 s[18:19], s[4:5], 0x60
	s_load_dwordx2 s[14:15], s[4:5], 0x10
	;; [unrolled: 1-line block ×3, first 2 shown]
	s_waitcnt lgkmcnt(0)
	s_bitcmp1_b32 s19, 0
	s_cselect_b64 s[2:3], -1, 0
	s_xor_b64 s[0:1], s[2:3], -1
	s_and_b64 vcc, exec, s[2:3]
	s_cbranch_vccnz .LBB138_2
; %bb.1:
	s_load_dword s14, s[14:15], 0x0
.LBB138_2:
	s_andn2_b64 vcc, exec, s[0:1]
	s_cbranch_vccnz .LBB138_4
; %bb.3:
	s_load_dword s12, s[12:13], 0x0
.LBB138_4:
	s_waitcnt lgkmcnt(0)
	v_cmp_neq_f32_e64 s[0:1], s14, 0
	v_cmp_neq_f32_e64 s[2:3], s12, 1.0
	s_or_b64 s[0:1], s[0:1], s[2:3]
	s_andn2_b64 vcc, exec, s[0:1]
	s_mov_b32 s7, 0
	s_cbranch_vccnz .LBB138_40
; %bb.5:
	s_load_dwordx4 s[0:3], s[4:5], 0x20
	s_load_dwordx2 s[8:9], s[4:5], 0x30
	s_waitcnt lgkmcnt(0)
	s_cmp_eq_u64 s[0:1], 0
	s_cbranch_scc1 .LBB138_7
; %bb.6:
	s_lshl_b64 s[6:7], s[6:7], 3
	s_add_u32 s0, s0, s6
	s_addc_u32 s1, s1, s7
	s_load_dwordx2 s[0:1], s[0:1], 0x0
	s_waitcnt lgkmcnt(0)
	s_sub_u32 s6, s0, s18
	s_subb_u32 s7, s1, 0
.LBB138_7:
	s_load_dword s10, s[4:5], 0x8
	s_load_dwordx2 s[16:17], s[4:5], 0x58
	v_mul_u32_u24_e32 v1, 0x97c, v0
	v_mov_b32_e32 v2, 27
	v_mul_lo_u16_sdwa v2, v1, v2 dst_sel:DWORD dst_unused:UNUSED_PAD src0_sel:WORD_1 src1_sel:DWORD
	s_waitcnt lgkmcnt(0)
	s_cmp_eq_u32 s10, 1
	s_cselect_b64 s[0:1], -1, 0
	s_cmp_lg_u32 s10, 1
	s_cselect_b64 s[20:21], -1, 0
	s_lshl_b64 s[10:11], s[6:7], 3
	s_add_u32 s24, s2, s10
	s_addc_u32 s25, s3, s11
	s_add_u32 s2, s24, 8
	s_addc_u32 s3, s25, 0
	;; [unrolled: 2-line block ×3, first 2 shown]
	s_cmp_eq_u64 s[8:9], 0
	s_cselect_b32 s9, s3, s11
	s_cselect_b32 s8, s2, s10
	s_load_dwordx2 s[2:3], s[8:9], 0x0
	s_load_dwordx2 s[22:23], s[24:25], 0x0
	v_sub_u16_e32 v12, v0, v2
	v_lshlrev_b32_e32 v11, 2, v0
	s_waitcnt lgkmcnt(0)
	v_mov_b32_e32 v2, s2
	v_mov_b32_e32 v3, s3
	v_cmp_ge_i64_e32 vcc, s[22:23], v[2:3]
	v_mov_b32_e32 v2, 0
	s_cbranch_vccnz .LBB138_12
; %bb.8:
	s_load_dwordx4 s[8:11], s[4:5], 0x38
	s_load_dwordx2 s[24:25], s[4:5], 0x48
	s_mov_b32 s4, 0xffff
	s_movk_i32 s5, 0x2d9
	v_and_b32_sdwa v1, s4, v1 dst_sel:DWORD dst_unused:UNUSED_PAD src0_sel:DWORD src1_sel:WORD_1
	s_sub_u32 s2, s2, s18
	v_subrev_u32_e32 v2, 27, v1
	v_cmp_gt_u32_e32 vcc, s5, v0
	s_subb_u32 s3, s3, 0
	v_cndmask_b32_e32 v1, v2, v1, vcc
	s_sub_u32 s4, s22, s18
	v_cndmask_b32_e64 v1, v12, v1, s[0:1]
	v_mov_b32_e32 v2, 0
	s_subb_u32 s5, s23, 0
	v_lshlrev_b64 v[3:4], 2, v[1:2]
	s_mul_i32 s0, s5, 0xb64
	s_mul_hi_u32 s1, s4, 0xb64
	s_add_i32 s1, s1, s0
	s_mul_i32 s0, s4, 0xb64
	s_waitcnt lgkmcnt(0)
	v_mov_b32_e32 v1, s25
	v_add_co_u32_e32 v3, vcc, s24, v3
	s_add_u32 s0, s10, s0
	v_addc_co_u32_e32 v4, vcc, v1, v4, vcc
	s_addc_u32 s1, s11, s1
	v_mov_b32_e32 v1, s1
	v_add_co_u32_e32 v5, vcc, s0, v11
	v_addc_co_u32_e32 v6, vcc, 0, v1, vcc
	s_movk_i32 s0, 0x2d8
	v_cmp_lt_u32_e32 vcc, s0, v0
	v_cndmask_b32_e64 v1, 0, 1, vcc
	v_mov_b32_e32 v7, s23
	v_add_co_u32_e32 v8, vcc, s22, v1
	v_addc_co_u32_e32 v9, vcc, 0, v7, vcc
	v_subrev_co_u32_e32 v7, vcc, s18, v8
	v_subbrev_co_u32_e32 v8, vcc, 0, v9, vcc
	v_lshlrev_b64 v[7:8], 3, v[7:8]
	v_mov_b32_e32 v9, s9
	v_add_co_u32_e32 v7, vcc, s8, v7
	v_addc_co_u32_e32 v8, vcc, v9, v8, vcc
	v_mov_b32_e32 v10, s3
	s_movk_i32 s8, 0x6c
	v_mov_b32_e32 v9, s2
	s_branch .LBB138_10
.LBB138_9:                              ;   in Loop: Header=BB138_10 Depth=1
	s_or_b64 exec, exec, s[0:1]
	s_add_u32 s4, s4, 1
	s_addc_u32 s5, s5, 0
	v_cmp_lt_i64_e32 vcc, s[4:5], v[9:10]
	v_add_co_u32_e64 v7, s[0:1], 8, v7
	v_addc_co_u32_e64 v8, s[0:1], 0, v8, s[0:1]
	s_cbranch_vccz .LBB138_12
.LBB138_10:                             ; =>This Inner Loop Header: Depth=1
	v_mov_b32_e32 v14, s5
	v_add_co_u32_e32 v13, vcc, s4, v1
	v_addc_co_u32_e32 v14, vcc, 0, v14, vcc
	v_cmp_gt_i64_e32 vcc, s[2:3], v[13:14]
	s_and_saveexec_b64 s[0:1], vcc
	s_cbranch_execz .LBB138_9
; %bb.11:                               ;   in Loop: Header=BB138_10 Depth=1
	global_load_dwordx2 v[13:14], v[7:8], off
	s_waitcnt vmcnt(0)
	v_subrev_co_u32_e32 v13, vcc, s18, v13
	v_subbrev_co_u32_e32 v15, vcc, 0, v14, vcc
	v_mad_u64_u32 v[13:14], s[10:11], v13, s8, v[3:4]
	v_mad_u64_u32 v[14:15], s[10:11], v15, s8, v[14:15]
	global_load_dword v15, v[5:6], off
	s_nop 0
	global_load_dword v13, v[13:14], off
	v_add_co_u32_e32 v5, vcc, 0xb64, v5
	v_addc_co_u32_e32 v6, vcc, 0, v6, vcc
	s_waitcnt vmcnt(0)
	v_fmac_f32_e32 v2, v15, v13
	s_branch .LBB138_9
.LBB138_12:
	s_and_b64 vcc, exec, s[20:21]
	ds_write_b32 v11, v2
	s_waitcnt lgkmcnt(0)
	s_barrier
	s_cbranch_vccz .LBB138_24
; %bb.13:
	v_cmp_gt_u16_e32 vcc, 11, v12
	s_and_saveexec_b64 s[0:1], vcc
	s_cbranch_execz .LBB138_15
; %bb.14:
	ds_read2_b32 v[3:4], v11 offset1:16
	s_waitcnt lgkmcnt(0)
	v_add_f32_e32 v1, v4, v3
	ds_write_b32 v11, v1
.LBB138_15:
	s_or_b64 exec, exec, s[0:1]
	v_cmp_gt_u16_e32 vcc, 8, v12
	s_waitcnt lgkmcnt(0)
	s_barrier
	s_and_saveexec_b64 s[0:1], vcc
	s_cbranch_execz .LBB138_17
; %bb.16:
	ds_read2_b32 v[3:4], v11 offset1:8
	s_waitcnt lgkmcnt(0)
	v_add_f32_e32 v1, v4, v3
	ds_write_b32 v11, v1
.LBB138_17:
	s_or_b64 exec, exec, s[0:1]
	v_cmp_gt_u16_e32 vcc, 4, v12
	s_waitcnt lgkmcnt(0)
	s_barrier
	s_and_saveexec_b64 s[0:1], vcc
	s_cbranch_execz .LBB138_19
; %bb.18:
	ds_read2_b32 v[3:4], v11 offset1:4
	s_waitcnt lgkmcnt(0)
	v_add_f32_e32 v1, v4, v3
	ds_write_b32 v11, v1
.LBB138_19:
	s_or_b64 exec, exec, s[0:1]
	v_cmp_gt_u16_e32 vcc, 2, v12
	s_waitcnt lgkmcnt(0)
	s_barrier
	s_and_saveexec_b64 s[0:1], vcc
	s_cbranch_execz .LBB138_21
; %bb.20:
	ds_read2_b32 v[3:4], v11 offset1:2
	s_waitcnt lgkmcnt(0)
	v_add_f32_e32 v1, v4, v3
	ds_write_b32 v11, v1
.LBB138_21:
	s_or_b64 exec, exec, s[0:1]
	v_cmp_gt_u32_e32 vcc, 27, v0
	v_mov_b32_e32 v1, v2
	s_waitcnt lgkmcnt(0)
	s_barrier
	s_and_saveexec_b64 s[0:1], vcc
	s_cbranch_execz .LBB138_23
; %bb.22:
	s_movk_i32 s2, 0x68
	v_mad_u32_u24 v1, v0, s2, v11
	ds_read2_b32 v[3:4], v1 offset1:1
	s_waitcnt lgkmcnt(0)
	v_add_f32_e32 v1, v3, v4
.LBB138_23:
	s_or_b64 exec, exec, s[0:1]
	s_branch .LBB138_36
.LBB138_24:
                                        ; implicit-def: $vgpr1
	s_cbranch_execz .LBB138_36
; %bb.25:
	s_movk_i32 s0, 0x129
	v_cmp_gt_u32_e32 vcc, s0, v0
	s_and_saveexec_b64 s[0:1], vcc
	s_cbranch_execz .LBB138_27
; %bb.26:
	ds_read_b32 v1, v11 offset:1728
	ds_read_b32 v3, v11
	s_waitcnt lgkmcnt(0)
	v_add_f32_e32 v1, v1, v3
	ds_write_b32 v11, v1
.LBB138_27:
	s_or_b64 exec, exec, s[0:1]
	s_movk_i32 s0, 0xd8
	v_cmp_gt_u32_e32 vcc, s0, v0
	s_waitcnt lgkmcnt(0)
	s_barrier
	s_and_saveexec_b64 s[0:1], vcc
	s_cbranch_execz .LBB138_29
; %bb.28:
	ds_read2_b32 v[3:4], v11 offset1:216
	s_waitcnt lgkmcnt(0)
	v_add_f32_e32 v1, v4, v3
	ds_write_b32 v11, v1
.LBB138_29:
	s_or_b64 exec, exec, s[0:1]
	s_movk_i32 s0, 0x6c
	v_cmp_gt_u32_e32 vcc, s0, v0
	s_waitcnt lgkmcnt(0)
	s_barrier
	s_and_saveexec_b64 s[0:1], vcc
	s_cbranch_execz .LBB138_31
; %bb.30:
	ds_read2_b32 v[3:4], v11 offset1:108
	s_waitcnt lgkmcnt(0)
	v_add_f32_e32 v1, v4, v3
	ds_write_b32 v11, v1
.LBB138_31:
	s_or_b64 exec, exec, s[0:1]
	v_cmp_gt_u32_e32 vcc, 54, v0
	s_waitcnt lgkmcnt(0)
	s_barrier
	s_and_saveexec_b64 s[0:1], vcc
	s_cbranch_execz .LBB138_33
; %bb.32:
	ds_read2_b32 v[3:4], v11 offset1:54
	s_waitcnt lgkmcnt(0)
	v_add_f32_e32 v1, v4, v3
	ds_write_b32 v11, v1
.LBB138_33:
	s_or_b64 exec, exec, s[0:1]
	v_cmp_gt_u32_e32 vcc, 27, v0
	s_waitcnt lgkmcnt(0)
	s_and_saveexec_b64 s[0:1], vcc
	s_cbranch_execz .LBB138_35
; %bb.34:
	ds_read2_b32 v[1:2], v11 offset1:27
	s_waitcnt lgkmcnt(0)
	v_add_f32_e32 v2, v1, v2
.LBB138_35:
	s_or_b64 exec, exec, s[0:1]
	v_mov_b32_e32 v1, v2
.LBB138_36:
	v_cmp_gt_u32_e32 vcc, 27, v0
	s_and_saveexec_b64 s[0:1], vcc
	s_cbranch_execz .LBB138_40
; %bb.37:
	v_cmp_eq_f32_e64 s[0:1], s12, 0
	s_and_b64 vcc, exec, s[0:1]
	v_mul_f32_e32 v0, s14, v1
	s_mul_i32 s2, s7, 0x6c
	s_mul_hi_u32 s3, s6, 0x6c
	s_mul_i32 s4, s6, 0x6c
	s_cbranch_vccz .LBB138_41
; %bb.38:
	s_add_i32 s1, s3, s2
	s_add_u32 s0, s16, s4
	s_addc_u32 s1, s17, s1
	global_store_dword v11, v0, s[0:1]
	s_cbranch_execnz .LBB138_40
.LBB138_39:
	s_add_i32 s3, s3, s2
	s_add_u32 s0, s16, s4
	s_addc_u32 s1, s17, s3
	global_load_dword v1, v11, s[0:1]
	s_waitcnt vmcnt(0)
	v_fmac_f32_e32 v0, s12, v1
	global_store_dword v11, v0, s[0:1]
.LBB138_40:
	s_endpgm
.LBB138_41:
	s_branch .LBB138_39
	.section	.rodata,"a",@progbits
	.p2align	6, 0x0
	.amdhsa_kernel _ZN9rocsparseL20bsrxmvn_17_32_kernelILj27EfllfffEEvT2_20rocsparse_direction_NS_24const_host_device_scalarIT0_EES1_PKS1_PKT1_SA_S7_PKT3_PKT4_S5_PT5_21rocsparse_index_base_b
		.amdhsa_group_segment_fixed_size 2916
		.amdhsa_private_segment_fixed_size 0
		.amdhsa_kernarg_size 104
		.amdhsa_user_sgpr_count 6
		.amdhsa_user_sgpr_private_segment_buffer 1
		.amdhsa_user_sgpr_dispatch_ptr 0
		.amdhsa_user_sgpr_queue_ptr 0
		.amdhsa_user_sgpr_kernarg_segment_ptr 1
		.amdhsa_user_sgpr_dispatch_id 0
		.amdhsa_user_sgpr_flat_scratch_init 0
		.amdhsa_user_sgpr_private_segment_size 0
		.amdhsa_uses_dynamic_stack 0
		.amdhsa_system_sgpr_private_segment_wavefront_offset 0
		.amdhsa_system_sgpr_workgroup_id_x 1
		.amdhsa_system_sgpr_workgroup_id_y 0
		.amdhsa_system_sgpr_workgroup_id_z 0
		.amdhsa_system_sgpr_workgroup_info 0
		.amdhsa_system_vgpr_workitem_id 0
		.amdhsa_next_free_vgpr 25
		.amdhsa_next_free_sgpr 61
		.amdhsa_reserve_vcc 1
		.amdhsa_reserve_flat_scratch 0
		.amdhsa_float_round_mode_32 0
		.amdhsa_float_round_mode_16_64 0
		.amdhsa_float_denorm_mode_32 3
		.amdhsa_float_denorm_mode_16_64 3
		.amdhsa_dx10_clamp 1
		.amdhsa_ieee_mode 1
		.amdhsa_fp16_overflow 0
		.amdhsa_exception_fp_ieee_invalid_op 0
		.amdhsa_exception_fp_denorm_src 0
		.amdhsa_exception_fp_ieee_div_zero 0
		.amdhsa_exception_fp_ieee_overflow 0
		.amdhsa_exception_fp_ieee_underflow 0
		.amdhsa_exception_fp_ieee_inexact 0
		.amdhsa_exception_int_div_zero 0
	.end_amdhsa_kernel
	.section	.text._ZN9rocsparseL20bsrxmvn_17_32_kernelILj27EfllfffEEvT2_20rocsparse_direction_NS_24const_host_device_scalarIT0_EES1_PKS1_PKT1_SA_S7_PKT3_PKT4_S5_PT5_21rocsparse_index_base_b,"axG",@progbits,_ZN9rocsparseL20bsrxmvn_17_32_kernelILj27EfllfffEEvT2_20rocsparse_direction_NS_24const_host_device_scalarIT0_EES1_PKS1_PKT1_SA_S7_PKT3_PKT4_S5_PT5_21rocsparse_index_base_b,comdat
.Lfunc_end138:
	.size	_ZN9rocsparseL20bsrxmvn_17_32_kernelILj27EfllfffEEvT2_20rocsparse_direction_NS_24const_host_device_scalarIT0_EES1_PKS1_PKT1_SA_S7_PKT3_PKT4_S5_PT5_21rocsparse_index_base_b, .Lfunc_end138-_ZN9rocsparseL20bsrxmvn_17_32_kernelILj27EfllfffEEvT2_20rocsparse_direction_NS_24const_host_device_scalarIT0_EES1_PKS1_PKT1_SA_S7_PKT3_PKT4_S5_PT5_21rocsparse_index_base_b
                                        ; -- End function
	.set _ZN9rocsparseL20bsrxmvn_17_32_kernelILj27EfllfffEEvT2_20rocsparse_direction_NS_24const_host_device_scalarIT0_EES1_PKS1_PKT1_SA_S7_PKT3_PKT4_S5_PT5_21rocsparse_index_base_b.num_vgpr, 16
	.set _ZN9rocsparseL20bsrxmvn_17_32_kernelILj27EfllfffEEvT2_20rocsparse_direction_NS_24const_host_device_scalarIT0_EES1_PKS1_PKT1_SA_S7_PKT3_PKT4_S5_PT5_21rocsparse_index_base_b.num_agpr, 0
	.set _ZN9rocsparseL20bsrxmvn_17_32_kernelILj27EfllfffEEvT2_20rocsparse_direction_NS_24const_host_device_scalarIT0_EES1_PKS1_PKT1_SA_S7_PKT3_PKT4_S5_PT5_21rocsparse_index_base_b.numbered_sgpr, 26
	.set _ZN9rocsparseL20bsrxmvn_17_32_kernelILj27EfllfffEEvT2_20rocsparse_direction_NS_24const_host_device_scalarIT0_EES1_PKS1_PKT1_SA_S7_PKT3_PKT4_S5_PT5_21rocsparse_index_base_b.num_named_barrier, 0
	.set _ZN9rocsparseL20bsrxmvn_17_32_kernelILj27EfllfffEEvT2_20rocsparse_direction_NS_24const_host_device_scalarIT0_EES1_PKS1_PKT1_SA_S7_PKT3_PKT4_S5_PT5_21rocsparse_index_base_b.private_seg_size, 0
	.set _ZN9rocsparseL20bsrxmvn_17_32_kernelILj27EfllfffEEvT2_20rocsparse_direction_NS_24const_host_device_scalarIT0_EES1_PKS1_PKT1_SA_S7_PKT3_PKT4_S5_PT5_21rocsparse_index_base_b.uses_vcc, 1
	.set _ZN9rocsparseL20bsrxmvn_17_32_kernelILj27EfllfffEEvT2_20rocsparse_direction_NS_24const_host_device_scalarIT0_EES1_PKS1_PKT1_SA_S7_PKT3_PKT4_S5_PT5_21rocsparse_index_base_b.uses_flat_scratch, 0
	.set _ZN9rocsparseL20bsrxmvn_17_32_kernelILj27EfllfffEEvT2_20rocsparse_direction_NS_24const_host_device_scalarIT0_EES1_PKS1_PKT1_SA_S7_PKT3_PKT4_S5_PT5_21rocsparse_index_base_b.has_dyn_sized_stack, 0
	.set _ZN9rocsparseL20bsrxmvn_17_32_kernelILj27EfllfffEEvT2_20rocsparse_direction_NS_24const_host_device_scalarIT0_EES1_PKS1_PKT1_SA_S7_PKT3_PKT4_S5_PT5_21rocsparse_index_base_b.has_recursion, 0
	.set _ZN9rocsparseL20bsrxmvn_17_32_kernelILj27EfllfffEEvT2_20rocsparse_direction_NS_24const_host_device_scalarIT0_EES1_PKS1_PKT1_SA_S7_PKT3_PKT4_S5_PT5_21rocsparse_index_base_b.has_indirect_call, 0
	.section	.AMDGPU.csdata,"",@progbits
; Kernel info:
; codeLenInByte = 1312
; TotalNumSgprs: 30
; NumVgprs: 16
; ScratchSize: 0
; MemoryBound: 0
; FloatMode: 240
; IeeeMode: 1
; LDSByteSize: 2916 bytes/workgroup (compile time only)
; SGPRBlocks: 8
; VGPRBlocks: 6
; NumSGPRsForWavesPerEU: 65
; NumVGPRsForWavesPerEU: 25
; Occupancy: 9
; WaveLimiterHint : 1
; COMPUTE_PGM_RSRC2:SCRATCH_EN: 0
; COMPUTE_PGM_RSRC2:USER_SGPR: 6
; COMPUTE_PGM_RSRC2:TRAP_HANDLER: 0
; COMPUTE_PGM_RSRC2:TGID_X_EN: 1
; COMPUTE_PGM_RSRC2:TGID_Y_EN: 0
; COMPUTE_PGM_RSRC2:TGID_Z_EN: 0
; COMPUTE_PGM_RSRC2:TIDIG_COMP_CNT: 0
	.section	.text._ZN9rocsparseL20bsrxmvn_17_32_kernelILj28EfllfffEEvT2_20rocsparse_direction_NS_24const_host_device_scalarIT0_EES1_PKS1_PKT1_SA_S7_PKT3_PKT4_S5_PT5_21rocsparse_index_base_b,"axG",@progbits,_ZN9rocsparseL20bsrxmvn_17_32_kernelILj28EfllfffEEvT2_20rocsparse_direction_NS_24const_host_device_scalarIT0_EES1_PKS1_PKT1_SA_S7_PKT3_PKT4_S5_PT5_21rocsparse_index_base_b,comdat
	.globl	_ZN9rocsparseL20bsrxmvn_17_32_kernelILj28EfllfffEEvT2_20rocsparse_direction_NS_24const_host_device_scalarIT0_EES1_PKS1_PKT1_SA_S7_PKT3_PKT4_S5_PT5_21rocsparse_index_base_b ; -- Begin function _ZN9rocsparseL20bsrxmvn_17_32_kernelILj28EfllfffEEvT2_20rocsparse_direction_NS_24const_host_device_scalarIT0_EES1_PKS1_PKT1_SA_S7_PKT3_PKT4_S5_PT5_21rocsparse_index_base_b
	.p2align	8
	.type	_ZN9rocsparseL20bsrxmvn_17_32_kernelILj28EfllfffEEvT2_20rocsparse_direction_NS_24const_host_device_scalarIT0_EES1_PKS1_PKT1_SA_S7_PKT3_PKT4_S5_PT5_21rocsparse_index_base_b,@function
_ZN9rocsparseL20bsrxmvn_17_32_kernelILj28EfllfffEEvT2_20rocsparse_direction_NS_24const_host_device_scalarIT0_EES1_PKS1_PKT1_SA_S7_PKT3_PKT4_S5_PT5_21rocsparse_index_base_b: ; @_ZN9rocsparseL20bsrxmvn_17_32_kernelILj28EfllfffEEvT2_20rocsparse_direction_NS_24const_host_device_scalarIT0_EES1_PKS1_PKT1_SA_S7_PKT3_PKT4_S5_PT5_21rocsparse_index_base_b
; %bb.0:
	s_load_dwordx2 s[18:19], s[4:5], 0x60
	s_load_dwordx2 s[14:15], s[4:5], 0x10
	;; [unrolled: 1-line block ×3, first 2 shown]
	s_waitcnt lgkmcnt(0)
	s_bitcmp1_b32 s19, 0
	s_cselect_b64 s[2:3], -1, 0
	s_xor_b64 s[0:1], s[2:3], -1
	s_and_b64 vcc, exec, s[2:3]
	s_cbranch_vccnz .LBB139_2
; %bb.1:
	s_load_dword s14, s[14:15], 0x0
.LBB139_2:
	s_andn2_b64 vcc, exec, s[0:1]
	s_cbranch_vccnz .LBB139_4
; %bb.3:
	s_load_dword s12, s[12:13], 0x0
.LBB139_4:
	s_waitcnt lgkmcnt(0)
	v_cmp_neq_f32_e64 s[0:1], s14, 0
	v_cmp_neq_f32_e64 s[2:3], s12, 1.0
	s_or_b64 s[0:1], s[0:1], s[2:3]
	s_andn2_b64 vcc, exec, s[0:1]
	s_mov_b32 s7, 0
	s_cbranch_vccnz .LBB139_40
; %bb.5:
	s_load_dwordx4 s[0:3], s[4:5], 0x20
	s_load_dwordx2 s[8:9], s[4:5], 0x30
	s_waitcnt lgkmcnt(0)
	s_cmp_eq_u64 s[0:1], 0
	s_cbranch_scc1 .LBB139_7
; %bb.6:
	s_lshl_b64 s[6:7], s[6:7], 3
	s_add_u32 s0, s0, s6
	s_addc_u32 s1, s1, s7
	s_load_dwordx2 s[0:1], s[0:1], 0x0
	s_waitcnt lgkmcnt(0)
	s_sub_u32 s6, s0, s18
	s_subb_u32 s7, s1, 0
.LBB139_7:
	s_load_dword s10, s[4:5], 0x8
	s_load_dwordx2 s[16:17], s[4:5], 0x58
	v_mul_u32_u24_e32 v1, 0x925, v0
	v_mov_b32_e32 v2, 28
	v_mul_lo_u16_sdwa v2, v1, v2 dst_sel:DWORD dst_unused:UNUSED_PAD src0_sel:WORD_1 src1_sel:DWORD
	s_waitcnt lgkmcnt(0)
	s_cmp_eq_u32 s10, 1
	s_cselect_b64 s[0:1], -1, 0
	s_cmp_lg_u32 s10, 1
	s_cselect_b64 s[20:21], -1, 0
	s_lshl_b64 s[10:11], s[6:7], 3
	s_add_u32 s24, s2, s10
	s_addc_u32 s25, s3, s11
	s_add_u32 s2, s24, 8
	s_addc_u32 s3, s25, 0
	;; [unrolled: 2-line block ×3, first 2 shown]
	s_cmp_eq_u64 s[8:9], 0
	s_cselect_b32 s9, s3, s11
	s_cselect_b32 s8, s2, s10
	s_load_dwordx2 s[2:3], s[8:9], 0x0
	s_load_dwordx2 s[22:23], s[24:25], 0x0
	v_sub_u16_e32 v12, v0, v2
	v_lshlrev_b32_e32 v11, 2, v0
	s_waitcnt lgkmcnt(0)
	v_mov_b32_e32 v2, s2
	v_mov_b32_e32 v3, s3
	v_cmp_ge_i64_e32 vcc, s[22:23], v[2:3]
	v_mov_b32_e32 v2, 0
	s_cbranch_vccnz .LBB139_12
; %bb.8:
	s_load_dwordx4 s[8:11], s[4:5], 0x38
	s_load_dwordx2 s[24:25], s[4:5], 0x48
	s_mov_b32 s4, 0xffff
	s_movk_i32 s5, 0x310
	v_and_b32_sdwa v1, s4, v1 dst_sel:DWORD dst_unused:UNUSED_PAD src0_sel:DWORD src1_sel:WORD_1
	s_sub_u32 s2, s2, s18
	v_subrev_u32_e32 v2, 28, v1
	v_cmp_gt_u32_e32 vcc, s5, v0
	s_subb_u32 s3, s3, 0
	v_cndmask_b32_e32 v1, v2, v1, vcc
	s_sub_u32 s4, s22, s18
	v_cndmask_b32_e64 v1, v12, v1, s[0:1]
	v_mov_b32_e32 v2, 0
	s_subb_u32 s5, s23, 0
	v_lshlrev_b64 v[3:4], 2, v[1:2]
	s_mul_i32 s0, s5, 0xc40
	s_mul_hi_u32 s1, s4, 0xc40
	s_add_i32 s1, s1, s0
	s_mul_i32 s0, s4, 0xc40
	s_waitcnt lgkmcnt(0)
	v_mov_b32_e32 v1, s25
	v_add_co_u32_e32 v3, vcc, s24, v3
	s_add_u32 s0, s10, s0
	v_addc_co_u32_e32 v4, vcc, v1, v4, vcc
	s_addc_u32 s1, s11, s1
	v_mov_b32_e32 v1, s1
	v_add_co_u32_e32 v5, vcc, s0, v11
	v_addc_co_u32_e32 v6, vcc, 0, v1, vcc
	s_movk_i32 s0, 0x30f
	v_cmp_lt_u32_e32 vcc, s0, v0
	v_cndmask_b32_e64 v1, 0, 1, vcc
	v_mov_b32_e32 v7, s23
	v_add_co_u32_e32 v8, vcc, s22, v1
	v_addc_co_u32_e32 v9, vcc, 0, v7, vcc
	v_subrev_co_u32_e32 v7, vcc, s18, v8
	v_subbrev_co_u32_e32 v8, vcc, 0, v9, vcc
	v_lshlrev_b64 v[7:8], 3, v[7:8]
	v_mov_b32_e32 v9, s9
	v_add_co_u32_e32 v7, vcc, s8, v7
	v_addc_co_u32_e32 v8, vcc, v9, v8, vcc
	v_mov_b32_e32 v10, s3
	s_movk_i32 s8, 0x70
	v_mov_b32_e32 v9, s2
	s_branch .LBB139_10
.LBB139_9:                              ;   in Loop: Header=BB139_10 Depth=1
	s_or_b64 exec, exec, s[0:1]
	s_add_u32 s4, s4, 1
	s_addc_u32 s5, s5, 0
	v_cmp_lt_i64_e32 vcc, s[4:5], v[9:10]
	v_add_co_u32_e64 v7, s[0:1], 8, v7
	v_addc_co_u32_e64 v8, s[0:1], 0, v8, s[0:1]
	s_cbranch_vccz .LBB139_12
.LBB139_10:                             ; =>This Inner Loop Header: Depth=1
	v_mov_b32_e32 v14, s5
	v_add_co_u32_e32 v13, vcc, s4, v1
	v_addc_co_u32_e32 v14, vcc, 0, v14, vcc
	v_cmp_gt_i64_e32 vcc, s[2:3], v[13:14]
	s_and_saveexec_b64 s[0:1], vcc
	s_cbranch_execz .LBB139_9
; %bb.11:                               ;   in Loop: Header=BB139_10 Depth=1
	global_load_dwordx2 v[13:14], v[7:8], off
	s_waitcnt vmcnt(0)
	v_subrev_co_u32_e32 v13, vcc, s18, v13
	v_subbrev_co_u32_e32 v15, vcc, 0, v14, vcc
	v_mad_u64_u32 v[13:14], s[10:11], v13, s8, v[3:4]
	v_mad_u64_u32 v[14:15], s[10:11], v15, s8, v[14:15]
	global_load_dword v15, v[5:6], off
	s_nop 0
	global_load_dword v13, v[13:14], off
	v_add_co_u32_e32 v5, vcc, 0xc40, v5
	v_addc_co_u32_e32 v6, vcc, 0, v6, vcc
	s_waitcnt vmcnt(0)
	v_fmac_f32_e32 v2, v15, v13
	s_branch .LBB139_9
.LBB139_12:
	s_and_b64 vcc, exec, s[20:21]
	ds_write_b32 v11, v2
	s_waitcnt lgkmcnt(0)
	s_barrier
	s_cbranch_vccz .LBB139_24
; %bb.13:
	v_cmp_gt_u16_e32 vcc, 12, v12
	s_and_saveexec_b64 s[0:1], vcc
	s_cbranch_execz .LBB139_15
; %bb.14:
	ds_read2_b32 v[3:4], v11 offset1:16
	s_waitcnt lgkmcnt(0)
	v_add_f32_e32 v1, v4, v3
	ds_write_b32 v11, v1
.LBB139_15:
	s_or_b64 exec, exec, s[0:1]
	v_cmp_gt_u16_e32 vcc, 8, v12
	s_waitcnt lgkmcnt(0)
	s_barrier
	s_and_saveexec_b64 s[0:1], vcc
	s_cbranch_execz .LBB139_17
; %bb.16:
	ds_read2_b32 v[3:4], v11 offset1:8
	s_waitcnt lgkmcnt(0)
	v_add_f32_e32 v1, v4, v3
	ds_write_b32 v11, v1
.LBB139_17:
	s_or_b64 exec, exec, s[0:1]
	v_cmp_gt_u16_e32 vcc, 4, v12
	s_waitcnt lgkmcnt(0)
	s_barrier
	;; [unrolled: 12-line block ×3, first 2 shown]
	s_and_saveexec_b64 s[0:1], vcc
	s_cbranch_execz .LBB139_21
; %bb.20:
	ds_read2_b32 v[3:4], v11 offset1:2
	s_waitcnt lgkmcnt(0)
	v_add_f32_e32 v1, v4, v3
	ds_write_b32 v11, v1
.LBB139_21:
	s_or_b64 exec, exec, s[0:1]
	v_cmp_gt_u32_e32 vcc, 28, v0
	v_mov_b32_e32 v1, v2
	s_waitcnt lgkmcnt(0)
	s_barrier
	s_and_saveexec_b64 s[0:1], vcc
	s_cbranch_execz .LBB139_23
; %bb.22:
	s_movk_i32 s2, 0x6c
	v_mad_u32_u24 v1, v0, s2, v11
	ds_read_b64 v[3:4], v1
	s_waitcnt lgkmcnt(0)
	v_add_f32_e32 v1, v3, v4
.LBB139_23:
	s_or_b64 exec, exec, s[0:1]
	s_branch .LBB139_36
.LBB139_24:
                                        ; implicit-def: $vgpr1
	s_cbranch_execz .LBB139_36
; %bb.25:
	s_movk_i32 s0, 0x150
	v_cmp_gt_u32_e32 vcc, s0, v0
	s_and_saveexec_b64 s[0:1], vcc
	s_cbranch_execz .LBB139_27
; %bb.26:
	ds_read2st64_b32 v[3:4], v11 offset1:7
	s_waitcnt lgkmcnt(0)
	v_add_f32_e32 v1, v4, v3
	ds_write_b32 v11, v1
.LBB139_27:
	s_or_b64 exec, exec, s[0:1]
	s_movk_i32 s0, 0xe0
	v_cmp_gt_u32_e32 vcc, s0, v0
	s_waitcnt lgkmcnt(0)
	s_barrier
	s_and_saveexec_b64 s[0:1], vcc
	s_cbranch_execz .LBB139_29
; %bb.28:
	ds_read2_b32 v[3:4], v11 offset1:224
	s_waitcnt lgkmcnt(0)
	v_add_f32_e32 v1, v4, v3
	ds_write_b32 v11, v1
.LBB139_29:
	s_or_b64 exec, exec, s[0:1]
	s_movk_i32 s0, 0x70
	v_cmp_gt_u32_e32 vcc, s0, v0
	s_waitcnt lgkmcnt(0)
	s_barrier
	s_and_saveexec_b64 s[0:1], vcc
	s_cbranch_execz .LBB139_31
; %bb.30:
	ds_read2_b32 v[3:4], v11 offset1:112
	s_waitcnt lgkmcnt(0)
	v_add_f32_e32 v1, v4, v3
	ds_write_b32 v11, v1
.LBB139_31:
	s_or_b64 exec, exec, s[0:1]
	v_cmp_gt_u32_e32 vcc, 56, v0
	s_waitcnt lgkmcnt(0)
	s_barrier
	s_and_saveexec_b64 s[0:1], vcc
	s_cbranch_execz .LBB139_33
; %bb.32:
	ds_read2_b32 v[3:4], v11 offset1:56
	s_waitcnt lgkmcnt(0)
	v_add_f32_e32 v1, v4, v3
	ds_write_b32 v11, v1
.LBB139_33:
	s_or_b64 exec, exec, s[0:1]
	v_cmp_gt_u32_e32 vcc, 28, v0
	s_waitcnt lgkmcnt(0)
	s_and_saveexec_b64 s[0:1], vcc
	s_cbranch_execz .LBB139_35
; %bb.34:
	ds_read2_b32 v[1:2], v11 offset1:28
	s_waitcnt lgkmcnt(0)
	v_add_f32_e32 v2, v1, v2
.LBB139_35:
	s_or_b64 exec, exec, s[0:1]
	v_mov_b32_e32 v1, v2
.LBB139_36:
	v_cmp_gt_u32_e32 vcc, 28, v0
	s_and_saveexec_b64 s[0:1], vcc
	s_cbranch_execz .LBB139_40
; %bb.37:
	v_cmp_eq_f32_e64 s[0:1], s12, 0
	s_and_b64 vcc, exec, s[0:1]
	v_mul_f32_e32 v0, s14, v1
	s_mul_i32 s2, s7, 0x70
	s_mul_hi_u32 s3, s6, 0x70
	s_mul_i32 s4, s6, 0x70
	s_cbranch_vccz .LBB139_41
; %bb.38:
	s_add_i32 s1, s3, s2
	s_add_u32 s0, s16, s4
	s_addc_u32 s1, s17, s1
	global_store_dword v11, v0, s[0:1]
	s_cbranch_execnz .LBB139_40
.LBB139_39:
	s_add_i32 s3, s3, s2
	s_add_u32 s0, s16, s4
	s_addc_u32 s1, s17, s3
	global_load_dword v1, v11, s[0:1]
	s_waitcnt vmcnt(0)
	v_fmac_f32_e32 v0, s12, v1
	global_store_dword v11, v0, s[0:1]
.LBB139_40:
	s_endpgm
.LBB139_41:
	s_branch .LBB139_39
	.section	.rodata,"a",@progbits
	.p2align	6, 0x0
	.amdhsa_kernel _ZN9rocsparseL20bsrxmvn_17_32_kernelILj28EfllfffEEvT2_20rocsparse_direction_NS_24const_host_device_scalarIT0_EES1_PKS1_PKT1_SA_S7_PKT3_PKT4_S5_PT5_21rocsparse_index_base_b
		.amdhsa_group_segment_fixed_size 3136
		.amdhsa_private_segment_fixed_size 0
		.amdhsa_kernarg_size 104
		.amdhsa_user_sgpr_count 6
		.amdhsa_user_sgpr_private_segment_buffer 1
		.amdhsa_user_sgpr_dispatch_ptr 0
		.amdhsa_user_sgpr_queue_ptr 0
		.amdhsa_user_sgpr_kernarg_segment_ptr 1
		.amdhsa_user_sgpr_dispatch_id 0
		.amdhsa_user_sgpr_flat_scratch_init 0
		.amdhsa_user_sgpr_private_segment_size 0
		.amdhsa_uses_dynamic_stack 0
		.amdhsa_system_sgpr_private_segment_wavefront_offset 0
		.amdhsa_system_sgpr_workgroup_id_x 1
		.amdhsa_system_sgpr_workgroup_id_y 0
		.amdhsa_system_sgpr_workgroup_id_z 0
		.amdhsa_system_sgpr_workgroup_info 0
		.amdhsa_system_vgpr_workitem_id 0
		.amdhsa_next_free_vgpr 16
		.amdhsa_next_free_sgpr 26
		.amdhsa_reserve_vcc 1
		.amdhsa_reserve_flat_scratch 0
		.amdhsa_float_round_mode_32 0
		.amdhsa_float_round_mode_16_64 0
		.amdhsa_float_denorm_mode_32 3
		.amdhsa_float_denorm_mode_16_64 3
		.amdhsa_dx10_clamp 1
		.amdhsa_ieee_mode 1
		.amdhsa_fp16_overflow 0
		.amdhsa_exception_fp_ieee_invalid_op 0
		.amdhsa_exception_fp_denorm_src 0
		.amdhsa_exception_fp_ieee_div_zero 0
		.amdhsa_exception_fp_ieee_overflow 0
		.amdhsa_exception_fp_ieee_underflow 0
		.amdhsa_exception_fp_ieee_inexact 0
		.amdhsa_exception_int_div_zero 0
	.end_amdhsa_kernel
	.section	.text._ZN9rocsparseL20bsrxmvn_17_32_kernelILj28EfllfffEEvT2_20rocsparse_direction_NS_24const_host_device_scalarIT0_EES1_PKS1_PKT1_SA_S7_PKT3_PKT4_S5_PT5_21rocsparse_index_base_b,"axG",@progbits,_ZN9rocsparseL20bsrxmvn_17_32_kernelILj28EfllfffEEvT2_20rocsparse_direction_NS_24const_host_device_scalarIT0_EES1_PKS1_PKT1_SA_S7_PKT3_PKT4_S5_PT5_21rocsparse_index_base_b,comdat
.Lfunc_end139:
	.size	_ZN9rocsparseL20bsrxmvn_17_32_kernelILj28EfllfffEEvT2_20rocsparse_direction_NS_24const_host_device_scalarIT0_EES1_PKS1_PKT1_SA_S7_PKT3_PKT4_S5_PT5_21rocsparse_index_base_b, .Lfunc_end139-_ZN9rocsparseL20bsrxmvn_17_32_kernelILj28EfllfffEEvT2_20rocsparse_direction_NS_24const_host_device_scalarIT0_EES1_PKS1_PKT1_SA_S7_PKT3_PKT4_S5_PT5_21rocsparse_index_base_b
                                        ; -- End function
	.set _ZN9rocsparseL20bsrxmvn_17_32_kernelILj28EfllfffEEvT2_20rocsparse_direction_NS_24const_host_device_scalarIT0_EES1_PKS1_PKT1_SA_S7_PKT3_PKT4_S5_PT5_21rocsparse_index_base_b.num_vgpr, 16
	.set _ZN9rocsparseL20bsrxmvn_17_32_kernelILj28EfllfffEEvT2_20rocsparse_direction_NS_24const_host_device_scalarIT0_EES1_PKS1_PKT1_SA_S7_PKT3_PKT4_S5_PT5_21rocsparse_index_base_b.num_agpr, 0
	.set _ZN9rocsparseL20bsrxmvn_17_32_kernelILj28EfllfffEEvT2_20rocsparse_direction_NS_24const_host_device_scalarIT0_EES1_PKS1_PKT1_SA_S7_PKT3_PKT4_S5_PT5_21rocsparse_index_base_b.numbered_sgpr, 26
	.set _ZN9rocsparseL20bsrxmvn_17_32_kernelILj28EfllfffEEvT2_20rocsparse_direction_NS_24const_host_device_scalarIT0_EES1_PKS1_PKT1_SA_S7_PKT3_PKT4_S5_PT5_21rocsparse_index_base_b.num_named_barrier, 0
	.set _ZN9rocsparseL20bsrxmvn_17_32_kernelILj28EfllfffEEvT2_20rocsparse_direction_NS_24const_host_device_scalarIT0_EES1_PKS1_PKT1_SA_S7_PKT3_PKT4_S5_PT5_21rocsparse_index_base_b.private_seg_size, 0
	.set _ZN9rocsparseL20bsrxmvn_17_32_kernelILj28EfllfffEEvT2_20rocsparse_direction_NS_24const_host_device_scalarIT0_EES1_PKS1_PKT1_SA_S7_PKT3_PKT4_S5_PT5_21rocsparse_index_base_b.uses_vcc, 1
	.set _ZN9rocsparseL20bsrxmvn_17_32_kernelILj28EfllfffEEvT2_20rocsparse_direction_NS_24const_host_device_scalarIT0_EES1_PKS1_PKT1_SA_S7_PKT3_PKT4_S5_PT5_21rocsparse_index_base_b.uses_flat_scratch, 0
	.set _ZN9rocsparseL20bsrxmvn_17_32_kernelILj28EfllfffEEvT2_20rocsparse_direction_NS_24const_host_device_scalarIT0_EES1_PKS1_PKT1_SA_S7_PKT3_PKT4_S5_PT5_21rocsparse_index_base_b.has_dyn_sized_stack, 0
	.set _ZN9rocsparseL20bsrxmvn_17_32_kernelILj28EfllfffEEvT2_20rocsparse_direction_NS_24const_host_device_scalarIT0_EES1_PKS1_PKT1_SA_S7_PKT3_PKT4_S5_PT5_21rocsparse_index_base_b.has_recursion, 0
	.set _ZN9rocsparseL20bsrxmvn_17_32_kernelILj28EfllfffEEvT2_20rocsparse_direction_NS_24const_host_device_scalarIT0_EES1_PKS1_PKT1_SA_S7_PKT3_PKT4_S5_PT5_21rocsparse_index_base_b.has_indirect_call, 0
	.section	.AMDGPU.csdata,"",@progbits
; Kernel info:
; codeLenInByte = 1304
; TotalNumSgprs: 30
; NumVgprs: 16
; ScratchSize: 0
; MemoryBound: 0
; FloatMode: 240
; IeeeMode: 1
; LDSByteSize: 3136 bytes/workgroup (compile time only)
; SGPRBlocks: 3
; VGPRBlocks: 3
; NumSGPRsForWavesPerEU: 30
; NumVGPRsForWavesPerEU: 16
; Occupancy: 10
; WaveLimiterHint : 1
; COMPUTE_PGM_RSRC2:SCRATCH_EN: 0
; COMPUTE_PGM_RSRC2:USER_SGPR: 6
; COMPUTE_PGM_RSRC2:TRAP_HANDLER: 0
; COMPUTE_PGM_RSRC2:TGID_X_EN: 1
; COMPUTE_PGM_RSRC2:TGID_Y_EN: 0
; COMPUTE_PGM_RSRC2:TGID_Z_EN: 0
; COMPUTE_PGM_RSRC2:TIDIG_COMP_CNT: 0
	.section	.text._ZN9rocsparseL20bsrxmvn_17_32_kernelILj29EfllfffEEvT2_20rocsparse_direction_NS_24const_host_device_scalarIT0_EES1_PKS1_PKT1_SA_S7_PKT3_PKT4_S5_PT5_21rocsparse_index_base_b,"axG",@progbits,_ZN9rocsparseL20bsrxmvn_17_32_kernelILj29EfllfffEEvT2_20rocsparse_direction_NS_24const_host_device_scalarIT0_EES1_PKS1_PKT1_SA_S7_PKT3_PKT4_S5_PT5_21rocsparse_index_base_b,comdat
	.globl	_ZN9rocsparseL20bsrxmvn_17_32_kernelILj29EfllfffEEvT2_20rocsparse_direction_NS_24const_host_device_scalarIT0_EES1_PKS1_PKT1_SA_S7_PKT3_PKT4_S5_PT5_21rocsparse_index_base_b ; -- Begin function _ZN9rocsparseL20bsrxmvn_17_32_kernelILj29EfllfffEEvT2_20rocsparse_direction_NS_24const_host_device_scalarIT0_EES1_PKS1_PKT1_SA_S7_PKT3_PKT4_S5_PT5_21rocsparse_index_base_b
	.p2align	8
	.type	_ZN9rocsparseL20bsrxmvn_17_32_kernelILj29EfllfffEEvT2_20rocsparse_direction_NS_24const_host_device_scalarIT0_EES1_PKS1_PKT1_SA_S7_PKT3_PKT4_S5_PT5_21rocsparse_index_base_b,@function
_ZN9rocsparseL20bsrxmvn_17_32_kernelILj29EfllfffEEvT2_20rocsparse_direction_NS_24const_host_device_scalarIT0_EES1_PKS1_PKT1_SA_S7_PKT3_PKT4_S5_PT5_21rocsparse_index_base_b: ; @_ZN9rocsparseL20bsrxmvn_17_32_kernelILj29EfllfffEEvT2_20rocsparse_direction_NS_24const_host_device_scalarIT0_EES1_PKS1_PKT1_SA_S7_PKT3_PKT4_S5_PT5_21rocsparse_index_base_b
; %bb.0:
	s_load_dwordx2 s[18:19], s[4:5], 0x60
	s_load_dwordx2 s[14:15], s[4:5], 0x10
	;; [unrolled: 1-line block ×3, first 2 shown]
	s_waitcnt lgkmcnt(0)
	s_bitcmp1_b32 s19, 0
	s_cselect_b64 s[2:3], -1, 0
	s_xor_b64 s[0:1], s[2:3], -1
	s_and_b64 vcc, exec, s[2:3]
	s_cbranch_vccnz .LBB140_2
; %bb.1:
	s_load_dword s14, s[14:15], 0x0
.LBB140_2:
	s_andn2_b64 vcc, exec, s[0:1]
	s_cbranch_vccnz .LBB140_4
; %bb.3:
	s_load_dword s12, s[12:13], 0x0
.LBB140_4:
	s_waitcnt lgkmcnt(0)
	v_cmp_neq_f32_e64 s[0:1], s14, 0
	v_cmp_neq_f32_e64 s[2:3], s12, 1.0
	s_or_b64 s[0:1], s[0:1], s[2:3]
	s_andn2_b64 vcc, exec, s[0:1]
	s_mov_b32 s7, 0
	s_cbranch_vccnz .LBB140_40
; %bb.5:
	s_load_dwordx4 s[0:3], s[4:5], 0x20
	s_load_dwordx2 s[8:9], s[4:5], 0x30
	s_waitcnt lgkmcnt(0)
	s_cmp_eq_u64 s[0:1], 0
	s_cbranch_scc1 .LBB140_7
; %bb.6:
	s_lshl_b64 s[6:7], s[6:7], 3
	s_add_u32 s0, s0, s6
	s_addc_u32 s1, s1, s7
	s_load_dwordx2 s[0:1], s[0:1], 0x0
	s_waitcnt lgkmcnt(0)
	s_sub_u32 s6, s0, s18
	s_subb_u32 s7, s1, 0
.LBB140_7:
	s_load_dword s10, s[4:5], 0x8
	s_load_dwordx2 s[16:17], s[4:5], 0x58
	v_mul_u32_u24_e32 v1, 0x8d4, v0
	v_mov_b32_e32 v2, 29
	v_mul_lo_u16_sdwa v2, v1, v2 dst_sel:DWORD dst_unused:UNUSED_PAD src0_sel:WORD_1 src1_sel:DWORD
	s_waitcnt lgkmcnt(0)
	s_cmp_eq_u32 s10, 1
	s_cselect_b64 s[0:1], -1, 0
	s_cmp_lg_u32 s10, 1
	s_cselect_b64 s[20:21], -1, 0
	s_lshl_b64 s[10:11], s[6:7], 3
	s_add_u32 s24, s2, s10
	s_addc_u32 s25, s3, s11
	s_add_u32 s2, s24, 8
	s_addc_u32 s3, s25, 0
	;; [unrolled: 2-line block ×3, first 2 shown]
	s_cmp_eq_u64 s[8:9], 0
	s_cselect_b32 s9, s3, s11
	s_cselect_b32 s8, s2, s10
	s_load_dwordx2 s[2:3], s[8:9], 0x0
	s_load_dwordx2 s[22:23], s[24:25], 0x0
	v_sub_u16_e32 v12, v0, v2
	v_lshlrev_b32_e32 v11, 2, v0
	s_waitcnt lgkmcnt(0)
	v_mov_b32_e32 v2, s2
	v_mov_b32_e32 v3, s3
	v_cmp_ge_i64_e32 vcc, s[22:23], v[2:3]
	v_mov_b32_e32 v2, 0
	s_cbranch_vccnz .LBB140_12
; %bb.8:
	s_load_dwordx4 s[8:11], s[4:5], 0x38
	s_load_dwordx2 s[24:25], s[4:5], 0x48
	s_mov_b32 s4, 0xffff
	s_movk_i32 s5, 0x349
	v_and_b32_sdwa v1, s4, v1 dst_sel:DWORD dst_unused:UNUSED_PAD src0_sel:DWORD src1_sel:WORD_1
	s_sub_u32 s2, s2, s18
	v_subrev_u32_e32 v2, 29, v1
	v_cmp_gt_u32_e32 vcc, s5, v0
	s_subb_u32 s3, s3, 0
	v_cndmask_b32_e32 v1, v2, v1, vcc
	s_sub_u32 s4, s22, s18
	v_cndmask_b32_e64 v1, v12, v1, s[0:1]
	v_mov_b32_e32 v2, 0
	s_subb_u32 s5, s23, 0
	v_lshlrev_b64 v[3:4], 2, v[1:2]
	s_mul_i32 s0, s5, 0xd24
	s_mul_hi_u32 s1, s4, 0xd24
	s_add_i32 s1, s1, s0
	s_mul_i32 s0, s4, 0xd24
	s_waitcnt lgkmcnt(0)
	v_mov_b32_e32 v1, s25
	v_add_co_u32_e32 v3, vcc, s24, v3
	s_add_u32 s0, s10, s0
	v_addc_co_u32_e32 v4, vcc, v1, v4, vcc
	s_addc_u32 s1, s11, s1
	v_mov_b32_e32 v1, s1
	v_add_co_u32_e32 v5, vcc, s0, v11
	v_addc_co_u32_e32 v6, vcc, 0, v1, vcc
	s_movk_i32 s0, 0x348
	v_cmp_lt_u32_e32 vcc, s0, v0
	v_cndmask_b32_e64 v1, 0, 1, vcc
	v_mov_b32_e32 v7, s23
	v_add_co_u32_e32 v8, vcc, s22, v1
	v_addc_co_u32_e32 v9, vcc, 0, v7, vcc
	v_subrev_co_u32_e32 v7, vcc, s18, v8
	v_subbrev_co_u32_e32 v8, vcc, 0, v9, vcc
	v_lshlrev_b64 v[7:8], 3, v[7:8]
	v_mov_b32_e32 v9, s9
	v_add_co_u32_e32 v7, vcc, s8, v7
	v_addc_co_u32_e32 v8, vcc, v9, v8, vcc
	v_mov_b32_e32 v10, s3
	s_movk_i32 s8, 0x74
	v_mov_b32_e32 v9, s2
	s_branch .LBB140_10
.LBB140_9:                              ;   in Loop: Header=BB140_10 Depth=1
	s_or_b64 exec, exec, s[0:1]
	s_add_u32 s4, s4, 1
	s_addc_u32 s5, s5, 0
	v_cmp_lt_i64_e32 vcc, s[4:5], v[9:10]
	v_add_co_u32_e64 v7, s[0:1], 8, v7
	v_addc_co_u32_e64 v8, s[0:1], 0, v8, s[0:1]
	s_cbranch_vccz .LBB140_12
.LBB140_10:                             ; =>This Inner Loop Header: Depth=1
	v_mov_b32_e32 v14, s5
	v_add_co_u32_e32 v13, vcc, s4, v1
	v_addc_co_u32_e32 v14, vcc, 0, v14, vcc
	v_cmp_gt_i64_e32 vcc, s[2:3], v[13:14]
	s_and_saveexec_b64 s[0:1], vcc
	s_cbranch_execz .LBB140_9
; %bb.11:                               ;   in Loop: Header=BB140_10 Depth=1
	global_load_dwordx2 v[13:14], v[7:8], off
	s_waitcnt vmcnt(0)
	v_subrev_co_u32_e32 v13, vcc, s18, v13
	v_subbrev_co_u32_e32 v15, vcc, 0, v14, vcc
	v_mad_u64_u32 v[13:14], s[10:11], v13, s8, v[3:4]
	v_mad_u64_u32 v[14:15], s[10:11], v15, s8, v[14:15]
	global_load_dword v15, v[5:6], off
	s_nop 0
	global_load_dword v13, v[13:14], off
	v_add_co_u32_e32 v5, vcc, 0xd24, v5
	v_addc_co_u32_e32 v6, vcc, 0, v6, vcc
	s_waitcnt vmcnt(0)
	v_fmac_f32_e32 v2, v15, v13
	s_branch .LBB140_9
.LBB140_12:
	s_and_b64 vcc, exec, s[20:21]
	ds_write_b32 v11, v2
	s_waitcnt lgkmcnt(0)
	s_barrier
	s_cbranch_vccz .LBB140_24
; %bb.13:
	v_cmp_gt_u16_e32 vcc, 13, v12
	s_and_saveexec_b64 s[0:1], vcc
	s_cbranch_execz .LBB140_15
; %bb.14:
	ds_read2_b32 v[3:4], v11 offset1:16
	s_waitcnt lgkmcnt(0)
	v_add_f32_e32 v1, v4, v3
	ds_write_b32 v11, v1
.LBB140_15:
	s_or_b64 exec, exec, s[0:1]
	v_cmp_gt_u16_e32 vcc, 8, v12
	s_waitcnt lgkmcnt(0)
	s_barrier
	s_and_saveexec_b64 s[0:1], vcc
	s_cbranch_execz .LBB140_17
; %bb.16:
	ds_read2_b32 v[3:4], v11 offset1:8
	s_waitcnt lgkmcnt(0)
	v_add_f32_e32 v1, v4, v3
	ds_write_b32 v11, v1
.LBB140_17:
	s_or_b64 exec, exec, s[0:1]
	v_cmp_gt_u16_e32 vcc, 4, v12
	s_waitcnt lgkmcnt(0)
	s_barrier
	;; [unrolled: 12-line block ×3, first 2 shown]
	s_and_saveexec_b64 s[0:1], vcc
	s_cbranch_execz .LBB140_21
; %bb.20:
	ds_read2_b32 v[3:4], v11 offset1:2
	s_waitcnt lgkmcnt(0)
	v_add_f32_e32 v1, v4, v3
	ds_write_b32 v11, v1
.LBB140_21:
	s_or_b64 exec, exec, s[0:1]
	v_cmp_gt_u32_e32 vcc, 29, v0
	v_mov_b32_e32 v1, v2
	s_waitcnt lgkmcnt(0)
	s_barrier
	s_and_saveexec_b64 s[0:1], vcc
	s_cbranch_execz .LBB140_23
; %bb.22:
	s_movk_i32 s2, 0x70
	v_mad_u32_u24 v1, v0, s2, v11
	ds_read2_b32 v[3:4], v1 offset1:1
	s_waitcnt lgkmcnt(0)
	v_add_f32_e32 v1, v3, v4
.LBB140_23:
	s_or_b64 exec, exec, s[0:1]
	s_branch .LBB140_36
.LBB140_24:
                                        ; implicit-def: $vgpr1
	s_cbranch_execz .LBB140_36
; %bb.25:
	s_movk_i32 s0, 0x179
	v_cmp_gt_u32_e32 vcc, s0, v0
	s_and_saveexec_b64 s[0:1], vcc
	s_cbranch_execz .LBB140_27
; %bb.26:
	ds_read_b32 v1, v11 offset:1856
	ds_read_b32 v3, v11
	s_waitcnt lgkmcnt(0)
	v_add_f32_e32 v1, v1, v3
	ds_write_b32 v11, v1
.LBB140_27:
	s_or_b64 exec, exec, s[0:1]
	s_movk_i32 s0, 0xe8
	v_cmp_gt_u32_e32 vcc, s0, v0
	s_waitcnt lgkmcnt(0)
	s_barrier
	s_and_saveexec_b64 s[0:1], vcc
	s_cbranch_execz .LBB140_29
; %bb.28:
	ds_read2_b32 v[3:4], v11 offset1:232
	s_waitcnt lgkmcnt(0)
	v_add_f32_e32 v1, v4, v3
	ds_write_b32 v11, v1
.LBB140_29:
	s_or_b64 exec, exec, s[0:1]
	s_movk_i32 s0, 0x74
	v_cmp_gt_u32_e32 vcc, s0, v0
	s_waitcnt lgkmcnt(0)
	s_barrier
	s_and_saveexec_b64 s[0:1], vcc
	s_cbranch_execz .LBB140_31
; %bb.30:
	ds_read2_b32 v[3:4], v11 offset1:116
	s_waitcnt lgkmcnt(0)
	v_add_f32_e32 v1, v4, v3
	ds_write_b32 v11, v1
.LBB140_31:
	s_or_b64 exec, exec, s[0:1]
	v_cmp_gt_u32_e32 vcc, 58, v0
	s_waitcnt lgkmcnt(0)
	s_barrier
	s_and_saveexec_b64 s[0:1], vcc
	s_cbranch_execz .LBB140_33
; %bb.32:
	ds_read2_b32 v[3:4], v11 offset1:58
	s_waitcnt lgkmcnt(0)
	v_add_f32_e32 v1, v4, v3
	ds_write_b32 v11, v1
.LBB140_33:
	s_or_b64 exec, exec, s[0:1]
	v_cmp_gt_u32_e32 vcc, 29, v0
	s_waitcnt lgkmcnt(0)
	s_and_saveexec_b64 s[0:1], vcc
	s_cbranch_execz .LBB140_35
; %bb.34:
	ds_read2_b32 v[1:2], v11 offset1:29
	s_waitcnt lgkmcnt(0)
	v_add_f32_e32 v2, v1, v2
.LBB140_35:
	s_or_b64 exec, exec, s[0:1]
	v_mov_b32_e32 v1, v2
.LBB140_36:
	v_cmp_gt_u32_e32 vcc, 29, v0
	s_and_saveexec_b64 s[0:1], vcc
	s_cbranch_execz .LBB140_40
; %bb.37:
	v_cmp_eq_f32_e64 s[0:1], s12, 0
	s_and_b64 vcc, exec, s[0:1]
	v_mul_f32_e32 v0, s14, v1
	s_mul_i32 s2, s7, 0x74
	s_mul_hi_u32 s3, s6, 0x74
	s_mul_i32 s4, s6, 0x74
	s_cbranch_vccz .LBB140_41
; %bb.38:
	s_add_i32 s1, s3, s2
	s_add_u32 s0, s16, s4
	s_addc_u32 s1, s17, s1
	global_store_dword v11, v0, s[0:1]
	s_cbranch_execnz .LBB140_40
.LBB140_39:
	s_add_i32 s3, s3, s2
	s_add_u32 s0, s16, s4
	s_addc_u32 s1, s17, s3
	global_load_dword v1, v11, s[0:1]
	s_waitcnt vmcnt(0)
	v_fmac_f32_e32 v0, s12, v1
	global_store_dword v11, v0, s[0:1]
.LBB140_40:
	s_endpgm
.LBB140_41:
	s_branch .LBB140_39
	.section	.rodata,"a",@progbits
	.p2align	6, 0x0
	.amdhsa_kernel _ZN9rocsparseL20bsrxmvn_17_32_kernelILj29EfllfffEEvT2_20rocsparse_direction_NS_24const_host_device_scalarIT0_EES1_PKS1_PKT1_SA_S7_PKT3_PKT4_S5_PT5_21rocsparse_index_base_b
		.amdhsa_group_segment_fixed_size 3364
		.amdhsa_private_segment_fixed_size 0
		.amdhsa_kernarg_size 104
		.amdhsa_user_sgpr_count 6
		.amdhsa_user_sgpr_private_segment_buffer 1
		.amdhsa_user_sgpr_dispatch_ptr 0
		.amdhsa_user_sgpr_queue_ptr 0
		.amdhsa_user_sgpr_kernarg_segment_ptr 1
		.amdhsa_user_sgpr_dispatch_id 0
		.amdhsa_user_sgpr_flat_scratch_init 0
		.amdhsa_user_sgpr_private_segment_size 0
		.amdhsa_uses_dynamic_stack 0
		.amdhsa_system_sgpr_private_segment_wavefront_offset 0
		.amdhsa_system_sgpr_workgroup_id_x 1
		.amdhsa_system_sgpr_workgroup_id_y 0
		.amdhsa_system_sgpr_workgroup_id_z 0
		.amdhsa_system_sgpr_workgroup_info 0
		.amdhsa_system_vgpr_workitem_id 0
		.amdhsa_next_free_vgpr 33
		.amdhsa_next_free_sgpr 77
		.amdhsa_reserve_vcc 1
		.amdhsa_reserve_flat_scratch 0
		.amdhsa_float_round_mode_32 0
		.amdhsa_float_round_mode_16_64 0
		.amdhsa_float_denorm_mode_32 3
		.amdhsa_float_denorm_mode_16_64 3
		.amdhsa_dx10_clamp 1
		.amdhsa_ieee_mode 1
		.amdhsa_fp16_overflow 0
		.amdhsa_exception_fp_ieee_invalid_op 0
		.amdhsa_exception_fp_denorm_src 0
		.amdhsa_exception_fp_ieee_div_zero 0
		.amdhsa_exception_fp_ieee_overflow 0
		.amdhsa_exception_fp_ieee_underflow 0
		.amdhsa_exception_fp_ieee_inexact 0
		.amdhsa_exception_int_div_zero 0
	.end_amdhsa_kernel
	.section	.text._ZN9rocsparseL20bsrxmvn_17_32_kernelILj29EfllfffEEvT2_20rocsparse_direction_NS_24const_host_device_scalarIT0_EES1_PKS1_PKT1_SA_S7_PKT3_PKT4_S5_PT5_21rocsparse_index_base_b,"axG",@progbits,_ZN9rocsparseL20bsrxmvn_17_32_kernelILj29EfllfffEEvT2_20rocsparse_direction_NS_24const_host_device_scalarIT0_EES1_PKS1_PKT1_SA_S7_PKT3_PKT4_S5_PT5_21rocsparse_index_base_b,comdat
.Lfunc_end140:
	.size	_ZN9rocsparseL20bsrxmvn_17_32_kernelILj29EfllfffEEvT2_20rocsparse_direction_NS_24const_host_device_scalarIT0_EES1_PKS1_PKT1_SA_S7_PKT3_PKT4_S5_PT5_21rocsparse_index_base_b, .Lfunc_end140-_ZN9rocsparseL20bsrxmvn_17_32_kernelILj29EfllfffEEvT2_20rocsparse_direction_NS_24const_host_device_scalarIT0_EES1_PKS1_PKT1_SA_S7_PKT3_PKT4_S5_PT5_21rocsparse_index_base_b
                                        ; -- End function
	.set _ZN9rocsparseL20bsrxmvn_17_32_kernelILj29EfllfffEEvT2_20rocsparse_direction_NS_24const_host_device_scalarIT0_EES1_PKS1_PKT1_SA_S7_PKT3_PKT4_S5_PT5_21rocsparse_index_base_b.num_vgpr, 16
	.set _ZN9rocsparseL20bsrxmvn_17_32_kernelILj29EfllfffEEvT2_20rocsparse_direction_NS_24const_host_device_scalarIT0_EES1_PKS1_PKT1_SA_S7_PKT3_PKT4_S5_PT5_21rocsparse_index_base_b.num_agpr, 0
	.set _ZN9rocsparseL20bsrxmvn_17_32_kernelILj29EfllfffEEvT2_20rocsparse_direction_NS_24const_host_device_scalarIT0_EES1_PKS1_PKT1_SA_S7_PKT3_PKT4_S5_PT5_21rocsparse_index_base_b.numbered_sgpr, 26
	.set _ZN9rocsparseL20bsrxmvn_17_32_kernelILj29EfllfffEEvT2_20rocsparse_direction_NS_24const_host_device_scalarIT0_EES1_PKS1_PKT1_SA_S7_PKT3_PKT4_S5_PT5_21rocsparse_index_base_b.num_named_barrier, 0
	.set _ZN9rocsparseL20bsrxmvn_17_32_kernelILj29EfllfffEEvT2_20rocsparse_direction_NS_24const_host_device_scalarIT0_EES1_PKS1_PKT1_SA_S7_PKT3_PKT4_S5_PT5_21rocsparse_index_base_b.private_seg_size, 0
	.set _ZN9rocsparseL20bsrxmvn_17_32_kernelILj29EfllfffEEvT2_20rocsparse_direction_NS_24const_host_device_scalarIT0_EES1_PKS1_PKT1_SA_S7_PKT3_PKT4_S5_PT5_21rocsparse_index_base_b.uses_vcc, 1
	.set _ZN9rocsparseL20bsrxmvn_17_32_kernelILj29EfllfffEEvT2_20rocsparse_direction_NS_24const_host_device_scalarIT0_EES1_PKS1_PKT1_SA_S7_PKT3_PKT4_S5_PT5_21rocsparse_index_base_b.uses_flat_scratch, 0
	.set _ZN9rocsparseL20bsrxmvn_17_32_kernelILj29EfllfffEEvT2_20rocsparse_direction_NS_24const_host_device_scalarIT0_EES1_PKS1_PKT1_SA_S7_PKT3_PKT4_S5_PT5_21rocsparse_index_base_b.has_dyn_sized_stack, 0
	.set _ZN9rocsparseL20bsrxmvn_17_32_kernelILj29EfllfffEEvT2_20rocsparse_direction_NS_24const_host_device_scalarIT0_EES1_PKS1_PKT1_SA_S7_PKT3_PKT4_S5_PT5_21rocsparse_index_base_b.has_recursion, 0
	.set _ZN9rocsparseL20bsrxmvn_17_32_kernelILj29EfllfffEEvT2_20rocsparse_direction_NS_24const_host_device_scalarIT0_EES1_PKS1_PKT1_SA_S7_PKT3_PKT4_S5_PT5_21rocsparse_index_base_b.has_indirect_call, 0
	.section	.AMDGPU.csdata,"",@progbits
; Kernel info:
; codeLenInByte = 1312
; TotalNumSgprs: 30
; NumVgprs: 16
; ScratchSize: 0
; MemoryBound: 0
; FloatMode: 240
; IeeeMode: 1
; LDSByteSize: 3364 bytes/workgroup (compile time only)
; SGPRBlocks: 10
; VGPRBlocks: 8
; NumSGPRsForWavesPerEU: 81
; NumVGPRsForWavesPerEU: 33
; Occupancy: 7
; WaveLimiterHint : 1
; COMPUTE_PGM_RSRC2:SCRATCH_EN: 0
; COMPUTE_PGM_RSRC2:USER_SGPR: 6
; COMPUTE_PGM_RSRC2:TRAP_HANDLER: 0
; COMPUTE_PGM_RSRC2:TGID_X_EN: 1
; COMPUTE_PGM_RSRC2:TGID_Y_EN: 0
; COMPUTE_PGM_RSRC2:TGID_Z_EN: 0
; COMPUTE_PGM_RSRC2:TIDIG_COMP_CNT: 0
	.section	.text._ZN9rocsparseL20bsrxmvn_17_32_kernelILj30EfllfffEEvT2_20rocsparse_direction_NS_24const_host_device_scalarIT0_EES1_PKS1_PKT1_SA_S7_PKT3_PKT4_S5_PT5_21rocsparse_index_base_b,"axG",@progbits,_ZN9rocsparseL20bsrxmvn_17_32_kernelILj30EfllfffEEvT2_20rocsparse_direction_NS_24const_host_device_scalarIT0_EES1_PKS1_PKT1_SA_S7_PKT3_PKT4_S5_PT5_21rocsparse_index_base_b,comdat
	.globl	_ZN9rocsparseL20bsrxmvn_17_32_kernelILj30EfllfffEEvT2_20rocsparse_direction_NS_24const_host_device_scalarIT0_EES1_PKS1_PKT1_SA_S7_PKT3_PKT4_S5_PT5_21rocsparse_index_base_b ; -- Begin function _ZN9rocsparseL20bsrxmvn_17_32_kernelILj30EfllfffEEvT2_20rocsparse_direction_NS_24const_host_device_scalarIT0_EES1_PKS1_PKT1_SA_S7_PKT3_PKT4_S5_PT5_21rocsparse_index_base_b
	.p2align	8
	.type	_ZN9rocsparseL20bsrxmvn_17_32_kernelILj30EfllfffEEvT2_20rocsparse_direction_NS_24const_host_device_scalarIT0_EES1_PKS1_PKT1_SA_S7_PKT3_PKT4_S5_PT5_21rocsparse_index_base_b,@function
_ZN9rocsparseL20bsrxmvn_17_32_kernelILj30EfllfffEEvT2_20rocsparse_direction_NS_24const_host_device_scalarIT0_EES1_PKS1_PKT1_SA_S7_PKT3_PKT4_S5_PT5_21rocsparse_index_base_b: ; @_ZN9rocsparseL20bsrxmvn_17_32_kernelILj30EfllfffEEvT2_20rocsparse_direction_NS_24const_host_device_scalarIT0_EES1_PKS1_PKT1_SA_S7_PKT3_PKT4_S5_PT5_21rocsparse_index_base_b
; %bb.0:
	s_load_dwordx2 s[18:19], s[4:5], 0x60
	s_load_dwordx2 s[14:15], s[4:5], 0x10
	;; [unrolled: 1-line block ×3, first 2 shown]
	s_waitcnt lgkmcnt(0)
	s_bitcmp1_b32 s19, 0
	s_cselect_b64 s[2:3], -1, 0
	s_xor_b64 s[0:1], s[2:3], -1
	s_and_b64 vcc, exec, s[2:3]
	s_cbranch_vccnz .LBB141_2
; %bb.1:
	s_load_dword s14, s[14:15], 0x0
.LBB141_2:
	s_andn2_b64 vcc, exec, s[0:1]
	s_cbranch_vccnz .LBB141_4
; %bb.3:
	s_load_dword s12, s[12:13], 0x0
.LBB141_4:
	s_waitcnt lgkmcnt(0)
	v_cmp_neq_f32_e64 s[0:1], s14, 0
	v_cmp_neq_f32_e64 s[2:3], s12, 1.0
	s_or_b64 s[0:1], s[0:1], s[2:3]
	s_andn2_b64 vcc, exec, s[0:1]
	s_mov_b32 s7, 0
	s_cbranch_vccnz .LBB141_40
; %bb.5:
	s_load_dwordx4 s[0:3], s[4:5], 0x20
	s_load_dwordx2 s[8:9], s[4:5], 0x30
	s_waitcnt lgkmcnt(0)
	s_cmp_eq_u64 s[0:1], 0
	s_cbranch_scc1 .LBB141_7
; %bb.6:
	s_lshl_b64 s[6:7], s[6:7], 3
	s_add_u32 s0, s0, s6
	s_addc_u32 s1, s1, s7
	s_load_dwordx2 s[0:1], s[0:1], 0x0
	s_waitcnt lgkmcnt(0)
	s_sub_u32 s6, s0, s18
	s_subb_u32 s7, s1, 0
.LBB141_7:
	s_load_dword s10, s[4:5], 0x8
	s_load_dwordx2 s[16:17], s[4:5], 0x58
	v_mul_u32_u24_e32 v1, 0x889, v0
	v_mov_b32_e32 v2, 30
	v_mul_lo_u16_sdwa v2, v1, v2 dst_sel:DWORD dst_unused:UNUSED_PAD src0_sel:WORD_1 src1_sel:DWORD
	s_waitcnt lgkmcnt(0)
	s_cmp_eq_u32 s10, 1
	s_cselect_b64 s[0:1], -1, 0
	s_cmp_lg_u32 s10, 1
	s_cselect_b64 s[20:21], -1, 0
	s_lshl_b64 s[10:11], s[6:7], 3
	s_add_u32 s24, s2, s10
	s_addc_u32 s25, s3, s11
	s_add_u32 s2, s24, 8
	s_addc_u32 s3, s25, 0
	s_add_u32 s10, s8, s10
	s_addc_u32 s11, s9, s11
	s_cmp_eq_u64 s[8:9], 0
	s_cselect_b32 s9, s3, s11
	s_cselect_b32 s8, s2, s10
	s_load_dwordx2 s[2:3], s[8:9], 0x0
	s_load_dwordx2 s[22:23], s[24:25], 0x0
	v_sub_u16_e32 v12, v0, v2
	v_lshlrev_b32_e32 v11, 2, v0
	s_waitcnt lgkmcnt(0)
	v_mov_b32_e32 v2, s2
	v_mov_b32_e32 v3, s3
	v_cmp_ge_i64_e32 vcc, s[22:23], v[2:3]
	v_mov_b32_e32 v2, 0
	s_cbranch_vccnz .LBB141_12
; %bb.8:
	s_load_dwordx4 s[8:11], s[4:5], 0x38
	s_load_dwordx2 s[24:25], s[4:5], 0x48
	s_mov_b32 s4, 0xffff
	s_movk_i32 s5, 0x384
	v_and_b32_sdwa v1, s4, v1 dst_sel:DWORD dst_unused:UNUSED_PAD src0_sel:DWORD src1_sel:WORD_1
	s_sub_u32 s2, s2, s18
	v_subrev_u32_e32 v2, 30, v1
	v_cmp_gt_u32_e32 vcc, s5, v0
	s_subb_u32 s3, s3, 0
	v_cndmask_b32_e32 v1, v2, v1, vcc
	s_sub_u32 s4, s22, s18
	v_cndmask_b32_e64 v1, v12, v1, s[0:1]
	v_mov_b32_e32 v2, 0
	s_subb_u32 s5, s23, 0
	v_lshlrev_b64 v[3:4], 2, v[1:2]
	s_mul_i32 s0, s5, 0xe10
	s_mul_hi_u32 s1, s4, 0xe10
	s_add_i32 s1, s1, s0
	s_mul_i32 s0, s4, 0xe10
	s_waitcnt lgkmcnt(0)
	v_mov_b32_e32 v1, s25
	v_add_co_u32_e32 v3, vcc, s24, v3
	s_add_u32 s0, s10, s0
	v_addc_co_u32_e32 v4, vcc, v1, v4, vcc
	s_addc_u32 s1, s11, s1
	v_mov_b32_e32 v1, s1
	v_add_co_u32_e32 v5, vcc, s0, v11
	v_addc_co_u32_e32 v6, vcc, 0, v1, vcc
	s_movk_i32 s0, 0x383
	v_cmp_lt_u32_e32 vcc, s0, v0
	v_cndmask_b32_e64 v1, 0, 1, vcc
	v_mov_b32_e32 v7, s23
	v_add_co_u32_e32 v8, vcc, s22, v1
	v_addc_co_u32_e32 v9, vcc, 0, v7, vcc
	v_subrev_co_u32_e32 v7, vcc, s18, v8
	v_subbrev_co_u32_e32 v8, vcc, 0, v9, vcc
	v_lshlrev_b64 v[7:8], 3, v[7:8]
	v_mov_b32_e32 v9, s9
	v_add_co_u32_e32 v7, vcc, s8, v7
	v_addc_co_u32_e32 v8, vcc, v9, v8, vcc
	v_mov_b32_e32 v10, s3
	s_movk_i32 s8, 0x78
	v_mov_b32_e32 v9, s2
	s_branch .LBB141_10
.LBB141_9:                              ;   in Loop: Header=BB141_10 Depth=1
	s_or_b64 exec, exec, s[0:1]
	s_add_u32 s4, s4, 1
	s_addc_u32 s5, s5, 0
	v_cmp_lt_i64_e32 vcc, s[4:5], v[9:10]
	v_add_co_u32_e64 v7, s[0:1], 8, v7
	v_addc_co_u32_e64 v8, s[0:1], 0, v8, s[0:1]
	s_cbranch_vccz .LBB141_12
.LBB141_10:                             ; =>This Inner Loop Header: Depth=1
	v_mov_b32_e32 v14, s5
	v_add_co_u32_e32 v13, vcc, s4, v1
	v_addc_co_u32_e32 v14, vcc, 0, v14, vcc
	v_cmp_gt_i64_e32 vcc, s[2:3], v[13:14]
	s_and_saveexec_b64 s[0:1], vcc
	s_cbranch_execz .LBB141_9
; %bb.11:                               ;   in Loop: Header=BB141_10 Depth=1
	global_load_dwordx2 v[13:14], v[7:8], off
	s_waitcnt vmcnt(0)
	v_subrev_co_u32_e32 v13, vcc, s18, v13
	v_subbrev_co_u32_e32 v15, vcc, 0, v14, vcc
	v_mad_u64_u32 v[13:14], s[10:11], v13, s8, v[3:4]
	v_mad_u64_u32 v[14:15], s[10:11], v15, s8, v[14:15]
	global_load_dword v15, v[5:6], off
	s_nop 0
	global_load_dword v13, v[13:14], off
	v_add_co_u32_e32 v5, vcc, 0xe10, v5
	v_addc_co_u32_e32 v6, vcc, 0, v6, vcc
	s_waitcnt vmcnt(0)
	v_fmac_f32_e32 v2, v15, v13
	s_branch .LBB141_9
.LBB141_12:
	s_and_b64 vcc, exec, s[20:21]
	ds_write_b32 v11, v2
	s_waitcnt lgkmcnt(0)
	s_barrier
	s_cbranch_vccz .LBB141_24
; %bb.13:
	v_cmp_gt_u16_e32 vcc, 14, v12
	s_and_saveexec_b64 s[0:1], vcc
	s_cbranch_execz .LBB141_15
; %bb.14:
	ds_read2_b32 v[3:4], v11 offset1:16
	s_waitcnt lgkmcnt(0)
	v_add_f32_e32 v1, v4, v3
	ds_write_b32 v11, v1
.LBB141_15:
	s_or_b64 exec, exec, s[0:1]
	v_cmp_gt_u16_e32 vcc, 8, v12
	s_waitcnt lgkmcnt(0)
	s_barrier
	s_and_saveexec_b64 s[0:1], vcc
	s_cbranch_execz .LBB141_17
; %bb.16:
	ds_read2_b32 v[3:4], v11 offset1:8
	s_waitcnt lgkmcnt(0)
	v_add_f32_e32 v1, v4, v3
	ds_write_b32 v11, v1
.LBB141_17:
	s_or_b64 exec, exec, s[0:1]
	v_cmp_gt_u16_e32 vcc, 4, v12
	s_waitcnt lgkmcnt(0)
	s_barrier
	;; [unrolled: 12-line block ×3, first 2 shown]
	s_and_saveexec_b64 s[0:1], vcc
	s_cbranch_execz .LBB141_21
; %bb.20:
	ds_read2_b32 v[3:4], v11 offset1:2
	s_waitcnt lgkmcnt(0)
	v_add_f32_e32 v1, v4, v3
	ds_write_b32 v11, v1
.LBB141_21:
	s_or_b64 exec, exec, s[0:1]
	v_cmp_gt_u32_e32 vcc, 30, v0
	v_mov_b32_e32 v1, v2
	s_waitcnt lgkmcnt(0)
	s_barrier
	s_and_saveexec_b64 s[0:1], vcc
	s_cbranch_execz .LBB141_23
; %bb.22:
	s_movk_i32 s2, 0x74
	v_mad_u32_u24 v1, v0, s2, v11
	ds_read_b64 v[3:4], v1
	s_waitcnt lgkmcnt(0)
	v_add_f32_e32 v1, v3, v4
.LBB141_23:
	s_or_b64 exec, exec, s[0:1]
	s_branch .LBB141_36
.LBB141_24:
                                        ; implicit-def: $vgpr1
	s_cbranch_execz .LBB141_36
; %bb.25:
	s_movk_i32 s0, 0x1a4
	v_cmp_gt_u32_e32 vcc, s0, v0
	s_and_saveexec_b64 s[0:1], vcc
	s_cbranch_execz .LBB141_27
; %bb.26:
	ds_read_b32 v1, v11 offset:1920
	ds_read_b32 v3, v11
	s_waitcnt lgkmcnt(0)
	v_add_f32_e32 v1, v1, v3
	ds_write_b32 v11, v1
.LBB141_27:
	s_or_b64 exec, exec, s[0:1]
	s_movk_i32 s0, 0xf0
	v_cmp_gt_u32_e32 vcc, s0, v0
	s_waitcnt lgkmcnt(0)
	s_barrier
	s_and_saveexec_b64 s[0:1], vcc
	s_cbranch_execz .LBB141_29
; %bb.28:
	ds_read2_b32 v[3:4], v11 offset1:240
	s_waitcnt lgkmcnt(0)
	v_add_f32_e32 v1, v4, v3
	ds_write_b32 v11, v1
.LBB141_29:
	s_or_b64 exec, exec, s[0:1]
	s_movk_i32 s0, 0x78
	v_cmp_gt_u32_e32 vcc, s0, v0
	s_waitcnt lgkmcnt(0)
	s_barrier
	s_and_saveexec_b64 s[0:1], vcc
	s_cbranch_execz .LBB141_31
; %bb.30:
	ds_read2_b32 v[3:4], v11 offset1:120
	s_waitcnt lgkmcnt(0)
	v_add_f32_e32 v1, v4, v3
	ds_write_b32 v11, v1
.LBB141_31:
	s_or_b64 exec, exec, s[0:1]
	v_cmp_gt_u32_e32 vcc, 60, v0
	s_waitcnt lgkmcnt(0)
	s_barrier
	s_and_saveexec_b64 s[0:1], vcc
	s_cbranch_execz .LBB141_33
; %bb.32:
	ds_read2_b32 v[3:4], v11 offset1:60
	s_waitcnt lgkmcnt(0)
	v_add_f32_e32 v1, v4, v3
	ds_write_b32 v11, v1
.LBB141_33:
	s_or_b64 exec, exec, s[0:1]
	v_cmp_gt_u32_e32 vcc, 30, v0
	s_waitcnt lgkmcnt(0)
	s_and_saveexec_b64 s[0:1], vcc
	s_cbranch_execz .LBB141_35
; %bb.34:
	ds_read2_b32 v[1:2], v11 offset1:30
	s_waitcnt lgkmcnt(0)
	v_add_f32_e32 v2, v1, v2
.LBB141_35:
	s_or_b64 exec, exec, s[0:1]
	v_mov_b32_e32 v1, v2
.LBB141_36:
	v_cmp_gt_u32_e32 vcc, 30, v0
	s_and_saveexec_b64 s[0:1], vcc
	s_cbranch_execz .LBB141_40
; %bb.37:
	v_cmp_eq_f32_e64 s[0:1], s12, 0
	s_and_b64 vcc, exec, s[0:1]
	v_mul_f32_e32 v0, s14, v1
	s_mul_i32 s2, s7, 0x78
	s_mul_hi_u32 s3, s6, 0x78
	s_mul_i32 s4, s6, 0x78
	s_cbranch_vccz .LBB141_41
; %bb.38:
	s_add_i32 s1, s3, s2
	s_add_u32 s0, s16, s4
	s_addc_u32 s1, s17, s1
	global_store_dword v11, v0, s[0:1]
	s_cbranch_execnz .LBB141_40
.LBB141_39:
	s_add_i32 s3, s3, s2
	s_add_u32 s0, s16, s4
	s_addc_u32 s1, s17, s3
	global_load_dword v1, v11, s[0:1]
	s_waitcnt vmcnt(0)
	v_fmac_f32_e32 v0, s12, v1
	global_store_dword v11, v0, s[0:1]
.LBB141_40:
	s_endpgm
.LBB141_41:
	s_branch .LBB141_39
	.section	.rodata,"a",@progbits
	.p2align	6, 0x0
	.amdhsa_kernel _ZN9rocsparseL20bsrxmvn_17_32_kernelILj30EfllfffEEvT2_20rocsparse_direction_NS_24const_host_device_scalarIT0_EES1_PKS1_PKT1_SA_S7_PKT3_PKT4_S5_PT5_21rocsparse_index_base_b
		.amdhsa_group_segment_fixed_size 3600
		.amdhsa_private_segment_fixed_size 0
		.amdhsa_kernarg_size 104
		.amdhsa_user_sgpr_count 6
		.amdhsa_user_sgpr_private_segment_buffer 1
		.amdhsa_user_sgpr_dispatch_ptr 0
		.amdhsa_user_sgpr_queue_ptr 0
		.amdhsa_user_sgpr_kernarg_segment_ptr 1
		.amdhsa_user_sgpr_dispatch_id 0
		.amdhsa_user_sgpr_flat_scratch_init 0
		.amdhsa_user_sgpr_private_segment_size 0
		.amdhsa_uses_dynamic_stack 0
		.amdhsa_system_sgpr_private_segment_wavefront_offset 0
		.amdhsa_system_sgpr_workgroup_id_x 1
		.amdhsa_system_sgpr_workgroup_id_y 0
		.amdhsa_system_sgpr_workgroup_id_z 0
		.amdhsa_system_sgpr_workgroup_info 0
		.amdhsa_system_vgpr_workitem_id 0
		.amdhsa_next_free_vgpr 29
		.amdhsa_next_free_sgpr 61
		.amdhsa_reserve_vcc 1
		.amdhsa_reserve_flat_scratch 0
		.amdhsa_float_round_mode_32 0
		.amdhsa_float_round_mode_16_64 0
		.amdhsa_float_denorm_mode_32 3
		.amdhsa_float_denorm_mode_16_64 3
		.amdhsa_dx10_clamp 1
		.amdhsa_ieee_mode 1
		.amdhsa_fp16_overflow 0
		.amdhsa_exception_fp_ieee_invalid_op 0
		.amdhsa_exception_fp_denorm_src 0
		.amdhsa_exception_fp_ieee_div_zero 0
		.amdhsa_exception_fp_ieee_overflow 0
		.amdhsa_exception_fp_ieee_underflow 0
		.amdhsa_exception_fp_ieee_inexact 0
		.amdhsa_exception_int_div_zero 0
	.end_amdhsa_kernel
	.section	.text._ZN9rocsparseL20bsrxmvn_17_32_kernelILj30EfllfffEEvT2_20rocsparse_direction_NS_24const_host_device_scalarIT0_EES1_PKS1_PKT1_SA_S7_PKT3_PKT4_S5_PT5_21rocsparse_index_base_b,"axG",@progbits,_ZN9rocsparseL20bsrxmvn_17_32_kernelILj30EfllfffEEvT2_20rocsparse_direction_NS_24const_host_device_scalarIT0_EES1_PKS1_PKT1_SA_S7_PKT3_PKT4_S5_PT5_21rocsparse_index_base_b,comdat
.Lfunc_end141:
	.size	_ZN9rocsparseL20bsrxmvn_17_32_kernelILj30EfllfffEEvT2_20rocsparse_direction_NS_24const_host_device_scalarIT0_EES1_PKS1_PKT1_SA_S7_PKT3_PKT4_S5_PT5_21rocsparse_index_base_b, .Lfunc_end141-_ZN9rocsparseL20bsrxmvn_17_32_kernelILj30EfllfffEEvT2_20rocsparse_direction_NS_24const_host_device_scalarIT0_EES1_PKS1_PKT1_SA_S7_PKT3_PKT4_S5_PT5_21rocsparse_index_base_b
                                        ; -- End function
	.set _ZN9rocsparseL20bsrxmvn_17_32_kernelILj30EfllfffEEvT2_20rocsparse_direction_NS_24const_host_device_scalarIT0_EES1_PKS1_PKT1_SA_S7_PKT3_PKT4_S5_PT5_21rocsparse_index_base_b.num_vgpr, 16
	.set _ZN9rocsparseL20bsrxmvn_17_32_kernelILj30EfllfffEEvT2_20rocsparse_direction_NS_24const_host_device_scalarIT0_EES1_PKS1_PKT1_SA_S7_PKT3_PKT4_S5_PT5_21rocsparse_index_base_b.num_agpr, 0
	.set _ZN9rocsparseL20bsrxmvn_17_32_kernelILj30EfllfffEEvT2_20rocsparse_direction_NS_24const_host_device_scalarIT0_EES1_PKS1_PKT1_SA_S7_PKT3_PKT4_S5_PT5_21rocsparse_index_base_b.numbered_sgpr, 26
	.set _ZN9rocsparseL20bsrxmvn_17_32_kernelILj30EfllfffEEvT2_20rocsparse_direction_NS_24const_host_device_scalarIT0_EES1_PKS1_PKT1_SA_S7_PKT3_PKT4_S5_PT5_21rocsparse_index_base_b.num_named_barrier, 0
	.set _ZN9rocsparseL20bsrxmvn_17_32_kernelILj30EfllfffEEvT2_20rocsparse_direction_NS_24const_host_device_scalarIT0_EES1_PKS1_PKT1_SA_S7_PKT3_PKT4_S5_PT5_21rocsparse_index_base_b.private_seg_size, 0
	.set _ZN9rocsparseL20bsrxmvn_17_32_kernelILj30EfllfffEEvT2_20rocsparse_direction_NS_24const_host_device_scalarIT0_EES1_PKS1_PKT1_SA_S7_PKT3_PKT4_S5_PT5_21rocsparse_index_base_b.uses_vcc, 1
	.set _ZN9rocsparseL20bsrxmvn_17_32_kernelILj30EfllfffEEvT2_20rocsparse_direction_NS_24const_host_device_scalarIT0_EES1_PKS1_PKT1_SA_S7_PKT3_PKT4_S5_PT5_21rocsparse_index_base_b.uses_flat_scratch, 0
	.set _ZN9rocsparseL20bsrxmvn_17_32_kernelILj30EfllfffEEvT2_20rocsparse_direction_NS_24const_host_device_scalarIT0_EES1_PKS1_PKT1_SA_S7_PKT3_PKT4_S5_PT5_21rocsparse_index_base_b.has_dyn_sized_stack, 0
	.set _ZN9rocsparseL20bsrxmvn_17_32_kernelILj30EfllfffEEvT2_20rocsparse_direction_NS_24const_host_device_scalarIT0_EES1_PKS1_PKT1_SA_S7_PKT3_PKT4_S5_PT5_21rocsparse_index_base_b.has_recursion, 0
	.set _ZN9rocsparseL20bsrxmvn_17_32_kernelILj30EfllfffEEvT2_20rocsparse_direction_NS_24const_host_device_scalarIT0_EES1_PKS1_PKT1_SA_S7_PKT3_PKT4_S5_PT5_21rocsparse_index_base_b.has_indirect_call, 0
	.section	.AMDGPU.csdata,"",@progbits
; Kernel info:
; codeLenInByte = 1312
; TotalNumSgprs: 30
; NumVgprs: 16
; ScratchSize: 0
; MemoryBound: 0
; FloatMode: 240
; IeeeMode: 1
; LDSByteSize: 3600 bytes/workgroup (compile time only)
; SGPRBlocks: 8
; VGPRBlocks: 7
; NumSGPRsForWavesPerEU: 65
; NumVGPRsForWavesPerEU: 29
; Occupancy: 8
; WaveLimiterHint : 1
; COMPUTE_PGM_RSRC2:SCRATCH_EN: 0
; COMPUTE_PGM_RSRC2:USER_SGPR: 6
; COMPUTE_PGM_RSRC2:TRAP_HANDLER: 0
; COMPUTE_PGM_RSRC2:TGID_X_EN: 1
; COMPUTE_PGM_RSRC2:TGID_Y_EN: 0
; COMPUTE_PGM_RSRC2:TGID_Z_EN: 0
; COMPUTE_PGM_RSRC2:TIDIG_COMP_CNT: 0
	.section	.text._ZN9rocsparseL20bsrxmvn_17_32_kernelILj31EfllfffEEvT2_20rocsparse_direction_NS_24const_host_device_scalarIT0_EES1_PKS1_PKT1_SA_S7_PKT3_PKT4_S5_PT5_21rocsparse_index_base_b,"axG",@progbits,_ZN9rocsparseL20bsrxmvn_17_32_kernelILj31EfllfffEEvT2_20rocsparse_direction_NS_24const_host_device_scalarIT0_EES1_PKS1_PKT1_SA_S7_PKT3_PKT4_S5_PT5_21rocsparse_index_base_b,comdat
	.globl	_ZN9rocsparseL20bsrxmvn_17_32_kernelILj31EfllfffEEvT2_20rocsparse_direction_NS_24const_host_device_scalarIT0_EES1_PKS1_PKT1_SA_S7_PKT3_PKT4_S5_PT5_21rocsparse_index_base_b ; -- Begin function _ZN9rocsparseL20bsrxmvn_17_32_kernelILj31EfllfffEEvT2_20rocsparse_direction_NS_24const_host_device_scalarIT0_EES1_PKS1_PKT1_SA_S7_PKT3_PKT4_S5_PT5_21rocsparse_index_base_b
	.p2align	8
	.type	_ZN9rocsparseL20bsrxmvn_17_32_kernelILj31EfllfffEEvT2_20rocsparse_direction_NS_24const_host_device_scalarIT0_EES1_PKS1_PKT1_SA_S7_PKT3_PKT4_S5_PT5_21rocsparse_index_base_b,@function
_ZN9rocsparseL20bsrxmvn_17_32_kernelILj31EfllfffEEvT2_20rocsparse_direction_NS_24const_host_device_scalarIT0_EES1_PKS1_PKT1_SA_S7_PKT3_PKT4_S5_PT5_21rocsparse_index_base_b: ; @_ZN9rocsparseL20bsrxmvn_17_32_kernelILj31EfllfffEEvT2_20rocsparse_direction_NS_24const_host_device_scalarIT0_EES1_PKS1_PKT1_SA_S7_PKT3_PKT4_S5_PT5_21rocsparse_index_base_b
; %bb.0:
	s_load_dwordx2 s[18:19], s[4:5], 0x60
	s_load_dwordx2 s[14:15], s[4:5], 0x10
	;; [unrolled: 1-line block ×3, first 2 shown]
	s_waitcnt lgkmcnt(0)
	s_bitcmp1_b32 s19, 0
	s_cselect_b64 s[2:3], -1, 0
	s_xor_b64 s[0:1], s[2:3], -1
	s_and_b64 vcc, exec, s[2:3]
	s_cbranch_vccnz .LBB142_2
; %bb.1:
	s_load_dword s14, s[14:15], 0x0
.LBB142_2:
	s_andn2_b64 vcc, exec, s[0:1]
	s_cbranch_vccnz .LBB142_4
; %bb.3:
	s_load_dword s12, s[12:13], 0x0
.LBB142_4:
	s_waitcnt lgkmcnt(0)
	v_cmp_neq_f32_e64 s[0:1], s14, 0
	v_cmp_neq_f32_e64 s[2:3], s12, 1.0
	s_or_b64 s[0:1], s[0:1], s[2:3]
	s_andn2_b64 vcc, exec, s[0:1]
	s_mov_b32 s7, 0
	s_cbranch_vccnz .LBB142_40
; %bb.5:
	s_load_dwordx4 s[0:3], s[4:5], 0x20
	s_load_dwordx2 s[8:9], s[4:5], 0x30
	s_waitcnt lgkmcnt(0)
	s_cmp_eq_u64 s[0:1], 0
	s_cbranch_scc1 .LBB142_7
; %bb.6:
	s_lshl_b64 s[6:7], s[6:7], 3
	s_add_u32 s0, s0, s6
	s_addc_u32 s1, s1, s7
	s_load_dwordx2 s[0:1], s[0:1], 0x0
	s_waitcnt lgkmcnt(0)
	s_sub_u32 s6, s0, s18
	s_subb_u32 s7, s1, 0
.LBB142_7:
	s_load_dword s10, s[4:5], 0x8
	s_load_dwordx2 s[16:17], s[4:5], 0x58
	v_mul_u32_u24_e32 v1, 0x843, v0
	v_mov_b32_e32 v2, 31
	v_mul_lo_u16_sdwa v2, v1, v2 dst_sel:DWORD dst_unused:UNUSED_PAD src0_sel:WORD_1 src1_sel:DWORD
	s_waitcnt lgkmcnt(0)
	s_cmp_eq_u32 s10, 1
	s_cselect_b64 s[0:1], -1, 0
	s_cmp_lg_u32 s10, 1
	s_cselect_b64 s[20:21], -1, 0
	s_lshl_b64 s[10:11], s[6:7], 3
	s_add_u32 s24, s2, s10
	s_addc_u32 s25, s3, s11
	s_add_u32 s2, s24, 8
	s_addc_u32 s3, s25, 0
	s_add_u32 s10, s8, s10
	s_addc_u32 s11, s9, s11
	s_cmp_eq_u64 s[8:9], 0
	s_cselect_b32 s9, s3, s11
	s_cselect_b32 s8, s2, s10
	s_load_dwordx2 s[2:3], s[8:9], 0x0
	s_load_dwordx2 s[22:23], s[24:25], 0x0
	v_sub_u16_e32 v12, v0, v2
	v_lshlrev_b32_e32 v11, 2, v0
	s_waitcnt lgkmcnt(0)
	v_mov_b32_e32 v2, s2
	v_mov_b32_e32 v3, s3
	v_cmp_ge_i64_e32 vcc, s[22:23], v[2:3]
	v_mov_b32_e32 v2, 0
	s_cbranch_vccnz .LBB142_12
; %bb.8:
	s_load_dwordx4 s[8:11], s[4:5], 0x38
	s_load_dwordx2 s[24:25], s[4:5], 0x48
	s_mov_b32 s4, 0xffff
	s_movk_i32 s5, 0x3c1
	v_and_b32_sdwa v1, s4, v1 dst_sel:DWORD dst_unused:UNUSED_PAD src0_sel:DWORD src1_sel:WORD_1
	s_sub_u32 s2, s2, s18
	v_subrev_u32_e32 v2, 31, v1
	v_cmp_gt_u32_e32 vcc, s5, v0
	s_subb_u32 s3, s3, 0
	v_cndmask_b32_e32 v1, v2, v1, vcc
	s_sub_u32 s4, s22, s18
	v_cndmask_b32_e64 v1, v12, v1, s[0:1]
	v_mov_b32_e32 v2, 0
	s_subb_u32 s5, s23, 0
	v_lshlrev_b64 v[3:4], 2, v[1:2]
	s_mul_i32 s0, s5, 0xf04
	s_mul_hi_u32 s1, s4, 0xf04
	s_add_i32 s1, s1, s0
	s_mul_i32 s0, s4, 0xf04
	s_waitcnt lgkmcnt(0)
	v_mov_b32_e32 v1, s25
	v_add_co_u32_e32 v3, vcc, s24, v3
	s_add_u32 s0, s10, s0
	v_addc_co_u32_e32 v4, vcc, v1, v4, vcc
	s_addc_u32 s1, s11, s1
	v_mov_b32_e32 v1, s1
	v_add_co_u32_e32 v5, vcc, s0, v11
	v_addc_co_u32_e32 v6, vcc, 0, v1, vcc
	s_movk_i32 s0, 0x3c0
	v_cmp_lt_u32_e32 vcc, s0, v0
	v_cndmask_b32_e64 v1, 0, 1, vcc
	v_mov_b32_e32 v7, s23
	v_add_co_u32_e32 v8, vcc, s22, v1
	v_addc_co_u32_e32 v9, vcc, 0, v7, vcc
	v_subrev_co_u32_e32 v7, vcc, s18, v8
	v_subbrev_co_u32_e32 v8, vcc, 0, v9, vcc
	v_lshlrev_b64 v[7:8], 3, v[7:8]
	v_mov_b32_e32 v9, s9
	v_add_co_u32_e32 v7, vcc, s8, v7
	v_addc_co_u32_e32 v8, vcc, v9, v8, vcc
	v_mov_b32_e32 v10, s3
	s_movk_i32 s8, 0x7c
	v_mov_b32_e32 v9, s2
	s_branch .LBB142_10
.LBB142_9:                              ;   in Loop: Header=BB142_10 Depth=1
	s_or_b64 exec, exec, s[0:1]
	s_add_u32 s4, s4, 1
	s_addc_u32 s5, s5, 0
	v_cmp_lt_i64_e32 vcc, s[4:5], v[9:10]
	v_add_co_u32_e64 v7, s[0:1], 8, v7
	v_addc_co_u32_e64 v8, s[0:1], 0, v8, s[0:1]
	s_cbranch_vccz .LBB142_12
.LBB142_10:                             ; =>This Inner Loop Header: Depth=1
	v_mov_b32_e32 v14, s5
	v_add_co_u32_e32 v13, vcc, s4, v1
	v_addc_co_u32_e32 v14, vcc, 0, v14, vcc
	v_cmp_gt_i64_e32 vcc, s[2:3], v[13:14]
	s_and_saveexec_b64 s[0:1], vcc
	s_cbranch_execz .LBB142_9
; %bb.11:                               ;   in Loop: Header=BB142_10 Depth=1
	global_load_dwordx2 v[13:14], v[7:8], off
	s_waitcnt vmcnt(0)
	v_subrev_co_u32_e32 v13, vcc, s18, v13
	v_subbrev_co_u32_e32 v15, vcc, 0, v14, vcc
	v_mad_u64_u32 v[13:14], s[10:11], v13, s8, v[3:4]
	v_mad_u64_u32 v[14:15], s[10:11], v15, s8, v[14:15]
	global_load_dword v15, v[5:6], off
	s_nop 0
	global_load_dword v13, v[13:14], off
	v_add_co_u32_e32 v5, vcc, 0xf04, v5
	v_addc_co_u32_e32 v6, vcc, 0, v6, vcc
	s_waitcnt vmcnt(0)
	v_fmac_f32_e32 v2, v15, v13
	s_branch .LBB142_9
.LBB142_12:
	s_and_b64 vcc, exec, s[20:21]
	ds_write_b32 v11, v2
	s_waitcnt lgkmcnt(0)
	s_barrier
	s_cbranch_vccz .LBB142_24
; %bb.13:
	v_cmp_gt_u16_e32 vcc, 15, v12
	s_and_saveexec_b64 s[0:1], vcc
	s_cbranch_execz .LBB142_15
; %bb.14:
	ds_read2_b32 v[3:4], v11 offset1:16
	s_waitcnt lgkmcnt(0)
	v_add_f32_e32 v1, v4, v3
	ds_write_b32 v11, v1
.LBB142_15:
	s_or_b64 exec, exec, s[0:1]
	v_cmp_gt_u16_e32 vcc, 8, v12
	s_waitcnt lgkmcnt(0)
	s_barrier
	s_and_saveexec_b64 s[0:1], vcc
	s_cbranch_execz .LBB142_17
; %bb.16:
	ds_read2_b32 v[3:4], v11 offset1:8
	s_waitcnt lgkmcnt(0)
	v_add_f32_e32 v1, v4, v3
	ds_write_b32 v11, v1
.LBB142_17:
	s_or_b64 exec, exec, s[0:1]
	v_cmp_gt_u16_e32 vcc, 4, v12
	s_waitcnt lgkmcnt(0)
	s_barrier
	;; [unrolled: 12-line block ×3, first 2 shown]
	s_and_saveexec_b64 s[0:1], vcc
	s_cbranch_execz .LBB142_21
; %bb.20:
	ds_read2_b32 v[3:4], v11 offset1:2
	s_waitcnt lgkmcnt(0)
	v_add_f32_e32 v1, v4, v3
	ds_write_b32 v11, v1
.LBB142_21:
	s_or_b64 exec, exec, s[0:1]
	v_cmp_gt_u32_e32 vcc, 31, v0
	v_mov_b32_e32 v1, v2
	s_waitcnt lgkmcnt(0)
	s_barrier
	s_and_saveexec_b64 s[0:1], vcc
	s_cbranch_execz .LBB142_23
; %bb.22:
	s_movk_i32 s2, 0x78
	v_mad_u32_u24 v1, v0, s2, v11
	ds_read2_b32 v[3:4], v1 offset1:1
	s_waitcnt lgkmcnt(0)
	v_add_f32_e32 v1, v3, v4
.LBB142_23:
	s_or_b64 exec, exec, s[0:1]
	s_branch .LBB142_36
.LBB142_24:
                                        ; implicit-def: $vgpr1
	s_cbranch_execz .LBB142_36
; %bb.25:
	s_movk_i32 s0, 0x1d1
	v_cmp_gt_u32_e32 vcc, s0, v0
	s_and_saveexec_b64 s[0:1], vcc
	s_cbranch_execz .LBB142_27
; %bb.26:
	ds_read_b32 v1, v11 offset:1984
	ds_read_b32 v3, v11
	s_waitcnt lgkmcnt(0)
	v_add_f32_e32 v1, v1, v3
	ds_write_b32 v11, v1
.LBB142_27:
	s_or_b64 exec, exec, s[0:1]
	s_movk_i32 s0, 0xf8
	v_cmp_gt_u32_e32 vcc, s0, v0
	s_waitcnt lgkmcnt(0)
	s_barrier
	s_and_saveexec_b64 s[0:1], vcc
	s_cbranch_execz .LBB142_29
; %bb.28:
	ds_read2_b32 v[3:4], v11 offset1:248
	s_waitcnt lgkmcnt(0)
	v_add_f32_e32 v1, v4, v3
	ds_write_b32 v11, v1
.LBB142_29:
	s_or_b64 exec, exec, s[0:1]
	s_movk_i32 s0, 0x7c
	v_cmp_gt_u32_e32 vcc, s0, v0
	s_waitcnt lgkmcnt(0)
	s_barrier
	s_and_saveexec_b64 s[0:1], vcc
	s_cbranch_execz .LBB142_31
; %bb.30:
	ds_read2_b32 v[3:4], v11 offset1:124
	s_waitcnt lgkmcnt(0)
	v_add_f32_e32 v1, v4, v3
	ds_write_b32 v11, v1
.LBB142_31:
	s_or_b64 exec, exec, s[0:1]
	v_cmp_gt_u32_e32 vcc, 62, v0
	s_waitcnt lgkmcnt(0)
	s_barrier
	s_and_saveexec_b64 s[0:1], vcc
	s_cbranch_execz .LBB142_33
; %bb.32:
	ds_read2_b32 v[3:4], v11 offset1:62
	s_waitcnt lgkmcnt(0)
	v_add_f32_e32 v1, v4, v3
	ds_write_b32 v11, v1
.LBB142_33:
	s_or_b64 exec, exec, s[0:1]
	v_cmp_gt_u32_e32 vcc, 31, v0
	s_waitcnt lgkmcnt(0)
	s_and_saveexec_b64 s[0:1], vcc
	s_cbranch_execz .LBB142_35
; %bb.34:
	ds_read2_b32 v[1:2], v11 offset1:31
	s_waitcnt lgkmcnt(0)
	v_add_f32_e32 v2, v1, v2
.LBB142_35:
	s_or_b64 exec, exec, s[0:1]
	v_mov_b32_e32 v1, v2
.LBB142_36:
	v_cmp_gt_u32_e32 vcc, 31, v0
	s_and_saveexec_b64 s[0:1], vcc
	s_cbranch_execz .LBB142_40
; %bb.37:
	v_cmp_eq_f32_e64 s[0:1], s12, 0
	s_and_b64 vcc, exec, s[0:1]
	v_mul_f32_e32 v0, s14, v1
	s_mul_i32 s2, s7, 0x7c
	s_mul_hi_u32 s3, s6, 0x7c
	s_mul_i32 s4, s6, 0x7c
	s_cbranch_vccz .LBB142_41
; %bb.38:
	s_add_i32 s1, s3, s2
	s_add_u32 s0, s16, s4
	s_addc_u32 s1, s17, s1
	global_store_dword v11, v0, s[0:1]
	s_cbranch_execnz .LBB142_40
.LBB142_39:
	s_add_i32 s3, s3, s2
	s_add_u32 s0, s16, s4
	s_addc_u32 s1, s17, s3
	global_load_dword v1, v11, s[0:1]
	s_waitcnt vmcnt(0)
	v_fmac_f32_e32 v0, s12, v1
	global_store_dword v11, v0, s[0:1]
.LBB142_40:
	s_endpgm
.LBB142_41:
	s_branch .LBB142_39
	.section	.rodata,"a",@progbits
	.p2align	6, 0x0
	.amdhsa_kernel _ZN9rocsparseL20bsrxmvn_17_32_kernelILj31EfllfffEEvT2_20rocsparse_direction_NS_24const_host_device_scalarIT0_EES1_PKS1_PKT1_SA_S7_PKT3_PKT4_S5_PT5_21rocsparse_index_base_b
		.amdhsa_group_segment_fixed_size 3844
		.amdhsa_private_segment_fixed_size 0
		.amdhsa_kernarg_size 104
		.amdhsa_user_sgpr_count 6
		.amdhsa_user_sgpr_private_segment_buffer 1
		.amdhsa_user_sgpr_dispatch_ptr 0
		.amdhsa_user_sgpr_queue_ptr 0
		.amdhsa_user_sgpr_kernarg_segment_ptr 1
		.amdhsa_user_sgpr_dispatch_id 0
		.amdhsa_user_sgpr_flat_scratch_init 0
		.amdhsa_user_sgpr_private_segment_size 0
		.amdhsa_uses_dynamic_stack 0
		.amdhsa_system_sgpr_private_segment_wavefront_offset 0
		.amdhsa_system_sgpr_workgroup_id_x 1
		.amdhsa_system_sgpr_workgroup_id_y 0
		.amdhsa_system_sgpr_workgroup_id_z 0
		.amdhsa_system_sgpr_workgroup_info 0
		.amdhsa_system_vgpr_workitem_id 0
		.amdhsa_next_free_vgpr 29
		.amdhsa_next_free_sgpr 61
		.amdhsa_reserve_vcc 1
		.amdhsa_reserve_flat_scratch 0
		.amdhsa_float_round_mode_32 0
		.amdhsa_float_round_mode_16_64 0
		.amdhsa_float_denorm_mode_32 3
		.amdhsa_float_denorm_mode_16_64 3
		.amdhsa_dx10_clamp 1
		.amdhsa_ieee_mode 1
		.amdhsa_fp16_overflow 0
		.amdhsa_exception_fp_ieee_invalid_op 0
		.amdhsa_exception_fp_denorm_src 0
		.amdhsa_exception_fp_ieee_div_zero 0
		.amdhsa_exception_fp_ieee_overflow 0
		.amdhsa_exception_fp_ieee_underflow 0
		.amdhsa_exception_fp_ieee_inexact 0
		.amdhsa_exception_int_div_zero 0
	.end_amdhsa_kernel
	.section	.text._ZN9rocsparseL20bsrxmvn_17_32_kernelILj31EfllfffEEvT2_20rocsparse_direction_NS_24const_host_device_scalarIT0_EES1_PKS1_PKT1_SA_S7_PKT3_PKT4_S5_PT5_21rocsparse_index_base_b,"axG",@progbits,_ZN9rocsparseL20bsrxmvn_17_32_kernelILj31EfllfffEEvT2_20rocsparse_direction_NS_24const_host_device_scalarIT0_EES1_PKS1_PKT1_SA_S7_PKT3_PKT4_S5_PT5_21rocsparse_index_base_b,comdat
.Lfunc_end142:
	.size	_ZN9rocsparseL20bsrxmvn_17_32_kernelILj31EfllfffEEvT2_20rocsparse_direction_NS_24const_host_device_scalarIT0_EES1_PKS1_PKT1_SA_S7_PKT3_PKT4_S5_PT5_21rocsparse_index_base_b, .Lfunc_end142-_ZN9rocsparseL20bsrxmvn_17_32_kernelILj31EfllfffEEvT2_20rocsparse_direction_NS_24const_host_device_scalarIT0_EES1_PKS1_PKT1_SA_S7_PKT3_PKT4_S5_PT5_21rocsparse_index_base_b
                                        ; -- End function
	.set _ZN9rocsparseL20bsrxmvn_17_32_kernelILj31EfllfffEEvT2_20rocsparse_direction_NS_24const_host_device_scalarIT0_EES1_PKS1_PKT1_SA_S7_PKT3_PKT4_S5_PT5_21rocsparse_index_base_b.num_vgpr, 16
	.set _ZN9rocsparseL20bsrxmvn_17_32_kernelILj31EfllfffEEvT2_20rocsparse_direction_NS_24const_host_device_scalarIT0_EES1_PKS1_PKT1_SA_S7_PKT3_PKT4_S5_PT5_21rocsparse_index_base_b.num_agpr, 0
	.set _ZN9rocsparseL20bsrxmvn_17_32_kernelILj31EfllfffEEvT2_20rocsparse_direction_NS_24const_host_device_scalarIT0_EES1_PKS1_PKT1_SA_S7_PKT3_PKT4_S5_PT5_21rocsparse_index_base_b.numbered_sgpr, 26
	.set _ZN9rocsparseL20bsrxmvn_17_32_kernelILj31EfllfffEEvT2_20rocsparse_direction_NS_24const_host_device_scalarIT0_EES1_PKS1_PKT1_SA_S7_PKT3_PKT4_S5_PT5_21rocsparse_index_base_b.num_named_barrier, 0
	.set _ZN9rocsparseL20bsrxmvn_17_32_kernelILj31EfllfffEEvT2_20rocsparse_direction_NS_24const_host_device_scalarIT0_EES1_PKS1_PKT1_SA_S7_PKT3_PKT4_S5_PT5_21rocsparse_index_base_b.private_seg_size, 0
	.set _ZN9rocsparseL20bsrxmvn_17_32_kernelILj31EfllfffEEvT2_20rocsparse_direction_NS_24const_host_device_scalarIT0_EES1_PKS1_PKT1_SA_S7_PKT3_PKT4_S5_PT5_21rocsparse_index_base_b.uses_vcc, 1
	.set _ZN9rocsparseL20bsrxmvn_17_32_kernelILj31EfllfffEEvT2_20rocsparse_direction_NS_24const_host_device_scalarIT0_EES1_PKS1_PKT1_SA_S7_PKT3_PKT4_S5_PT5_21rocsparse_index_base_b.uses_flat_scratch, 0
	.set _ZN9rocsparseL20bsrxmvn_17_32_kernelILj31EfllfffEEvT2_20rocsparse_direction_NS_24const_host_device_scalarIT0_EES1_PKS1_PKT1_SA_S7_PKT3_PKT4_S5_PT5_21rocsparse_index_base_b.has_dyn_sized_stack, 0
	.set _ZN9rocsparseL20bsrxmvn_17_32_kernelILj31EfllfffEEvT2_20rocsparse_direction_NS_24const_host_device_scalarIT0_EES1_PKS1_PKT1_SA_S7_PKT3_PKT4_S5_PT5_21rocsparse_index_base_b.has_recursion, 0
	.set _ZN9rocsparseL20bsrxmvn_17_32_kernelILj31EfllfffEEvT2_20rocsparse_direction_NS_24const_host_device_scalarIT0_EES1_PKS1_PKT1_SA_S7_PKT3_PKT4_S5_PT5_21rocsparse_index_base_b.has_indirect_call, 0
	.section	.AMDGPU.csdata,"",@progbits
; Kernel info:
; codeLenInByte = 1312
; TotalNumSgprs: 30
; NumVgprs: 16
; ScratchSize: 0
; MemoryBound: 0
; FloatMode: 240
; IeeeMode: 1
; LDSByteSize: 3844 bytes/workgroup (compile time only)
; SGPRBlocks: 8
; VGPRBlocks: 7
; NumSGPRsForWavesPerEU: 65
; NumVGPRsForWavesPerEU: 29
; Occupancy: 8
; WaveLimiterHint : 1
; COMPUTE_PGM_RSRC2:SCRATCH_EN: 0
; COMPUTE_PGM_RSRC2:USER_SGPR: 6
; COMPUTE_PGM_RSRC2:TRAP_HANDLER: 0
; COMPUTE_PGM_RSRC2:TGID_X_EN: 1
; COMPUTE_PGM_RSRC2:TGID_Y_EN: 0
; COMPUTE_PGM_RSRC2:TGID_Z_EN: 0
; COMPUTE_PGM_RSRC2:TIDIG_COMP_CNT: 0
	.section	.text._ZN9rocsparseL20bsrxmvn_17_32_kernelILj32EfllfffEEvT2_20rocsparse_direction_NS_24const_host_device_scalarIT0_EES1_PKS1_PKT1_SA_S7_PKT3_PKT4_S5_PT5_21rocsparse_index_base_b,"axG",@progbits,_ZN9rocsparseL20bsrxmvn_17_32_kernelILj32EfllfffEEvT2_20rocsparse_direction_NS_24const_host_device_scalarIT0_EES1_PKS1_PKT1_SA_S7_PKT3_PKT4_S5_PT5_21rocsparse_index_base_b,comdat
	.globl	_ZN9rocsparseL20bsrxmvn_17_32_kernelILj32EfllfffEEvT2_20rocsparse_direction_NS_24const_host_device_scalarIT0_EES1_PKS1_PKT1_SA_S7_PKT3_PKT4_S5_PT5_21rocsparse_index_base_b ; -- Begin function _ZN9rocsparseL20bsrxmvn_17_32_kernelILj32EfllfffEEvT2_20rocsparse_direction_NS_24const_host_device_scalarIT0_EES1_PKS1_PKT1_SA_S7_PKT3_PKT4_S5_PT5_21rocsparse_index_base_b
	.p2align	8
	.type	_ZN9rocsparseL20bsrxmvn_17_32_kernelILj32EfllfffEEvT2_20rocsparse_direction_NS_24const_host_device_scalarIT0_EES1_PKS1_PKT1_SA_S7_PKT3_PKT4_S5_PT5_21rocsparse_index_base_b,@function
_ZN9rocsparseL20bsrxmvn_17_32_kernelILj32EfllfffEEvT2_20rocsparse_direction_NS_24const_host_device_scalarIT0_EES1_PKS1_PKT1_SA_S7_PKT3_PKT4_S5_PT5_21rocsparse_index_base_b: ; @_ZN9rocsparseL20bsrxmvn_17_32_kernelILj32EfllfffEEvT2_20rocsparse_direction_NS_24const_host_device_scalarIT0_EES1_PKS1_PKT1_SA_S7_PKT3_PKT4_S5_PT5_21rocsparse_index_base_b
; %bb.0:
	s_load_dwordx2 s[12:13], s[4:5], 0x60
	s_load_dwordx2 s[10:11], s[4:5], 0x10
	;; [unrolled: 1-line block ×3, first 2 shown]
	s_waitcnt lgkmcnt(0)
	s_bitcmp1_b32 s13, 0
	s_cselect_b64 s[2:3], -1, 0
	s_xor_b64 s[0:1], s[2:3], -1
	s_and_b64 vcc, exec, s[2:3]
	s_cbranch_vccnz .LBB143_2
; %bb.1:
	s_load_dword s10, s[10:11], 0x0
.LBB143_2:
	s_andn2_b64 vcc, exec, s[0:1]
	s_cbranch_vccnz .LBB143_4
; %bb.3:
	s_load_dword s8, s[8:9], 0x0
.LBB143_4:
	s_waitcnt lgkmcnt(0)
	v_cmp_neq_f32_e64 s[0:1], s10, 0
	v_cmp_neq_f32_e64 s[2:3], s8, 1.0
	s_or_b64 s[0:1], s[0:1], s[2:3]
	s_andn2_b64 vcc, exec, s[0:1]
	s_mov_b32 s7, 0
	s_cbranch_vccnz .LBB143_38
; %bb.5:
	s_load_dwordx4 s[0:3], s[4:5], 0x20
	s_load_dwordx2 s[16:17], s[4:5], 0x30
	s_mov_b32 s13, s7
	s_waitcnt lgkmcnt(0)
	s_cmp_eq_u64 s[0:1], 0
	s_cbranch_scc1 .LBB143_7
; %bb.6:
	s_lshl_b64 s[6:7], s[6:7], 3
	s_add_u32 s0, s0, s6
	s_addc_u32 s1, s1, s7
	s_load_dwordx2 s[0:1], s[0:1], 0x0
	s_waitcnt lgkmcnt(0)
	s_sub_u32 s6, s0, s12
	s_subb_u32 s7, s1, 0
.LBB143_7:
	s_load_dword s9, s[4:5], 0x8
	v_and_b32_e32 v7, 31, v0
	v_mov_b32_e32 v6, 0
	v_lshlrev_b32_e32 v5, 2, v0
	s_waitcnt lgkmcnt(0)
	s_cmp_eq_u32 s9, 1
	s_cselect_b64 s[0:1], -1, 0
	s_cmp_lg_u32 s9, 1
	s_cselect_b64 s[14:15], -1, 0
	s_lshl_b64 s[18:19], s[6:7], 3
	s_add_u32 s20, s2, s18
	s_addc_u32 s21, s3, s19
	s_add_u32 s2, s20, 8
	s_addc_u32 s3, s21, 0
	;; [unrolled: 2-line block ×3, first 2 shown]
	s_cmp_eq_u64 s[16:17], 0
	s_cselect_b32 s23, s3, s11
	s_cselect_b32 s22, s2, s9
	s_load_dwordx2 s[18:19], s[22:23], 0x0
	s_load_dwordx2 s[16:17], s[20:21], 0x0
	;; [unrolled: 1-line block ×3, first 2 shown]
	s_waitcnt lgkmcnt(0)
	v_mov_b32_e32 v1, s18
	v_mov_b32_e32 v2, s19
	v_cmp_ge_i64_e32 vcc, s[16:17], v[1:2]
	s_cbranch_vccnz .LBB143_10
; %bb.8:
	s_load_dwordx4 s[20:23], s[4:5], 0x38
	s_load_dwordx2 s[24:25], s[4:5], 0x48
	s_sub_u32 s18, s18, s12
	v_lshrrev_b32_e32 v1, 5, v0
	s_subb_u32 s19, s19, 0
	v_cndmask_b32_e64 v1, v7, v1, s[0:1]
	s_sub_u32 s0, s16, s12
	s_subb_u32 s1, s17, 0
	v_lshlrev_b32_e32 v1, 2, v1
	s_lshl_b64 s[4:5], s[0:1], 12
	s_waitcnt lgkmcnt(0)
	v_mov_b32_e32 v2, s25
	v_add_co_u32_e32 v8, vcc, s24, v1
	s_add_u32 s4, s22, s4
	v_addc_co_u32_e32 v9, vcc, 0, v2, vcc
	s_addc_u32 s5, s23, s5
	v_mov_b32_e32 v2, s5
	v_add_co_u32_e32 v1, vcc, s4, v5
	s_lshl_b64 s[4:5], s[16:17], 3
	s_lshl_b64 s[16:17], s[12:13], 3
	s_sub_u32 s4, s4, s16
	s_subb_u32 s5, s5, s17
	s_add_u32 s4, s20, s4
	v_mov_b32_e32 v3, s18
	v_mov_b32_e32 v6, 0
	v_addc_co_u32_e32 v2, vcc, 0, v2, vcc
	s_addc_u32 s5, s21, s5
	v_mov_b32_e32 v4, s19
.LBB143_9:                              ; =>This Inner Loop Header: Depth=1
	s_load_dwordx2 s[16:17], s[4:5], 0x0
	global_load_dword v12, v[1:2], off
	s_waitcnt lgkmcnt(0)
	s_sub_u32 s16, s16, s12
	s_subb_u32 s17, s17, 0
	s_lshl_b64 s[16:17], s[16:17], 7
	v_mov_b32_e32 v11, s17
	v_add_co_u32_e32 v10, vcc, s16, v8
	v_addc_co_u32_e32 v11, vcc, v9, v11, vcc
	global_load_dword v10, v[10:11], off
	v_add_co_u32_e32 v1, vcc, 0x1000, v1
	s_add_u32 s0, s0, 1
	v_addc_co_u32_e32 v2, vcc, 0, v2, vcc
	s_addc_u32 s1, s1, 0
	v_cmp_lt_i64_e32 vcc, s[0:1], v[3:4]
	s_add_u32 s4, s4, 8
	s_addc_u32 s5, s5, 0
	s_waitcnt vmcnt(0)
	v_fmac_f32_e32 v6, v12, v10
	s_cbranch_vccnz .LBB143_9
.LBB143_10:
	s_and_b64 vcc, exec, s[14:15]
	ds_write_b32 v5, v6
	s_waitcnt lgkmcnt(0)
	s_barrier
	s_cbranch_vccz .LBB143_22
; %bb.11:
	v_cmp_gt_u32_e32 vcc, 16, v7
	s_and_saveexec_b64 s[0:1], vcc
	s_cbranch_execz .LBB143_13
; %bb.12:
	ds_read2_b32 v[1:2], v5 offset1:16
	s_waitcnt lgkmcnt(0)
	v_add_f32_e32 v1, v2, v1
	ds_write_b32 v5, v1
.LBB143_13:
	s_or_b64 exec, exec, s[0:1]
	v_cmp_gt_u32_e32 vcc, 8, v7
	s_waitcnt lgkmcnt(0)
	s_barrier
	s_and_saveexec_b64 s[0:1], vcc
	s_cbranch_execz .LBB143_15
; %bb.14:
	ds_read2_b32 v[1:2], v5 offset1:8
	s_waitcnt lgkmcnt(0)
	v_add_f32_e32 v1, v2, v1
	ds_write_b32 v5, v1
.LBB143_15:
	s_or_b64 exec, exec, s[0:1]
	v_cmp_gt_u32_e32 vcc, 4, v7
	s_waitcnt lgkmcnt(0)
	s_barrier
	s_and_saveexec_b64 s[0:1], vcc
	s_cbranch_execz .LBB143_17
; %bb.16:
	ds_read2_b32 v[1:2], v5 offset1:4
	s_waitcnt lgkmcnt(0)
	v_add_f32_e32 v1, v2, v1
	ds_write_b32 v5, v1
.LBB143_17:
	s_or_b64 exec, exec, s[0:1]
	v_cmp_gt_u32_e32 vcc, 2, v7
	s_waitcnt lgkmcnt(0)
	s_barrier
	s_and_saveexec_b64 s[0:1], vcc
	s_cbranch_execz .LBB143_19
; %bb.18:
	ds_read2_b32 v[1:2], v5 offset1:2
	s_waitcnt lgkmcnt(0)
	v_add_f32_e32 v1, v2, v1
	ds_write_b32 v5, v1
.LBB143_19:
	s_or_b64 exec, exec, s[0:1]
	v_cmp_gt_u32_e32 vcc, 32, v0
	v_mov_b32_e32 v1, v6
	s_waitcnt lgkmcnt(0)
	s_barrier
	s_and_saveexec_b64 s[0:1], vcc
	s_cbranch_execz .LBB143_21
; %bb.20:
	s_movk_i32 s4, 0x7c
	v_mad_u32_u24 v1, v0, s4, v5
	ds_read_b64 v[1:2], v1
	s_waitcnt lgkmcnt(0)
	v_add_f32_e32 v1, v1, v2
.LBB143_21:
	s_or_b64 exec, exec, s[0:1]
	s_branch .LBB143_34
.LBB143_22:
                                        ; implicit-def: $vgpr1
	s_cbranch_execz .LBB143_34
; %bb.23:
	s_movk_i32 s0, 0x200
	v_cmp_gt_u32_e32 vcc, s0, v0
	s_and_saveexec_b64 s[0:1], vcc
	s_cbranch_execz .LBB143_25
; %bb.24:
	ds_read2st64_b32 v[1:2], v5 offset1:8
	s_waitcnt lgkmcnt(0)
	v_add_f32_e32 v1, v2, v1
	ds_write_b32 v5, v1
.LBB143_25:
	s_or_b64 exec, exec, s[0:1]
	s_movk_i32 s0, 0x100
	v_cmp_gt_u32_e32 vcc, s0, v0
	s_waitcnt lgkmcnt(0)
	s_barrier
	s_and_saveexec_b64 s[0:1], vcc
	s_cbranch_execz .LBB143_27
; %bb.26:
	ds_read2st64_b32 v[1:2], v5 offset1:4
	s_waitcnt lgkmcnt(0)
	v_add_f32_e32 v1, v2, v1
	ds_write_b32 v5, v1
.LBB143_27:
	s_or_b64 exec, exec, s[0:1]
	s_movk_i32 s0, 0x80
	v_cmp_gt_u32_e32 vcc, s0, v0
	s_waitcnt lgkmcnt(0)
	s_barrier
	s_and_saveexec_b64 s[0:1], vcc
	s_cbranch_execz .LBB143_29
; %bb.28:
	ds_read2st64_b32 v[1:2], v5 offset1:2
	s_waitcnt lgkmcnt(0)
	v_add_f32_e32 v1, v2, v1
	ds_write_b32 v5, v1
.LBB143_29:
	s_or_b64 exec, exec, s[0:1]
	v_cmp_gt_u32_e32 vcc, 64, v0
	s_waitcnt lgkmcnt(0)
	s_barrier
	s_and_saveexec_b64 s[0:1], vcc
	s_cbranch_execz .LBB143_31
; %bb.30:
	ds_read2st64_b32 v[1:2], v5 offset1:1
	s_waitcnt lgkmcnt(0)
	v_add_f32_e32 v1, v2, v1
	ds_write_b32 v5, v1
.LBB143_31:
	s_or_b64 exec, exec, s[0:1]
	v_cmp_gt_u32_e32 vcc, 32, v0
	s_waitcnt lgkmcnt(0)
	s_and_saveexec_b64 s[0:1], vcc
	s_cbranch_execz .LBB143_33
; %bb.32:
	ds_read2_b32 v[1:2], v5 offset1:32
	s_waitcnt lgkmcnt(0)
	v_add_f32_e32 v6, v1, v2
.LBB143_33:
	s_or_b64 exec, exec, s[0:1]
	v_mov_b32_e32 v1, v6
.LBB143_34:
	v_cmp_gt_u32_e32 vcc, 32, v0
	s_and_saveexec_b64 s[0:1], vcc
	s_cbranch_execz .LBB143_38
; %bb.35:
	v_cmp_eq_f32_e64 s[0:1], s8, 0
	s_and_b64 vcc, exec, s[0:1]
	v_mul_f32_e32 v0, s10, v1
	s_cbranch_vccz .LBB143_39
; %bb.36:
	s_lshl_b64 s[0:1], s[6:7], 7
	s_add_u32 s0, s2, s0
	s_addc_u32 s1, s3, s1
	global_store_dword v5, v0, s[0:1]
	s_cbranch_execnz .LBB143_38
.LBB143_37:
	s_lshl_b64 s[0:1], s[6:7], 7
	s_add_u32 s0, s2, s0
	s_addc_u32 s1, s3, s1
	global_load_dword v1, v5, s[0:1]
	s_waitcnt vmcnt(0)
	v_fmac_f32_e32 v0, s8, v1
	global_store_dword v5, v0, s[0:1]
.LBB143_38:
	s_endpgm
.LBB143_39:
	s_branch .LBB143_37
	.section	.rodata,"a",@progbits
	.p2align	6, 0x0
	.amdhsa_kernel _ZN9rocsparseL20bsrxmvn_17_32_kernelILj32EfllfffEEvT2_20rocsparse_direction_NS_24const_host_device_scalarIT0_EES1_PKS1_PKT1_SA_S7_PKT3_PKT4_S5_PT5_21rocsparse_index_base_b
		.amdhsa_group_segment_fixed_size 4096
		.amdhsa_private_segment_fixed_size 0
		.amdhsa_kernarg_size 104
		.amdhsa_user_sgpr_count 6
		.amdhsa_user_sgpr_private_segment_buffer 1
		.amdhsa_user_sgpr_dispatch_ptr 0
		.amdhsa_user_sgpr_queue_ptr 0
		.amdhsa_user_sgpr_kernarg_segment_ptr 1
		.amdhsa_user_sgpr_dispatch_id 0
		.amdhsa_user_sgpr_flat_scratch_init 0
		.amdhsa_user_sgpr_private_segment_size 0
		.amdhsa_uses_dynamic_stack 0
		.amdhsa_system_sgpr_private_segment_wavefront_offset 0
		.amdhsa_system_sgpr_workgroup_id_x 1
		.amdhsa_system_sgpr_workgroup_id_y 0
		.amdhsa_system_sgpr_workgroup_id_z 0
		.amdhsa_system_sgpr_workgroup_info 0
		.amdhsa_system_vgpr_workitem_id 0
		.amdhsa_next_free_vgpr 29
		.amdhsa_next_free_sgpr 61
		.amdhsa_reserve_vcc 1
		.amdhsa_reserve_flat_scratch 0
		.amdhsa_float_round_mode_32 0
		.amdhsa_float_round_mode_16_64 0
		.amdhsa_float_denorm_mode_32 3
		.amdhsa_float_denorm_mode_16_64 3
		.amdhsa_dx10_clamp 1
		.amdhsa_ieee_mode 1
		.amdhsa_fp16_overflow 0
		.amdhsa_exception_fp_ieee_invalid_op 0
		.amdhsa_exception_fp_denorm_src 0
		.amdhsa_exception_fp_ieee_div_zero 0
		.amdhsa_exception_fp_ieee_overflow 0
		.amdhsa_exception_fp_ieee_underflow 0
		.amdhsa_exception_fp_ieee_inexact 0
		.amdhsa_exception_int_div_zero 0
	.end_amdhsa_kernel
	.section	.text._ZN9rocsparseL20bsrxmvn_17_32_kernelILj32EfllfffEEvT2_20rocsparse_direction_NS_24const_host_device_scalarIT0_EES1_PKS1_PKT1_SA_S7_PKT3_PKT4_S5_PT5_21rocsparse_index_base_b,"axG",@progbits,_ZN9rocsparseL20bsrxmvn_17_32_kernelILj32EfllfffEEvT2_20rocsparse_direction_NS_24const_host_device_scalarIT0_EES1_PKS1_PKT1_SA_S7_PKT3_PKT4_S5_PT5_21rocsparse_index_base_b,comdat
.Lfunc_end143:
	.size	_ZN9rocsparseL20bsrxmvn_17_32_kernelILj32EfllfffEEvT2_20rocsparse_direction_NS_24const_host_device_scalarIT0_EES1_PKS1_PKT1_SA_S7_PKT3_PKT4_S5_PT5_21rocsparse_index_base_b, .Lfunc_end143-_ZN9rocsparseL20bsrxmvn_17_32_kernelILj32EfllfffEEvT2_20rocsparse_direction_NS_24const_host_device_scalarIT0_EES1_PKS1_PKT1_SA_S7_PKT3_PKT4_S5_PT5_21rocsparse_index_base_b
                                        ; -- End function
	.set _ZN9rocsparseL20bsrxmvn_17_32_kernelILj32EfllfffEEvT2_20rocsparse_direction_NS_24const_host_device_scalarIT0_EES1_PKS1_PKT1_SA_S7_PKT3_PKT4_S5_PT5_21rocsparse_index_base_b.num_vgpr, 13
	.set _ZN9rocsparseL20bsrxmvn_17_32_kernelILj32EfllfffEEvT2_20rocsparse_direction_NS_24const_host_device_scalarIT0_EES1_PKS1_PKT1_SA_S7_PKT3_PKT4_S5_PT5_21rocsparse_index_base_b.num_agpr, 0
	.set _ZN9rocsparseL20bsrxmvn_17_32_kernelILj32EfllfffEEvT2_20rocsparse_direction_NS_24const_host_device_scalarIT0_EES1_PKS1_PKT1_SA_S7_PKT3_PKT4_S5_PT5_21rocsparse_index_base_b.numbered_sgpr, 26
	.set _ZN9rocsparseL20bsrxmvn_17_32_kernelILj32EfllfffEEvT2_20rocsparse_direction_NS_24const_host_device_scalarIT0_EES1_PKS1_PKT1_SA_S7_PKT3_PKT4_S5_PT5_21rocsparse_index_base_b.num_named_barrier, 0
	.set _ZN9rocsparseL20bsrxmvn_17_32_kernelILj32EfllfffEEvT2_20rocsparse_direction_NS_24const_host_device_scalarIT0_EES1_PKS1_PKT1_SA_S7_PKT3_PKT4_S5_PT5_21rocsparse_index_base_b.private_seg_size, 0
	.set _ZN9rocsparseL20bsrxmvn_17_32_kernelILj32EfllfffEEvT2_20rocsparse_direction_NS_24const_host_device_scalarIT0_EES1_PKS1_PKT1_SA_S7_PKT3_PKT4_S5_PT5_21rocsparse_index_base_b.uses_vcc, 1
	.set _ZN9rocsparseL20bsrxmvn_17_32_kernelILj32EfllfffEEvT2_20rocsparse_direction_NS_24const_host_device_scalarIT0_EES1_PKS1_PKT1_SA_S7_PKT3_PKT4_S5_PT5_21rocsparse_index_base_b.uses_flat_scratch, 0
	.set _ZN9rocsparseL20bsrxmvn_17_32_kernelILj32EfllfffEEvT2_20rocsparse_direction_NS_24const_host_device_scalarIT0_EES1_PKS1_PKT1_SA_S7_PKT3_PKT4_S5_PT5_21rocsparse_index_base_b.has_dyn_sized_stack, 0
	.set _ZN9rocsparseL20bsrxmvn_17_32_kernelILj32EfllfffEEvT2_20rocsparse_direction_NS_24const_host_device_scalarIT0_EES1_PKS1_PKT1_SA_S7_PKT3_PKT4_S5_PT5_21rocsparse_index_base_b.has_recursion, 0
	.set _ZN9rocsparseL20bsrxmvn_17_32_kernelILj32EfllfffEEvT2_20rocsparse_direction_NS_24const_host_device_scalarIT0_EES1_PKS1_PKT1_SA_S7_PKT3_PKT4_S5_PT5_21rocsparse_index_base_b.has_indirect_call, 0
	.section	.AMDGPU.csdata,"",@progbits
; Kernel info:
; codeLenInByte = 1124
; TotalNumSgprs: 30
; NumVgprs: 13
; ScratchSize: 0
; MemoryBound: 0
; FloatMode: 240
; IeeeMode: 1
; LDSByteSize: 4096 bytes/workgroup (compile time only)
; SGPRBlocks: 8
; VGPRBlocks: 7
; NumSGPRsForWavesPerEU: 65
; NumVGPRsForWavesPerEU: 29
; Occupancy: 8
; WaveLimiterHint : 1
; COMPUTE_PGM_RSRC2:SCRATCH_EN: 0
; COMPUTE_PGM_RSRC2:USER_SGPR: 6
; COMPUTE_PGM_RSRC2:TRAP_HANDLER: 0
; COMPUTE_PGM_RSRC2:TGID_X_EN: 1
; COMPUTE_PGM_RSRC2:TGID_Y_EN: 0
; COMPUTE_PGM_RSRC2:TGID_Z_EN: 0
; COMPUTE_PGM_RSRC2:TIDIG_COMP_CNT: 0
	.section	.text._ZN9rocsparseL20bsrxmvn_17_32_kernelILj17EdlldddEEvT2_20rocsparse_direction_NS_24const_host_device_scalarIT0_EES1_PKS1_PKT1_SA_S7_PKT3_PKT4_S5_PT5_21rocsparse_index_base_b,"axG",@progbits,_ZN9rocsparseL20bsrxmvn_17_32_kernelILj17EdlldddEEvT2_20rocsparse_direction_NS_24const_host_device_scalarIT0_EES1_PKS1_PKT1_SA_S7_PKT3_PKT4_S5_PT5_21rocsparse_index_base_b,comdat
	.globl	_ZN9rocsparseL20bsrxmvn_17_32_kernelILj17EdlldddEEvT2_20rocsparse_direction_NS_24const_host_device_scalarIT0_EES1_PKS1_PKT1_SA_S7_PKT3_PKT4_S5_PT5_21rocsparse_index_base_b ; -- Begin function _ZN9rocsparseL20bsrxmvn_17_32_kernelILj17EdlldddEEvT2_20rocsparse_direction_NS_24const_host_device_scalarIT0_EES1_PKS1_PKT1_SA_S7_PKT3_PKT4_S5_PT5_21rocsparse_index_base_b
	.p2align	8
	.type	_ZN9rocsparseL20bsrxmvn_17_32_kernelILj17EdlldddEEvT2_20rocsparse_direction_NS_24const_host_device_scalarIT0_EES1_PKS1_PKT1_SA_S7_PKT3_PKT4_S5_PT5_21rocsparse_index_base_b,@function
_ZN9rocsparseL20bsrxmvn_17_32_kernelILj17EdlldddEEvT2_20rocsparse_direction_NS_24const_host_device_scalarIT0_EES1_PKS1_PKT1_SA_S7_PKT3_PKT4_S5_PT5_21rocsparse_index_base_b: ; @_ZN9rocsparseL20bsrxmvn_17_32_kernelILj17EdlldddEEvT2_20rocsparse_direction_NS_24const_host_device_scalarIT0_EES1_PKS1_PKT1_SA_S7_PKT3_PKT4_S5_PT5_21rocsparse_index_base_b
; %bb.0:
	s_load_dwordx2 s[14:15], s[4:5], 0x60
	s_load_dwordx2 s[8:9], s[4:5], 0x10
	;; [unrolled: 1-line block ×3, first 2 shown]
	s_waitcnt lgkmcnt(0)
	s_bitcmp1_b32 s15, 0
	s_cselect_b64 s[10:11], -1, 0
	v_mov_b32_e32 v3, s8
	s_xor_b64 s[2:3], s[10:11], -1
	s_and_b64 vcc, exec, s[10:11]
	v_mov_b32_e32 v4, s9
	s_cbranch_vccnz .LBB144_2
; %bb.1:
	v_mov_b32_e32 v1, s8
	v_mov_b32_e32 v2, s9
	flat_load_dwordx2 v[3:4], v[1:2]
.LBB144_2:
	v_mov_b32_e32 v2, s1
	s_andn2_b64 vcc, exec, s[2:3]
	v_mov_b32_e32 v1, s0
	s_cbranch_vccnz .LBB144_4
; %bb.3:
	v_mov_b32_e32 v2, s1
	v_mov_b32_e32 v1, s0
	flat_load_dwordx2 v[1:2], v[1:2]
.LBB144_4:
	s_waitcnt vmcnt(0) lgkmcnt(0)
	v_cmp_neq_f64_e32 vcc, 0, v[3:4]
	v_cmp_neq_f64_e64 s[0:1], 1.0, v[1:2]
	s_or_b64 s[0:1], vcc, s[0:1]
	s_and_saveexec_b64 s[2:3], s[0:1]
	s_cbranch_execz .LBB144_41
; %bb.5:
	s_load_dwordx4 s[0:3], s[4:5], 0x20
	s_load_dwordx2 s[8:9], s[4:5], 0x30
	s_mov_b32 s7, 0
	s_waitcnt lgkmcnt(0)
	s_cmp_eq_u64 s[0:1], 0
	s_cbranch_scc1 .LBB144_7
; %bb.6:
	s_lshl_b64 s[6:7], s[6:7], 3
	s_add_u32 s0, s0, s6
	s_addc_u32 s1, s1, s7
	s_load_dwordx2 s[0:1], s[0:1], 0x0
	s_waitcnt lgkmcnt(0)
	s_sub_u32 s6, s0, s14
	s_subb_u32 s7, s1, 0
.LBB144_7:
	s_load_dword s10, s[4:5], 0x8
	s_load_dwordx2 s[12:13], s[4:5], 0x58
	v_mul_u32_u24_e32 v7, 0xf10, v0
	v_mov_b32_e32 v5, 17
	v_mul_lo_u16_sdwa v5, v7, v5 dst_sel:DWORD dst_unused:UNUSED_PAD src0_sel:WORD_1 src1_sel:DWORD
	s_waitcnt lgkmcnt(0)
	s_cmp_eq_u32 s10, 1
	s_cselect_b64 s[0:1], -1, 0
	s_cmp_lg_u32 s10, 1
	s_cselect_b64 s[16:17], -1, 0
	s_lshl_b64 s[10:11], s[6:7], 3
	s_add_u32 s20, s2, s10
	s_addc_u32 s21, s3, s11
	s_add_u32 s2, s20, 8
	s_addc_u32 s3, s21, 0
	;; [unrolled: 2-line block ×3, first 2 shown]
	s_cmp_eq_u64 s[8:9], 0
	s_cselect_b32 s9, s3, s11
	s_cselect_b32 s8, s2, s10
	s_load_dwordx2 s[2:3], s[8:9], 0x0
	s_load_dwordx2 s[18:19], s[20:21], 0x0
	v_sub_u16_e32 v14, v0, v5
	v_lshlrev_b32_e32 v13, 3, v0
	s_waitcnt lgkmcnt(0)
	v_mov_b32_e32 v6, s3
	v_mov_b32_e32 v5, s2
	v_cmp_ge_i64_e32 vcc, s[18:19], v[5:6]
	v_mov_b32_e32 v5, 0
	v_mov_b32_e32 v6, 0
	s_cbranch_vccnz .LBB144_12
; %bb.8:
	v_mov_b32_e32 v5, 31
	v_mul_lo_u16_sdwa v5, v7, v5 dst_sel:DWORD dst_unused:UNUSED_PAD src0_sel:WORD_1 src1_sel:DWORD
	v_lshrrev_b16_e32 v5, 9, v5
	s_sub_u32 s2, s2, s14
	s_load_dwordx4 s[8:11], s[4:5], 0x38
	s_load_dwordx2 s[20:21], s[4:5], 0x48
	v_mul_lo_u16_e32 v5, 17, v5
	s_subb_u32 s3, s3, 0
	v_sub_u16_sdwa v5, v7, v5 dst_sel:DWORD dst_unused:UNUSED_PAD src0_sel:WORD_1 src1_sel:DWORD
	s_sub_u32 s4, s18, s14
	v_and_b32_e32 v5, 0xff, v5
	s_subb_u32 s5, s19, 0
	v_cndmask_b32_e64 v5, v14, v5, s[0:1]
	s_mul_i32 s0, s5, 0x908
	s_mul_hi_u32 s1, s4, 0x908
	v_lshlrev_b32_e32 v5, 3, v5
	s_add_i32 s1, s1, s0
	s_mul_i32 s0, s4, 0x908
	s_waitcnt lgkmcnt(0)
	v_mov_b32_e32 v6, s21
	v_add_co_u32_e32 v7, vcc, s20, v5
	s_add_u32 s0, s10, s0
	v_addc_co_u32_e32 v8, vcc, 0, v6, vcc
	s_addc_u32 s1, s11, s1
	v_mov_b32_e32 v5, s1
	v_add_co_u32_e32 v9, vcc, s0, v13
	s_movk_i32 s0, 0xe3
	v_addc_co_u32_e32 v10, vcc, 0, v5, vcc
	v_mul_u32_u24_sdwa v5, v0, s0 dst_sel:DWORD dst_unused:UNUSED_PAD src0_sel:WORD_0 src1_sel:DWORD
	v_lshrrev_b32_e32 v15, 16, v5
	v_mov_b32_e32 v5, s19
	v_add_co_u32_e32 v6, vcc, s18, v15
	v_addc_co_u32_e32 v11, vcc, 0, v5, vcc
	v_subrev_co_u32_e32 v5, vcc, s14, v6
	v_subbrev_co_u32_e32 v6, vcc, 0, v11, vcc
	v_lshlrev_b64 v[5:6], 3, v[5:6]
	v_mov_b32_e32 v12, s9
	v_add_co_u32_e32 v11, vcc, s8, v5
	v_addc_co_u32_e32 v12, vcc, v12, v6, vcc
	v_mov_b32_e32 v5, 0
	v_mov_b32_e32 v6, 0
	s_movk_i32 s8, 0x88
	s_branch .LBB144_10
.LBB144_9:                              ;   in Loop: Header=BB144_10 Depth=1
	s_or_b64 exec, exec, s[0:1]
	s_add_u32 s4, s4, 1
	v_mov_b32_e32 v17, s3
	s_addc_u32 s5, s5, 0
	v_mov_b32_e32 v16, s2
	v_cmp_lt_i64_e32 vcc, s[4:5], v[16:17]
	v_add_co_u32_e64 v11, s[0:1], 8, v11
	v_addc_co_u32_e64 v12, s[0:1], 0, v12, s[0:1]
	s_cbranch_vccz .LBB144_12
.LBB144_10:                             ; =>This Inner Loop Header: Depth=1
	v_mov_b32_e32 v17, s5
	v_add_co_u32_e32 v16, vcc, s4, v15
	v_addc_co_u32_e32 v17, vcc, 0, v17, vcc
	v_cmp_gt_i64_e32 vcc, s[2:3], v[16:17]
	s_and_saveexec_b64 s[0:1], vcc
	s_cbranch_execz .LBB144_9
; %bb.11:                               ;   in Loop: Header=BB144_10 Depth=1
	global_load_dwordx2 v[16:17], v[11:12], off
	s_waitcnt vmcnt(0)
	v_subrev_co_u32_e32 v16, vcc, s14, v16
	v_subbrev_co_u32_e32 v18, vcc, 0, v17, vcc
	v_mad_u64_u32 v[16:17], s[10:11], v16, s8, v[7:8]
	v_mad_u64_u32 v[17:18], s[10:11], v18, s8, v[17:18]
	global_load_dwordx2 v[18:19], v[9:10], off
	s_nop 0
	global_load_dwordx2 v[16:17], v[16:17], off
	v_add_co_u32_e32 v9, vcc, 0x908, v9
	v_addc_co_u32_e32 v10, vcc, 0, v10, vcc
	s_waitcnt vmcnt(0)
	v_fma_f64 v[5:6], v[18:19], v[16:17], v[5:6]
	s_branch .LBB144_9
.LBB144_12:
	s_and_b64 vcc, exec, s[16:17]
	ds_write_b64 v13, v[5:6]
	s_waitcnt lgkmcnt(0)
	s_barrier
	s_cbranch_vccz .LBB144_24
; %bb.13:
	v_cmp_eq_u16_e32 vcc, 0, v14
	s_and_saveexec_b64 s[0:1], vcc
	s_cbranch_execz .LBB144_15
; %bb.14:
	ds_read2_b64 v[7:10], v13 offset1:16
	s_waitcnt lgkmcnt(0)
	v_add_f64 v[7:8], v[9:10], v[7:8]
	ds_write_b64 v13, v[7:8]
.LBB144_15:
	s_or_b64 exec, exec, s[0:1]
	v_cmp_gt_u16_e32 vcc, 8, v14
	s_waitcnt lgkmcnt(0)
	s_barrier
	s_and_saveexec_b64 s[0:1], vcc
	s_cbranch_execz .LBB144_17
; %bb.16:
	ds_read2_b64 v[7:10], v13 offset1:8
	s_waitcnt lgkmcnt(0)
	v_add_f64 v[7:8], v[9:10], v[7:8]
	ds_write_b64 v13, v[7:8]
.LBB144_17:
	s_or_b64 exec, exec, s[0:1]
	v_cmp_gt_u16_e32 vcc, 4, v14
	s_waitcnt lgkmcnt(0)
	s_barrier
	;; [unrolled: 12-line block ×3, first 2 shown]
	s_and_saveexec_b64 s[0:1], vcc
	s_cbranch_execz .LBB144_21
; %bb.20:
	ds_read2_b64 v[7:10], v13 offset1:2
	s_waitcnt lgkmcnt(0)
	v_add_f64 v[7:8], v[9:10], v[7:8]
	ds_write_b64 v13, v[7:8]
.LBB144_21:
	s_or_b64 exec, exec, s[0:1]
	v_mov_b32_e32 v8, v6
	v_cmp_gt_u32_e32 vcc, 17, v0
	v_mov_b32_e32 v7, v5
	s_waitcnt lgkmcnt(0)
	s_barrier
	s_and_saveexec_b64 s[0:1], vcc
	s_cbranch_execz .LBB144_23
; %bb.22:
	v_lshl_add_u32 v7, v0, 7, v13
	ds_read2_b64 v[7:10], v7 offset1:1
	s_waitcnt lgkmcnt(0)
	v_add_f64 v[7:8], v[7:8], v[9:10]
.LBB144_23:
	s_or_b64 exec, exec, s[0:1]
	v_cmp_gt_u32_e64 s[0:1], 17, v0
	s_branch .LBB144_36
.LBB144_24:
                                        ; implicit-def: $vgpr7_vgpr8
	v_cmp_gt_u32_e64 s[0:1], 17, v0
	s_cbranch_execz .LBB144_36
; %bb.25:
	s_and_saveexec_b64 s[2:3], s[0:1]
	s_cbranch_execz .LBB144_27
; %bb.26:
	ds_read_b64 v[7:8], v13 offset:2176
	ds_read_b64 v[9:10], v13
	s_waitcnt lgkmcnt(0)
	v_add_f64 v[7:8], v[7:8], v[9:10]
	ds_write_b64 v13, v[7:8]
.LBB144_27:
	s_or_b64 exec, exec, s[2:3]
	s_movk_i32 s2, 0x88
	v_cmp_gt_u32_e32 vcc, s2, v0
	s_waitcnt lgkmcnt(0)
	s_barrier
	s_and_saveexec_b64 s[2:3], vcc
	s_cbranch_execz .LBB144_29
; %bb.28:
	ds_read2_b64 v[7:10], v13 offset1:136
	s_waitcnt lgkmcnt(0)
	v_add_f64 v[7:8], v[9:10], v[7:8]
	ds_write_b64 v13, v[7:8]
.LBB144_29:
	s_or_b64 exec, exec, s[2:3]
	s_movk_i32 s2, 0x44
	v_cmp_gt_u32_e32 vcc, s2, v0
	s_waitcnt lgkmcnt(0)
	s_barrier
	s_and_saveexec_b64 s[2:3], vcc
	s_cbranch_execz .LBB144_31
; %bb.30:
	ds_read2_b64 v[7:10], v13 offset1:68
	s_waitcnt lgkmcnt(0)
	v_add_f64 v[7:8], v[9:10], v[7:8]
	ds_write_b64 v13, v[7:8]
.LBB144_31:
	s_or_b64 exec, exec, s[2:3]
	v_cmp_gt_u32_e32 vcc, 34, v0
	s_waitcnt lgkmcnt(0)
	s_barrier
	s_and_saveexec_b64 s[2:3], vcc
	s_cbranch_execz .LBB144_33
; %bb.32:
	ds_read2_b64 v[7:10], v13 offset1:34
	s_waitcnt lgkmcnt(0)
	v_add_f64 v[7:8], v[9:10], v[7:8]
	ds_write_b64 v13, v[7:8]
.LBB144_33:
	s_or_b64 exec, exec, s[2:3]
	s_waitcnt lgkmcnt(0)
	s_and_saveexec_b64 s[2:3], s[0:1]
	s_cbranch_execz .LBB144_35
; %bb.34:
	ds_read2_b64 v[5:8], v13 offset1:17
	s_waitcnt lgkmcnt(0)
	v_add_f64 v[5:6], v[5:6], v[7:8]
.LBB144_35:
	s_or_b64 exec, exec, s[2:3]
	v_mov_b32_e32 v8, v6
	v_mov_b32_e32 v7, v5
.LBB144_36:
	v_cmp_gt_u32_e32 vcc, 17, v0
	s_and_b64 exec, exec, vcc
	s_cbranch_execz .LBB144_41
; %bb.37:
	v_cmp_eq_f64_e32 vcc, 0, v[1:2]
	v_mul_f64 v[3:4], v[3:4], v[7:8]
	s_mul_i32 s2, s7, 0x88
	s_mul_hi_u32 s3, s6, 0x88
	s_mul_i32 s4, s6, 0x88
	s_and_saveexec_b64 s[0:1], vcc
	s_xor_b64 s[0:1], exec, s[0:1]
	s_cbranch_execz .LBB144_39
; %bb.38:
	s_add_i32 s5, s3, s2
	s_add_u32 s6, s12, s4
	s_addc_u32 s7, s13, s5
	global_store_dwordx2 v13, v[3:4], s[6:7]
                                        ; implicit-def: $vgpr13
                                        ; implicit-def: $vgpr1_vgpr2
                                        ; implicit-def: $vgpr3_vgpr4
.LBB144_39:
	s_andn2_saveexec_b64 s[0:1], s[0:1]
	s_cbranch_execz .LBB144_41
; %bb.40:
	s_add_i32 s3, s3, s2
	s_add_u32 s0, s12, s4
	s_addc_u32 s1, s13, s3
	global_load_dwordx2 v[5:6], v13, s[0:1]
	s_waitcnt vmcnt(0)
	v_fma_f64 v[0:1], v[1:2], v[5:6], v[3:4]
	global_store_dwordx2 v13, v[0:1], s[0:1]
.LBB144_41:
	s_endpgm
	.section	.rodata,"a",@progbits
	.p2align	6, 0x0
	.amdhsa_kernel _ZN9rocsparseL20bsrxmvn_17_32_kernelILj17EdlldddEEvT2_20rocsparse_direction_NS_24const_host_device_scalarIT0_EES1_PKS1_PKT1_SA_S7_PKT3_PKT4_S5_PT5_21rocsparse_index_base_b
		.amdhsa_group_segment_fixed_size 2312
		.amdhsa_private_segment_fixed_size 0
		.amdhsa_kernarg_size 104
		.amdhsa_user_sgpr_count 6
		.amdhsa_user_sgpr_private_segment_buffer 1
		.amdhsa_user_sgpr_dispatch_ptr 0
		.amdhsa_user_sgpr_queue_ptr 0
		.amdhsa_user_sgpr_kernarg_segment_ptr 1
		.amdhsa_user_sgpr_dispatch_id 0
		.amdhsa_user_sgpr_flat_scratch_init 0
		.amdhsa_user_sgpr_private_segment_size 0
		.amdhsa_uses_dynamic_stack 0
		.amdhsa_system_sgpr_private_segment_wavefront_offset 0
		.amdhsa_system_sgpr_workgroup_id_x 1
		.amdhsa_system_sgpr_workgroup_id_y 0
		.amdhsa_system_sgpr_workgroup_id_z 0
		.amdhsa_system_sgpr_workgroup_info 0
		.amdhsa_system_vgpr_workitem_id 0
		.amdhsa_next_free_vgpr 20
		.amdhsa_next_free_sgpr 22
		.amdhsa_reserve_vcc 1
		.amdhsa_reserve_flat_scratch 0
		.amdhsa_float_round_mode_32 0
		.amdhsa_float_round_mode_16_64 0
		.amdhsa_float_denorm_mode_32 3
		.amdhsa_float_denorm_mode_16_64 3
		.amdhsa_dx10_clamp 1
		.amdhsa_ieee_mode 1
		.amdhsa_fp16_overflow 0
		.amdhsa_exception_fp_ieee_invalid_op 0
		.amdhsa_exception_fp_denorm_src 0
		.amdhsa_exception_fp_ieee_div_zero 0
		.amdhsa_exception_fp_ieee_overflow 0
		.amdhsa_exception_fp_ieee_underflow 0
		.amdhsa_exception_fp_ieee_inexact 0
		.amdhsa_exception_int_div_zero 0
	.end_amdhsa_kernel
	.section	.text._ZN9rocsparseL20bsrxmvn_17_32_kernelILj17EdlldddEEvT2_20rocsparse_direction_NS_24const_host_device_scalarIT0_EES1_PKS1_PKT1_SA_S7_PKT3_PKT4_S5_PT5_21rocsparse_index_base_b,"axG",@progbits,_ZN9rocsparseL20bsrxmvn_17_32_kernelILj17EdlldddEEvT2_20rocsparse_direction_NS_24const_host_device_scalarIT0_EES1_PKS1_PKT1_SA_S7_PKT3_PKT4_S5_PT5_21rocsparse_index_base_b,comdat
.Lfunc_end144:
	.size	_ZN9rocsparseL20bsrxmvn_17_32_kernelILj17EdlldddEEvT2_20rocsparse_direction_NS_24const_host_device_scalarIT0_EES1_PKS1_PKT1_SA_S7_PKT3_PKT4_S5_PT5_21rocsparse_index_base_b, .Lfunc_end144-_ZN9rocsparseL20bsrxmvn_17_32_kernelILj17EdlldddEEvT2_20rocsparse_direction_NS_24const_host_device_scalarIT0_EES1_PKS1_PKT1_SA_S7_PKT3_PKT4_S5_PT5_21rocsparse_index_base_b
                                        ; -- End function
	.set _ZN9rocsparseL20bsrxmvn_17_32_kernelILj17EdlldddEEvT2_20rocsparse_direction_NS_24const_host_device_scalarIT0_EES1_PKS1_PKT1_SA_S7_PKT3_PKT4_S5_PT5_21rocsparse_index_base_b.num_vgpr, 20
	.set _ZN9rocsparseL20bsrxmvn_17_32_kernelILj17EdlldddEEvT2_20rocsparse_direction_NS_24const_host_device_scalarIT0_EES1_PKS1_PKT1_SA_S7_PKT3_PKT4_S5_PT5_21rocsparse_index_base_b.num_agpr, 0
	.set _ZN9rocsparseL20bsrxmvn_17_32_kernelILj17EdlldddEEvT2_20rocsparse_direction_NS_24const_host_device_scalarIT0_EES1_PKS1_PKT1_SA_S7_PKT3_PKT4_S5_PT5_21rocsparse_index_base_b.numbered_sgpr, 22
	.set _ZN9rocsparseL20bsrxmvn_17_32_kernelILj17EdlldddEEvT2_20rocsparse_direction_NS_24const_host_device_scalarIT0_EES1_PKS1_PKT1_SA_S7_PKT3_PKT4_S5_PT5_21rocsparse_index_base_b.num_named_barrier, 0
	.set _ZN9rocsparseL20bsrxmvn_17_32_kernelILj17EdlldddEEvT2_20rocsparse_direction_NS_24const_host_device_scalarIT0_EES1_PKS1_PKT1_SA_S7_PKT3_PKT4_S5_PT5_21rocsparse_index_base_b.private_seg_size, 0
	.set _ZN9rocsparseL20bsrxmvn_17_32_kernelILj17EdlldddEEvT2_20rocsparse_direction_NS_24const_host_device_scalarIT0_EES1_PKS1_PKT1_SA_S7_PKT3_PKT4_S5_PT5_21rocsparse_index_base_b.uses_vcc, 1
	.set _ZN9rocsparseL20bsrxmvn_17_32_kernelILj17EdlldddEEvT2_20rocsparse_direction_NS_24const_host_device_scalarIT0_EES1_PKS1_PKT1_SA_S7_PKT3_PKT4_S5_PT5_21rocsparse_index_base_b.uses_flat_scratch, 0
	.set _ZN9rocsparseL20bsrxmvn_17_32_kernelILj17EdlldddEEvT2_20rocsparse_direction_NS_24const_host_device_scalarIT0_EES1_PKS1_PKT1_SA_S7_PKT3_PKT4_S5_PT5_21rocsparse_index_base_b.has_dyn_sized_stack, 0
	.set _ZN9rocsparseL20bsrxmvn_17_32_kernelILj17EdlldddEEvT2_20rocsparse_direction_NS_24const_host_device_scalarIT0_EES1_PKS1_PKT1_SA_S7_PKT3_PKT4_S5_PT5_21rocsparse_index_base_b.has_recursion, 0
	.set _ZN9rocsparseL20bsrxmvn_17_32_kernelILj17EdlldddEEvT2_20rocsparse_direction_NS_24const_host_device_scalarIT0_EES1_PKS1_PKT1_SA_S7_PKT3_PKT4_S5_PT5_21rocsparse_index_base_b.has_indirect_call, 0
	.section	.AMDGPU.csdata,"",@progbits
; Kernel info:
; codeLenInByte = 1408
; TotalNumSgprs: 26
; NumVgprs: 20
; ScratchSize: 0
; MemoryBound: 1
; FloatMode: 240
; IeeeMode: 1
; LDSByteSize: 2312 bytes/workgroup (compile time only)
; SGPRBlocks: 3
; VGPRBlocks: 4
; NumSGPRsForWavesPerEU: 26
; NumVGPRsForWavesPerEU: 20
; Occupancy: 10
; WaveLimiterHint : 1
; COMPUTE_PGM_RSRC2:SCRATCH_EN: 0
; COMPUTE_PGM_RSRC2:USER_SGPR: 6
; COMPUTE_PGM_RSRC2:TRAP_HANDLER: 0
; COMPUTE_PGM_RSRC2:TGID_X_EN: 1
; COMPUTE_PGM_RSRC2:TGID_Y_EN: 0
; COMPUTE_PGM_RSRC2:TGID_Z_EN: 0
; COMPUTE_PGM_RSRC2:TIDIG_COMP_CNT: 0
	.section	.text._ZN9rocsparseL20bsrxmvn_17_32_kernelILj18EdlldddEEvT2_20rocsparse_direction_NS_24const_host_device_scalarIT0_EES1_PKS1_PKT1_SA_S7_PKT3_PKT4_S5_PT5_21rocsparse_index_base_b,"axG",@progbits,_ZN9rocsparseL20bsrxmvn_17_32_kernelILj18EdlldddEEvT2_20rocsparse_direction_NS_24const_host_device_scalarIT0_EES1_PKS1_PKT1_SA_S7_PKT3_PKT4_S5_PT5_21rocsparse_index_base_b,comdat
	.globl	_ZN9rocsparseL20bsrxmvn_17_32_kernelILj18EdlldddEEvT2_20rocsparse_direction_NS_24const_host_device_scalarIT0_EES1_PKS1_PKT1_SA_S7_PKT3_PKT4_S5_PT5_21rocsparse_index_base_b ; -- Begin function _ZN9rocsparseL20bsrxmvn_17_32_kernelILj18EdlldddEEvT2_20rocsparse_direction_NS_24const_host_device_scalarIT0_EES1_PKS1_PKT1_SA_S7_PKT3_PKT4_S5_PT5_21rocsparse_index_base_b
	.p2align	8
	.type	_ZN9rocsparseL20bsrxmvn_17_32_kernelILj18EdlldddEEvT2_20rocsparse_direction_NS_24const_host_device_scalarIT0_EES1_PKS1_PKT1_SA_S7_PKT3_PKT4_S5_PT5_21rocsparse_index_base_b,@function
_ZN9rocsparseL20bsrxmvn_17_32_kernelILj18EdlldddEEvT2_20rocsparse_direction_NS_24const_host_device_scalarIT0_EES1_PKS1_PKT1_SA_S7_PKT3_PKT4_S5_PT5_21rocsparse_index_base_b: ; @_ZN9rocsparseL20bsrxmvn_17_32_kernelILj18EdlldddEEvT2_20rocsparse_direction_NS_24const_host_device_scalarIT0_EES1_PKS1_PKT1_SA_S7_PKT3_PKT4_S5_PT5_21rocsparse_index_base_b
; %bb.0:
	s_load_dwordx2 s[14:15], s[4:5], 0x60
	s_load_dwordx2 s[8:9], s[4:5], 0x10
	;; [unrolled: 1-line block ×3, first 2 shown]
	s_waitcnt lgkmcnt(0)
	s_bitcmp1_b32 s15, 0
	s_cselect_b64 s[10:11], -1, 0
	v_mov_b32_e32 v3, s8
	s_xor_b64 s[2:3], s[10:11], -1
	s_and_b64 vcc, exec, s[10:11]
	v_mov_b32_e32 v4, s9
	s_cbranch_vccnz .LBB145_2
; %bb.1:
	v_mov_b32_e32 v1, s8
	v_mov_b32_e32 v2, s9
	flat_load_dwordx2 v[3:4], v[1:2]
.LBB145_2:
	v_mov_b32_e32 v2, s1
	s_andn2_b64 vcc, exec, s[2:3]
	v_mov_b32_e32 v1, s0
	s_cbranch_vccnz .LBB145_4
; %bb.3:
	v_mov_b32_e32 v2, s1
	v_mov_b32_e32 v1, s0
	flat_load_dwordx2 v[1:2], v[1:2]
.LBB145_4:
	s_waitcnt vmcnt(0) lgkmcnt(0)
	v_cmp_neq_f64_e32 vcc, 0, v[3:4]
	v_cmp_neq_f64_e64 s[0:1], 1.0, v[1:2]
	s_or_b64 s[0:1], vcc, s[0:1]
	s_and_saveexec_b64 s[2:3], s[0:1]
	s_cbranch_execz .LBB145_41
; %bb.5:
	s_load_dwordx4 s[0:3], s[4:5], 0x20
	s_load_dwordx2 s[8:9], s[4:5], 0x30
	s_mov_b32 s7, 0
	s_waitcnt lgkmcnt(0)
	s_cmp_eq_u64 s[0:1], 0
	s_cbranch_scc1 .LBB145_7
; %bb.6:
	s_lshl_b64 s[6:7], s[6:7], 3
	s_add_u32 s0, s0, s6
	s_addc_u32 s1, s1, s7
	s_load_dwordx2 s[0:1], s[0:1], 0x0
	s_waitcnt lgkmcnt(0)
	s_sub_u32 s6, s0, s14
	s_subb_u32 s7, s1, 0
.LBB145_7:
	s_load_dword s10, s[4:5], 0x8
	s_load_dwordx2 s[12:13], s[4:5], 0x58
	v_mul_u32_u24_e32 v7, 0xe39, v0
	v_mov_b32_e32 v8, 18
	v_mul_lo_u16_sdwa v5, v7, v8 dst_sel:DWORD dst_unused:UNUSED_PAD src0_sel:WORD_1 src1_sel:DWORD
	s_waitcnt lgkmcnt(0)
	s_cmp_eq_u32 s10, 1
	s_cselect_b64 s[0:1], -1, 0
	s_cmp_lg_u32 s10, 1
	s_cselect_b64 s[16:17], -1, 0
	s_lshl_b64 s[10:11], s[6:7], 3
	s_add_u32 s20, s2, s10
	s_addc_u32 s21, s3, s11
	s_add_u32 s2, s20, 8
	s_addc_u32 s3, s21, 0
	;; [unrolled: 2-line block ×3, first 2 shown]
	s_cmp_eq_u64 s[8:9], 0
	s_cselect_b32 s9, s3, s11
	s_cselect_b32 s8, s2, s10
	s_load_dwordx2 s[2:3], s[8:9], 0x0
	s_load_dwordx2 s[18:19], s[20:21], 0x0
	v_sub_u16_e32 v14, v0, v5
	v_lshlrev_b32_e32 v13, 3, v0
	s_waitcnt lgkmcnt(0)
	v_mov_b32_e32 v6, s3
	v_mov_b32_e32 v5, s2
	v_cmp_ge_i64_e32 vcc, s[18:19], v[5:6]
	v_mov_b32_e32 v5, 0
	v_mov_b32_e32 v6, 0
	s_cbranch_vccnz .LBB145_12
; %bb.8:
	v_mov_b32_e32 v5, 15
	v_mul_lo_u16_sdwa v5, v7, v5 dst_sel:DWORD dst_unused:UNUSED_PAD src0_sel:WORD_1 src1_sel:DWORD
	s_sub_u32 s2, s2, s14
	s_load_dwordx4 s[8:11], s[4:5], 0x38
	s_load_dwordx2 s[20:21], s[4:5], 0x48
	v_mul_lo_u16_sdwa v5, v5, v8 dst_sel:DWORD dst_unused:UNUSED_PAD src0_sel:BYTE_1 src1_sel:DWORD
	s_subb_u32 s3, s3, 0
	v_sub_u16_sdwa v5, v7, v5 dst_sel:DWORD dst_unused:UNUSED_PAD src0_sel:WORD_1 src1_sel:DWORD
	s_sub_u32 s4, s18, s14
	v_and_b32_e32 v5, 0xff, v5
	s_subb_u32 s5, s19, 0
	v_cndmask_b32_e64 v5, v14, v5, s[0:1]
	s_mul_i32 s0, s5, 0xa20
	s_mul_hi_u32 s1, s4, 0xa20
	v_lshlrev_b32_e32 v5, 3, v5
	s_add_i32 s1, s1, s0
	s_mul_i32 s0, s4, 0xa20
	s_waitcnt lgkmcnt(0)
	v_mov_b32_e32 v6, s21
	v_add_co_u32_e32 v7, vcc, s20, v5
	s_add_u32 s0, s10, s0
	v_addc_co_u32_e32 v8, vcc, 0, v6, vcc
	s_addc_u32 s1, s11, s1
	v_mov_b32_e32 v5, s1
	v_add_co_u32_e32 v9, vcc, s0, v13
	s_movk_i32 s0, 0x195
	v_addc_co_u32_e32 v10, vcc, 0, v5, vcc
	v_mul_u32_u24_sdwa v5, v0, s0 dst_sel:DWORD dst_unused:UNUSED_PAD src0_sel:WORD_0 src1_sel:DWORD
	v_lshrrev_b32_e32 v15, 17, v5
	v_mov_b32_e32 v5, s19
	v_add_co_u32_e32 v6, vcc, s18, v15
	v_addc_co_u32_e32 v11, vcc, 0, v5, vcc
	v_subrev_co_u32_e32 v5, vcc, s14, v6
	v_subbrev_co_u32_e32 v6, vcc, 0, v11, vcc
	v_lshlrev_b64 v[5:6], 3, v[5:6]
	v_mov_b32_e32 v12, s9
	v_add_co_u32_e32 v11, vcc, s8, v5
	v_addc_co_u32_e32 v12, vcc, v12, v6, vcc
	v_mov_b32_e32 v5, 0
	v_mov_b32_e32 v6, 0
	s_movk_i32 s8, 0x90
	s_branch .LBB145_10
.LBB145_9:                              ;   in Loop: Header=BB145_10 Depth=1
	s_or_b64 exec, exec, s[0:1]
	s_add_u32 s4, s4, 1
	v_mov_b32_e32 v17, s3
	s_addc_u32 s5, s5, 0
	v_mov_b32_e32 v16, s2
	v_cmp_lt_i64_e32 vcc, s[4:5], v[16:17]
	v_add_co_u32_e64 v11, s[0:1], 8, v11
	v_addc_co_u32_e64 v12, s[0:1], 0, v12, s[0:1]
	s_cbranch_vccz .LBB145_12
.LBB145_10:                             ; =>This Inner Loop Header: Depth=1
	v_mov_b32_e32 v17, s5
	v_add_co_u32_e32 v16, vcc, s4, v15
	v_addc_co_u32_e32 v17, vcc, 0, v17, vcc
	v_cmp_gt_i64_e32 vcc, s[2:3], v[16:17]
	s_and_saveexec_b64 s[0:1], vcc
	s_cbranch_execz .LBB145_9
; %bb.11:                               ;   in Loop: Header=BB145_10 Depth=1
	global_load_dwordx2 v[16:17], v[11:12], off
	s_waitcnt vmcnt(0)
	v_subrev_co_u32_e32 v16, vcc, s14, v16
	v_subbrev_co_u32_e32 v18, vcc, 0, v17, vcc
	v_mad_u64_u32 v[16:17], s[10:11], v16, s8, v[7:8]
	v_mad_u64_u32 v[17:18], s[10:11], v18, s8, v[17:18]
	global_load_dwordx2 v[18:19], v[9:10], off
	s_nop 0
	global_load_dwordx2 v[16:17], v[16:17], off
	v_add_co_u32_e32 v9, vcc, 0xa20, v9
	v_addc_co_u32_e32 v10, vcc, 0, v10, vcc
	s_waitcnt vmcnt(0)
	v_fma_f64 v[5:6], v[18:19], v[16:17], v[5:6]
	s_branch .LBB145_9
.LBB145_12:
	s_and_b64 vcc, exec, s[16:17]
	ds_write_b64 v13, v[5:6]
	s_waitcnt lgkmcnt(0)
	s_barrier
	s_cbranch_vccz .LBB145_24
; %bb.13:
	v_cmp_gt_u16_e32 vcc, 2, v14
	s_and_saveexec_b64 s[0:1], vcc
	s_cbranch_execz .LBB145_15
; %bb.14:
	ds_read2_b64 v[7:10], v13 offset1:16
	s_waitcnt lgkmcnt(0)
	v_add_f64 v[7:8], v[9:10], v[7:8]
	ds_write_b64 v13, v[7:8]
.LBB145_15:
	s_or_b64 exec, exec, s[0:1]
	v_cmp_gt_u16_e64 s[0:1], 8, v14
	s_waitcnt lgkmcnt(0)
	s_barrier
	s_and_saveexec_b64 s[2:3], s[0:1]
	s_cbranch_execz .LBB145_17
; %bb.16:
	ds_read2_b64 v[7:10], v13 offset1:8
	s_waitcnt lgkmcnt(0)
	v_add_f64 v[7:8], v[9:10], v[7:8]
	ds_write_b64 v13, v[7:8]
.LBB145_17:
	s_or_b64 exec, exec, s[2:3]
	v_cmp_gt_u16_e64 s[0:1], 4, v14
	s_waitcnt lgkmcnt(0)
	s_barrier
	s_and_saveexec_b64 s[2:3], s[0:1]
	s_cbranch_execz .LBB145_19
; %bb.18:
	ds_read2_b64 v[7:10], v13 offset1:4
	s_waitcnt lgkmcnt(0)
	v_add_f64 v[7:8], v[9:10], v[7:8]
	ds_write_b64 v13, v[7:8]
.LBB145_19:
	s_or_b64 exec, exec, s[2:3]
	s_waitcnt lgkmcnt(0)
	s_barrier
	s_and_saveexec_b64 s[0:1], vcc
	s_cbranch_execz .LBB145_21
; %bb.20:
	ds_read2_b64 v[7:10], v13 offset1:2
	s_waitcnt lgkmcnt(0)
	v_add_f64 v[7:8], v[9:10], v[7:8]
	ds_write_b64 v13, v[7:8]
.LBB145_21:
	s_or_b64 exec, exec, s[0:1]
	v_mov_b32_e32 v8, v6
	v_cmp_gt_u32_e32 vcc, 18, v0
	v_mov_b32_e32 v7, v5
	s_waitcnt lgkmcnt(0)
	s_barrier
	s_and_saveexec_b64 s[0:1], vcc
	s_cbranch_execz .LBB145_23
; %bb.22:
	s_movk_i32 s2, 0x88
	v_mad_u32_u24 v7, v0, s2, v13
	ds_read_b128 v[7:10], v7
	s_waitcnt lgkmcnt(0)
	v_add_f64 v[7:8], v[7:8], v[9:10]
.LBB145_23:
	s_or_b64 exec, exec, s[0:1]
	s_branch .LBB145_36
.LBB145_24:
                                        ; implicit-def: $vgpr7_vgpr8
	s_cbranch_execz .LBB145_36
; %bb.25:
	v_cmp_gt_u32_e32 vcc, 36, v0
	s_and_saveexec_b64 s[0:1], vcc
	s_cbranch_execz .LBB145_27
; %bb.26:
	ds_read_b64 v[7:8], v13 offset:2304
	ds_read_b64 v[9:10], v13
	s_waitcnt lgkmcnt(0)
	v_add_f64 v[7:8], v[7:8], v[9:10]
	ds_write_b64 v13, v[7:8]
.LBB145_27:
	s_or_b64 exec, exec, s[0:1]
	s_movk_i32 s0, 0x90
	v_cmp_gt_u32_e64 s[0:1], s0, v0
	s_waitcnt lgkmcnt(0)
	s_barrier
	s_and_saveexec_b64 s[2:3], s[0:1]
	s_cbranch_execz .LBB145_29
; %bb.28:
	ds_read2_b64 v[7:10], v13 offset1:144
	s_waitcnt lgkmcnt(0)
	v_add_f64 v[7:8], v[9:10], v[7:8]
	ds_write_b64 v13, v[7:8]
.LBB145_29:
	s_or_b64 exec, exec, s[2:3]
	s_movk_i32 s0, 0x48
	v_cmp_gt_u32_e64 s[0:1], s0, v0
	s_waitcnt lgkmcnt(0)
	s_barrier
	s_and_saveexec_b64 s[2:3], s[0:1]
	s_cbranch_execz .LBB145_31
; %bb.30:
	ds_read2_b64 v[7:10], v13 offset1:72
	s_waitcnt lgkmcnt(0)
	v_add_f64 v[7:8], v[9:10], v[7:8]
	ds_write_b64 v13, v[7:8]
.LBB145_31:
	s_or_b64 exec, exec, s[2:3]
	s_waitcnt lgkmcnt(0)
	s_barrier
	s_and_saveexec_b64 s[0:1], vcc
	s_cbranch_execz .LBB145_33
; %bb.32:
	ds_read2_b64 v[7:10], v13 offset1:36
	s_waitcnt lgkmcnt(0)
	v_add_f64 v[7:8], v[9:10], v[7:8]
	ds_write_b64 v13, v[7:8]
.LBB145_33:
	s_or_b64 exec, exec, s[0:1]
	v_cmp_gt_u32_e32 vcc, 18, v0
	s_waitcnt lgkmcnt(0)
	s_and_saveexec_b64 s[0:1], vcc
	s_cbranch_execz .LBB145_35
; %bb.34:
	ds_read2_b64 v[5:8], v13 offset1:18
	s_waitcnt lgkmcnt(0)
	v_add_f64 v[5:6], v[5:6], v[7:8]
.LBB145_35:
	s_or_b64 exec, exec, s[0:1]
	v_mov_b32_e32 v8, v6
	v_mov_b32_e32 v7, v5
.LBB145_36:
	v_cmp_gt_u32_e32 vcc, 18, v0
	s_and_b64 exec, exec, vcc
	s_cbranch_execz .LBB145_41
; %bb.37:
	v_cmp_eq_f64_e32 vcc, 0, v[1:2]
	v_mul_f64 v[3:4], v[3:4], v[7:8]
	s_mul_i32 s2, s7, 0x90
	s_mul_hi_u32 s3, s6, 0x90
	s_mul_i32 s4, s6, 0x90
	s_and_saveexec_b64 s[0:1], vcc
	s_xor_b64 s[0:1], exec, s[0:1]
	s_cbranch_execz .LBB145_39
; %bb.38:
	s_add_i32 s5, s3, s2
	s_add_u32 s6, s12, s4
	s_addc_u32 s7, s13, s5
	global_store_dwordx2 v13, v[3:4], s[6:7]
                                        ; implicit-def: $vgpr13
                                        ; implicit-def: $vgpr1_vgpr2
                                        ; implicit-def: $vgpr3_vgpr4
.LBB145_39:
	s_andn2_saveexec_b64 s[0:1], s[0:1]
	s_cbranch_execz .LBB145_41
; %bb.40:
	s_add_i32 s3, s3, s2
	s_add_u32 s0, s12, s4
	s_addc_u32 s1, s13, s3
	global_load_dwordx2 v[5:6], v13, s[0:1]
	s_waitcnt vmcnt(0)
	v_fma_f64 v[0:1], v[1:2], v[5:6], v[3:4]
	global_store_dwordx2 v13, v[0:1], s[0:1]
.LBB145_41:
	s_endpgm
	.section	.rodata,"a",@progbits
	.p2align	6, 0x0
	.amdhsa_kernel _ZN9rocsparseL20bsrxmvn_17_32_kernelILj18EdlldddEEvT2_20rocsparse_direction_NS_24const_host_device_scalarIT0_EES1_PKS1_PKT1_SA_S7_PKT3_PKT4_S5_PT5_21rocsparse_index_base_b
		.amdhsa_group_segment_fixed_size 2592
		.amdhsa_private_segment_fixed_size 0
		.amdhsa_kernarg_size 104
		.amdhsa_user_sgpr_count 6
		.amdhsa_user_sgpr_private_segment_buffer 1
		.amdhsa_user_sgpr_dispatch_ptr 0
		.amdhsa_user_sgpr_queue_ptr 0
		.amdhsa_user_sgpr_kernarg_segment_ptr 1
		.amdhsa_user_sgpr_dispatch_id 0
		.amdhsa_user_sgpr_flat_scratch_init 0
		.amdhsa_user_sgpr_private_segment_size 0
		.amdhsa_uses_dynamic_stack 0
		.amdhsa_system_sgpr_private_segment_wavefront_offset 0
		.amdhsa_system_sgpr_workgroup_id_x 1
		.amdhsa_system_sgpr_workgroup_id_y 0
		.amdhsa_system_sgpr_workgroup_id_z 0
		.amdhsa_system_sgpr_workgroup_info 0
		.amdhsa_system_vgpr_workitem_id 0
		.amdhsa_next_free_vgpr 25
		.amdhsa_next_free_sgpr 61
		.amdhsa_reserve_vcc 1
		.amdhsa_reserve_flat_scratch 0
		.amdhsa_float_round_mode_32 0
		.amdhsa_float_round_mode_16_64 0
		.amdhsa_float_denorm_mode_32 3
		.amdhsa_float_denorm_mode_16_64 3
		.amdhsa_dx10_clamp 1
		.amdhsa_ieee_mode 1
		.amdhsa_fp16_overflow 0
		.amdhsa_exception_fp_ieee_invalid_op 0
		.amdhsa_exception_fp_denorm_src 0
		.amdhsa_exception_fp_ieee_div_zero 0
		.amdhsa_exception_fp_ieee_overflow 0
		.amdhsa_exception_fp_ieee_underflow 0
		.amdhsa_exception_fp_ieee_inexact 0
		.amdhsa_exception_int_div_zero 0
	.end_amdhsa_kernel
	.section	.text._ZN9rocsparseL20bsrxmvn_17_32_kernelILj18EdlldddEEvT2_20rocsparse_direction_NS_24const_host_device_scalarIT0_EES1_PKS1_PKT1_SA_S7_PKT3_PKT4_S5_PT5_21rocsparse_index_base_b,"axG",@progbits,_ZN9rocsparseL20bsrxmvn_17_32_kernelILj18EdlldddEEvT2_20rocsparse_direction_NS_24const_host_device_scalarIT0_EES1_PKS1_PKT1_SA_S7_PKT3_PKT4_S5_PT5_21rocsparse_index_base_b,comdat
.Lfunc_end145:
	.size	_ZN9rocsparseL20bsrxmvn_17_32_kernelILj18EdlldddEEvT2_20rocsparse_direction_NS_24const_host_device_scalarIT0_EES1_PKS1_PKT1_SA_S7_PKT3_PKT4_S5_PT5_21rocsparse_index_base_b, .Lfunc_end145-_ZN9rocsparseL20bsrxmvn_17_32_kernelILj18EdlldddEEvT2_20rocsparse_direction_NS_24const_host_device_scalarIT0_EES1_PKS1_PKT1_SA_S7_PKT3_PKT4_S5_PT5_21rocsparse_index_base_b
                                        ; -- End function
	.set _ZN9rocsparseL20bsrxmvn_17_32_kernelILj18EdlldddEEvT2_20rocsparse_direction_NS_24const_host_device_scalarIT0_EES1_PKS1_PKT1_SA_S7_PKT3_PKT4_S5_PT5_21rocsparse_index_base_b.num_vgpr, 20
	.set _ZN9rocsparseL20bsrxmvn_17_32_kernelILj18EdlldddEEvT2_20rocsparse_direction_NS_24const_host_device_scalarIT0_EES1_PKS1_PKT1_SA_S7_PKT3_PKT4_S5_PT5_21rocsparse_index_base_b.num_agpr, 0
	.set _ZN9rocsparseL20bsrxmvn_17_32_kernelILj18EdlldddEEvT2_20rocsparse_direction_NS_24const_host_device_scalarIT0_EES1_PKS1_PKT1_SA_S7_PKT3_PKT4_S5_PT5_21rocsparse_index_base_b.numbered_sgpr, 22
	.set _ZN9rocsparseL20bsrxmvn_17_32_kernelILj18EdlldddEEvT2_20rocsparse_direction_NS_24const_host_device_scalarIT0_EES1_PKS1_PKT1_SA_S7_PKT3_PKT4_S5_PT5_21rocsparse_index_base_b.num_named_barrier, 0
	.set _ZN9rocsparseL20bsrxmvn_17_32_kernelILj18EdlldddEEvT2_20rocsparse_direction_NS_24const_host_device_scalarIT0_EES1_PKS1_PKT1_SA_S7_PKT3_PKT4_S5_PT5_21rocsparse_index_base_b.private_seg_size, 0
	.set _ZN9rocsparseL20bsrxmvn_17_32_kernelILj18EdlldddEEvT2_20rocsparse_direction_NS_24const_host_device_scalarIT0_EES1_PKS1_PKT1_SA_S7_PKT3_PKT4_S5_PT5_21rocsparse_index_base_b.uses_vcc, 1
	.set _ZN9rocsparseL20bsrxmvn_17_32_kernelILj18EdlldddEEvT2_20rocsparse_direction_NS_24const_host_device_scalarIT0_EES1_PKS1_PKT1_SA_S7_PKT3_PKT4_S5_PT5_21rocsparse_index_base_b.uses_flat_scratch, 0
	.set _ZN9rocsparseL20bsrxmvn_17_32_kernelILj18EdlldddEEvT2_20rocsparse_direction_NS_24const_host_device_scalarIT0_EES1_PKS1_PKT1_SA_S7_PKT3_PKT4_S5_PT5_21rocsparse_index_base_b.has_dyn_sized_stack, 0
	.set _ZN9rocsparseL20bsrxmvn_17_32_kernelILj18EdlldddEEvT2_20rocsparse_direction_NS_24const_host_device_scalarIT0_EES1_PKS1_PKT1_SA_S7_PKT3_PKT4_S5_PT5_21rocsparse_index_base_b.has_recursion, 0
	.set _ZN9rocsparseL20bsrxmvn_17_32_kernelILj18EdlldddEEvT2_20rocsparse_direction_NS_24const_host_device_scalarIT0_EES1_PKS1_PKT1_SA_S7_PKT3_PKT4_S5_PT5_21rocsparse_index_base_b.has_indirect_call, 0
	.section	.AMDGPU.csdata,"",@progbits
; Kernel info:
; codeLenInByte = 1412
; TotalNumSgprs: 26
; NumVgprs: 20
; ScratchSize: 0
; MemoryBound: 1
; FloatMode: 240
; IeeeMode: 1
; LDSByteSize: 2592 bytes/workgroup (compile time only)
; SGPRBlocks: 8
; VGPRBlocks: 6
; NumSGPRsForWavesPerEU: 65
; NumVGPRsForWavesPerEU: 25
; Occupancy: 9
; WaveLimiterHint : 1
; COMPUTE_PGM_RSRC2:SCRATCH_EN: 0
; COMPUTE_PGM_RSRC2:USER_SGPR: 6
; COMPUTE_PGM_RSRC2:TRAP_HANDLER: 0
; COMPUTE_PGM_RSRC2:TGID_X_EN: 1
; COMPUTE_PGM_RSRC2:TGID_Y_EN: 0
; COMPUTE_PGM_RSRC2:TGID_Z_EN: 0
; COMPUTE_PGM_RSRC2:TIDIG_COMP_CNT: 0
	.section	.text._ZN9rocsparseL20bsrxmvn_17_32_kernelILj19EdlldddEEvT2_20rocsparse_direction_NS_24const_host_device_scalarIT0_EES1_PKS1_PKT1_SA_S7_PKT3_PKT4_S5_PT5_21rocsparse_index_base_b,"axG",@progbits,_ZN9rocsparseL20bsrxmvn_17_32_kernelILj19EdlldddEEvT2_20rocsparse_direction_NS_24const_host_device_scalarIT0_EES1_PKS1_PKT1_SA_S7_PKT3_PKT4_S5_PT5_21rocsparse_index_base_b,comdat
	.globl	_ZN9rocsparseL20bsrxmvn_17_32_kernelILj19EdlldddEEvT2_20rocsparse_direction_NS_24const_host_device_scalarIT0_EES1_PKS1_PKT1_SA_S7_PKT3_PKT4_S5_PT5_21rocsparse_index_base_b ; -- Begin function _ZN9rocsparseL20bsrxmvn_17_32_kernelILj19EdlldddEEvT2_20rocsparse_direction_NS_24const_host_device_scalarIT0_EES1_PKS1_PKT1_SA_S7_PKT3_PKT4_S5_PT5_21rocsparse_index_base_b
	.p2align	8
	.type	_ZN9rocsparseL20bsrxmvn_17_32_kernelILj19EdlldddEEvT2_20rocsparse_direction_NS_24const_host_device_scalarIT0_EES1_PKS1_PKT1_SA_S7_PKT3_PKT4_S5_PT5_21rocsparse_index_base_b,@function
_ZN9rocsparseL20bsrxmvn_17_32_kernelILj19EdlldddEEvT2_20rocsparse_direction_NS_24const_host_device_scalarIT0_EES1_PKS1_PKT1_SA_S7_PKT3_PKT4_S5_PT5_21rocsparse_index_base_b: ; @_ZN9rocsparseL20bsrxmvn_17_32_kernelILj19EdlldddEEvT2_20rocsparse_direction_NS_24const_host_device_scalarIT0_EES1_PKS1_PKT1_SA_S7_PKT3_PKT4_S5_PT5_21rocsparse_index_base_b
; %bb.0:
	s_load_dwordx2 s[14:15], s[4:5], 0x60
	s_load_dwordx2 s[8:9], s[4:5], 0x10
	;; [unrolled: 1-line block ×3, first 2 shown]
	s_waitcnt lgkmcnt(0)
	s_bitcmp1_b32 s15, 0
	s_cselect_b64 s[10:11], -1, 0
	v_mov_b32_e32 v3, s8
	s_xor_b64 s[2:3], s[10:11], -1
	s_and_b64 vcc, exec, s[10:11]
	v_mov_b32_e32 v4, s9
	s_cbranch_vccnz .LBB146_2
; %bb.1:
	v_mov_b32_e32 v1, s8
	v_mov_b32_e32 v2, s9
	flat_load_dwordx2 v[3:4], v[1:2]
.LBB146_2:
	v_mov_b32_e32 v2, s1
	s_andn2_b64 vcc, exec, s[2:3]
	v_mov_b32_e32 v1, s0
	s_cbranch_vccnz .LBB146_4
; %bb.3:
	v_mov_b32_e32 v2, s1
	v_mov_b32_e32 v1, s0
	flat_load_dwordx2 v[1:2], v[1:2]
.LBB146_4:
	s_waitcnt vmcnt(0) lgkmcnt(0)
	v_cmp_neq_f64_e32 vcc, 0, v[3:4]
	v_cmp_neq_f64_e64 s[0:1], 1.0, v[1:2]
	s_or_b64 s[0:1], vcc, s[0:1]
	s_and_saveexec_b64 s[2:3], s[0:1]
	s_cbranch_execz .LBB146_41
; %bb.5:
	s_load_dwordx4 s[0:3], s[4:5], 0x20
	s_load_dwordx2 s[8:9], s[4:5], 0x30
	s_mov_b32 s7, 0
	s_waitcnt lgkmcnt(0)
	s_cmp_eq_u64 s[0:1], 0
	s_cbranch_scc1 .LBB146_7
; %bb.6:
	s_lshl_b64 s[6:7], s[6:7], 3
	s_add_u32 s0, s0, s6
	s_addc_u32 s1, s1, s7
	s_load_dwordx2 s[0:1], s[0:1], 0x0
	s_waitcnt lgkmcnt(0)
	s_sub_u32 s6, s0, s14
	s_subb_u32 s7, s1, 0
.LBB146_7:
	s_load_dword s10, s[4:5], 0x8
	s_load_dwordx2 s[12:13], s[4:5], 0x58
	v_mul_u32_u24_e32 v7, 0xd7a, v0
	v_mov_b32_e32 v8, 19
	v_mul_lo_u16_sdwa v5, v7, v8 dst_sel:DWORD dst_unused:UNUSED_PAD src0_sel:WORD_1 src1_sel:DWORD
	s_waitcnt lgkmcnt(0)
	s_cmp_eq_u32 s10, 1
	s_cselect_b64 s[0:1], -1, 0
	s_cmp_lg_u32 s10, 1
	s_cselect_b64 s[16:17], -1, 0
	s_lshl_b64 s[10:11], s[6:7], 3
	s_add_u32 s20, s2, s10
	s_addc_u32 s21, s3, s11
	s_add_u32 s2, s20, 8
	s_addc_u32 s3, s21, 0
	;; [unrolled: 2-line block ×3, first 2 shown]
	s_cmp_eq_u64 s[8:9], 0
	s_cselect_b32 s9, s3, s11
	s_cselect_b32 s8, s2, s10
	s_load_dwordx2 s[2:3], s[8:9], 0x0
	s_load_dwordx2 s[18:19], s[20:21], 0x0
	v_sub_u16_e32 v16, v0, v5
	v_lshlrev_b32_e32 v15, 3, v0
	s_waitcnt lgkmcnt(0)
	v_mov_b32_e32 v6, s3
	v_mov_b32_e32 v5, s2
	v_cmp_ge_i64_e32 vcc, s[18:19], v[5:6]
	v_mov_b32_e32 v5, 0
	v_mov_b32_e32 v6, 0
	s_cbranch_vccnz .LBB146_12
; %bb.8:
	v_mov_b32_e32 v5, 14
	v_mul_lo_u16_sdwa v5, v7, v5 dst_sel:DWORD dst_unused:UNUSED_PAD src0_sel:WORD_1 src1_sel:DWORD
	s_sub_u32 s2, s2, s14
	s_load_dwordx4 s[8:11], s[4:5], 0x38
	s_load_dwordx2 s[20:21], s[4:5], 0x48
	v_mul_lo_u16_sdwa v5, v5, v8 dst_sel:DWORD dst_unused:UNUSED_PAD src0_sel:BYTE_1 src1_sel:DWORD
	s_subb_u32 s3, s3, 0
	v_sub_u16_sdwa v5, v7, v5 dst_sel:DWORD dst_unused:UNUSED_PAD src0_sel:WORD_1 src1_sel:DWORD
	s_sub_u32 s4, s18, s14
	v_and_b32_e32 v5, 0xff, v5
	s_subb_u32 s5, s19, 0
	v_cndmask_b32_e64 v5, v16, v5, s[0:1]
	s_mul_i32 s0, s5, 0xb48
	s_mul_hi_u32 s1, s4, 0xb48
	v_lshlrev_b32_e32 v5, 3, v5
	s_add_i32 s1, s1, s0
	s_mul_i32 s0, s4, 0xb48
	s_waitcnt lgkmcnt(0)
	v_mov_b32_e32 v6, s21
	v_add_co_u32_e32 v7, vcc, s20, v5
	s_add_u32 s0, s10, s0
	v_addc_co_u32_e32 v8, vcc, 0, v6, vcc
	s_addc_u32 s1, s11, s1
	v_mov_b32_e32 v5, s1
	v_add_co_u32_e32 v9, vcc, s0, v15
	s_movk_i32 s0, 0xb6
	v_addc_co_u32_e32 v10, vcc, 0, v5, vcc
	v_mul_u32_u24_sdwa v5, v0, s0 dst_sel:DWORD dst_unused:UNUSED_PAD src0_sel:WORD_0 src1_sel:DWORD
	v_lshrrev_b32_e32 v17, 16, v5
	v_mov_b32_e32 v5, s19
	v_add_co_u32_e32 v6, vcc, s18, v17
	v_addc_co_u32_e32 v11, vcc, 0, v5, vcc
	v_subrev_co_u32_e32 v5, vcc, s14, v6
	v_subbrev_co_u32_e32 v6, vcc, 0, v11, vcc
	v_lshlrev_b64 v[5:6], 3, v[5:6]
	v_mov_b32_e32 v12, s9
	v_add_co_u32_e32 v11, vcc, s8, v5
	v_addc_co_u32_e32 v12, vcc, v12, v6, vcc
	v_mov_b32_e32 v5, 0
	v_mov_b32_e32 v14, s3
	;; [unrolled: 1-line block ×3, first 2 shown]
	s_movk_i32 s8, 0x98
	v_mov_b32_e32 v13, s2
	s_branch .LBB146_10
.LBB146_9:                              ;   in Loop: Header=BB146_10 Depth=1
	s_or_b64 exec, exec, s[0:1]
	s_add_u32 s4, s4, 1
	s_addc_u32 s5, s5, 0
	v_cmp_lt_i64_e32 vcc, s[4:5], v[13:14]
	v_add_co_u32_e64 v11, s[0:1], 8, v11
	v_addc_co_u32_e64 v12, s[0:1], 0, v12, s[0:1]
	s_cbranch_vccz .LBB146_12
.LBB146_10:                             ; =>This Inner Loop Header: Depth=1
	v_mov_b32_e32 v19, s5
	v_add_co_u32_e32 v18, vcc, s4, v17
	v_addc_co_u32_e32 v19, vcc, 0, v19, vcc
	v_cmp_gt_i64_e32 vcc, s[2:3], v[18:19]
	s_and_saveexec_b64 s[0:1], vcc
	s_cbranch_execz .LBB146_9
; %bb.11:                               ;   in Loop: Header=BB146_10 Depth=1
	global_load_dwordx2 v[18:19], v[11:12], off
	s_waitcnt vmcnt(0)
	v_subrev_co_u32_e32 v18, vcc, s14, v18
	v_subbrev_co_u32_e32 v20, vcc, 0, v19, vcc
	v_mad_u64_u32 v[18:19], s[10:11], v18, s8, v[7:8]
	v_mad_u64_u32 v[19:20], s[10:11], v20, s8, v[19:20]
	global_load_dwordx2 v[20:21], v[9:10], off
	s_nop 0
	global_load_dwordx2 v[18:19], v[18:19], off
	v_add_co_u32_e32 v9, vcc, 0xb48, v9
	v_addc_co_u32_e32 v10, vcc, 0, v10, vcc
	s_waitcnt vmcnt(0)
	v_fma_f64 v[5:6], v[20:21], v[18:19], v[5:6]
	s_branch .LBB146_9
.LBB146_12:
	s_and_b64 vcc, exec, s[16:17]
	ds_write_b64 v15, v[5:6]
	s_waitcnt lgkmcnt(0)
	s_barrier
	s_cbranch_vccz .LBB146_24
; %bb.13:
	v_cmp_gt_u16_e32 vcc, 3, v16
	s_and_saveexec_b64 s[0:1], vcc
	s_cbranch_execz .LBB146_15
; %bb.14:
	ds_read2_b64 v[7:10], v15 offset1:16
	s_waitcnt lgkmcnt(0)
	v_add_f64 v[7:8], v[9:10], v[7:8]
	ds_write_b64 v15, v[7:8]
.LBB146_15:
	s_or_b64 exec, exec, s[0:1]
	v_cmp_gt_u16_e32 vcc, 8, v16
	s_waitcnt lgkmcnt(0)
	s_barrier
	s_and_saveexec_b64 s[0:1], vcc
	s_cbranch_execz .LBB146_17
; %bb.16:
	ds_read2_b64 v[7:10], v15 offset1:8
	s_waitcnt lgkmcnt(0)
	v_add_f64 v[7:8], v[9:10], v[7:8]
	ds_write_b64 v15, v[7:8]
.LBB146_17:
	s_or_b64 exec, exec, s[0:1]
	v_cmp_gt_u16_e32 vcc, 4, v16
	s_waitcnt lgkmcnt(0)
	s_barrier
	;; [unrolled: 12-line block ×3, first 2 shown]
	s_and_saveexec_b64 s[0:1], vcc
	s_cbranch_execz .LBB146_21
; %bb.20:
	ds_read2_b64 v[7:10], v15 offset1:2
	s_waitcnt lgkmcnt(0)
	v_add_f64 v[7:8], v[9:10], v[7:8]
	ds_write_b64 v15, v[7:8]
.LBB146_21:
	s_or_b64 exec, exec, s[0:1]
	v_mov_b32_e32 v8, v6
	v_cmp_gt_u32_e32 vcc, 19, v0
	v_mov_b32_e32 v7, v5
	s_waitcnt lgkmcnt(0)
	s_barrier
	s_and_saveexec_b64 s[0:1], vcc
	s_cbranch_execz .LBB146_23
; %bb.22:
	s_movk_i32 s2, 0x90
	v_mad_u32_u24 v7, v0, s2, v15
	ds_read2_b64 v[7:10], v7 offset1:1
	s_waitcnt lgkmcnt(0)
	v_add_f64 v[7:8], v[7:8], v[9:10]
.LBB146_23:
	s_or_b64 exec, exec, s[0:1]
	s_branch .LBB146_36
.LBB146_24:
                                        ; implicit-def: $vgpr7_vgpr8
	s_cbranch_execz .LBB146_36
; %bb.25:
	v_cmp_gt_u32_e32 vcc, 57, v0
	s_and_saveexec_b64 s[0:1], vcc
	s_cbranch_execz .LBB146_27
; %bb.26:
	ds_read_b64 v[7:8], v15 offset:2432
	ds_read_b64 v[9:10], v15
	s_waitcnt lgkmcnt(0)
	v_add_f64 v[7:8], v[7:8], v[9:10]
	ds_write_b64 v15, v[7:8]
.LBB146_27:
	s_or_b64 exec, exec, s[0:1]
	s_movk_i32 s0, 0x98
	v_cmp_gt_u32_e32 vcc, s0, v0
	s_waitcnt lgkmcnt(0)
	s_barrier
	s_and_saveexec_b64 s[0:1], vcc
	s_cbranch_execz .LBB146_29
; %bb.28:
	ds_read2_b64 v[7:10], v15 offset1:152
	s_waitcnt lgkmcnt(0)
	v_add_f64 v[7:8], v[9:10], v[7:8]
	ds_write_b64 v15, v[7:8]
.LBB146_29:
	s_or_b64 exec, exec, s[0:1]
	s_movk_i32 s0, 0x4c
	v_cmp_gt_u32_e32 vcc, s0, v0
	s_waitcnt lgkmcnt(0)
	s_barrier
	s_and_saveexec_b64 s[0:1], vcc
	s_cbranch_execz .LBB146_31
; %bb.30:
	ds_read2_b64 v[7:10], v15 offset1:76
	s_waitcnt lgkmcnt(0)
	v_add_f64 v[7:8], v[9:10], v[7:8]
	ds_write_b64 v15, v[7:8]
.LBB146_31:
	s_or_b64 exec, exec, s[0:1]
	v_cmp_gt_u32_e32 vcc, 38, v0
	s_waitcnt lgkmcnt(0)
	s_barrier
	s_and_saveexec_b64 s[0:1], vcc
	s_cbranch_execz .LBB146_33
; %bb.32:
	ds_read2_b64 v[7:10], v15 offset1:38
	s_waitcnt lgkmcnt(0)
	v_add_f64 v[7:8], v[9:10], v[7:8]
	ds_write_b64 v15, v[7:8]
.LBB146_33:
	s_or_b64 exec, exec, s[0:1]
	v_cmp_gt_u32_e32 vcc, 19, v0
	s_waitcnt lgkmcnt(0)
	s_and_saveexec_b64 s[0:1], vcc
	s_cbranch_execz .LBB146_35
; %bb.34:
	ds_read2_b64 v[5:8], v15 offset1:19
	s_waitcnt lgkmcnt(0)
	v_add_f64 v[5:6], v[5:6], v[7:8]
.LBB146_35:
	s_or_b64 exec, exec, s[0:1]
	v_mov_b32_e32 v8, v6
	v_mov_b32_e32 v7, v5
.LBB146_36:
	v_cmp_gt_u32_e32 vcc, 19, v0
	s_and_b64 exec, exec, vcc
	s_cbranch_execz .LBB146_41
; %bb.37:
	v_cmp_eq_f64_e32 vcc, 0, v[1:2]
	v_mul_f64 v[3:4], v[3:4], v[7:8]
	s_mul_i32 s2, s7, 0x98
	s_mul_hi_u32 s3, s6, 0x98
	s_mul_i32 s4, s6, 0x98
	s_and_saveexec_b64 s[0:1], vcc
	s_xor_b64 s[0:1], exec, s[0:1]
	s_cbranch_execz .LBB146_39
; %bb.38:
	s_add_i32 s5, s3, s2
	s_add_u32 s6, s12, s4
	s_addc_u32 s7, s13, s5
	global_store_dwordx2 v15, v[3:4], s[6:7]
                                        ; implicit-def: $vgpr15
                                        ; implicit-def: $vgpr1_vgpr2
                                        ; implicit-def: $vgpr3_vgpr4
.LBB146_39:
	s_andn2_saveexec_b64 s[0:1], s[0:1]
	s_cbranch_execz .LBB146_41
; %bb.40:
	s_add_i32 s3, s3, s2
	s_add_u32 s0, s12, s4
	s_addc_u32 s1, s13, s3
	global_load_dwordx2 v[5:6], v15, s[0:1]
	s_waitcnt vmcnt(0)
	v_fma_f64 v[0:1], v[1:2], v[5:6], v[3:4]
	global_store_dwordx2 v15, v[0:1], s[0:1]
.LBB146_41:
	s_endpgm
	.section	.rodata,"a",@progbits
	.p2align	6, 0x0
	.amdhsa_kernel _ZN9rocsparseL20bsrxmvn_17_32_kernelILj19EdlldddEEvT2_20rocsparse_direction_NS_24const_host_device_scalarIT0_EES1_PKS1_PKT1_SA_S7_PKT3_PKT4_S5_PT5_21rocsparse_index_base_b
		.amdhsa_group_segment_fixed_size 2888
		.amdhsa_private_segment_fixed_size 0
		.amdhsa_kernarg_size 104
		.amdhsa_user_sgpr_count 6
		.amdhsa_user_sgpr_private_segment_buffer 1
		.amdhsa_user_sgpr_dispatch_ptr 0
		.amdhsa_user_sgpr_queue_ptr 0
		.amdhsa_user_sgpr_kernarg_segment_ptr 1
		.amdhsa_user_sgpr_dispatch_id 0
		.amdhsa_user_sgpr_flat_scratch_init 0
		.amdhsa_user_sgpr_private_segment_size 0
		.amdhsa_uses_dynamic_stack 0
		.amdhsa_system_sgpr_private_segment_wavefront_offset 0
		.amdhsa_system_sgpr_workgroup_id_x 1
		.amdhsa_system_sgpr_workgroup_id_y 0
		.amdhsa_system_sgpr_workgroup_id_z 0
		.amdhsa_system_sgpr_workgroup_info 0
		.amdhsa_system_vgpr_workitem_id 0
		.amdhsa_next_free_vgpr 25
		.amdhsa_next_free_sgpr 61
		.amdhsa_reserve_vcc 1
		.amdhsa_reserve_flat_scratch 0
		.amdhsa_float_round_mode_32 0
		.amdhsa_float_round_mode_16_64 0
		.amdhsa_float_denorm_mode_32 3
		.amdhsa_float_denorm_mode_16_64 3
		.amdhsa_dx10_clamp 1
		.amdhsa_ieee_mode 1
		.amdhsa_fp16_overflow 0
		.amdhsa_exception_fp_ieee_invalid_op 0
		.amdhsa_exception_fp_denorm_src 0
		.amdhsa_exception_fp_ieee_div_zero 0
		.amdhsa_exception_fp_ieee_overflow 0
		.amdhsa_exception_fp_ieee_underflow 0
		.amdhsa_exception_fp_ieee_inexact 0
		.amdhsa_exception_int_div_zero 0
	.end_amdhsa_kernel
	.section	.text._ZN9rocsparseL20bsrxmvn_17_32_kernelILj19EdlldddEEvT2_20rocsparse_direction_NS_24const_host_device_scalarIT0_EES1_PKS1_PKT1_SA_S7_PKT3_PKT4_S5_PT5_21rocsparse_index_base_b,"axG",@progbits,_ZN9rocsparseL20bsrxmvn_17_32_kernelILj19EdlldddEEvT2_20rocsparse_direction_NS_24const_host_device_scalarIT0_EES1_PKS1_PKT1_SA_S7_PKT3_PKT4_S5_PT5_21rocsparse_index_base_b,comdat
.Lfunc_end146:
	.size	_ZN9rocsparseL20bsrxmvn_17_32_kernelILj19EdlldddEEvT2_20rocsparse_direction_NS_24const_host_device_scalarIT0_EES1_PKS1_PKT1_SA_S7_PKT3_PKT4_S5_PT5_21rocsparse_index_base_b, .Lfunc_end146-_ZN9rocsparseL20bsrxmvn_17_32_kernelILj19EdlldddEEvT2_20rocsparse_direction_NS_24const_host_device_scalarIT0_EES1_PKS1_PKT1_SA_S7_PKT3_PKT4_S5_PT5_21rocsparse_index_base_b
                                        ; -- End function
	.set _ZN9rocsparseL20bsrxmvn_17_32_kernelILj19EdlldddEEvT2_20rocsparse_direction_NS_24const_host_device_scalarIT0_EES1_PKS1_PKT1_SA_S7_PKT3_PKT4_S5_PT5_21rocsparse_index_base_b.num_vgpr, 22
	.set _ZN9rocsparseL20bsrxmvn_17_32_kernelILj19EdlldddEEvT2_20rocsparse_direction_NS_24const_host_device_scalarIT0_EES1_PKS1_PKT1_SA_S7_PKT3_PKT4_S5_PT5_21rocsparse_index_base_b.num_agpr, 0
	.set _ZN9rocsparseL20bsrxmvn_17_32_kernelILj19EdlldddEEvT2_20rocsparse_direction_NS_24const_host_device_scalarIT0_EES1_PKS1_PKT1_SA_S7_PKT3_PKT4_S5_PT5_21rocsparse_index_base_b.numbered_sgpr, 22
	.set _ZN9rocsparseL20bsrxmvn_17_32_kernelILj19EdlldddEEvT2_20rocsparse_direction_NS_24const_host_device_scalarIT0_EES1_PKS1_PKT1_SA_S7_PKT3_PKT4_S5_PT5_21rocsparse_index_base_b.num_named_barrier, 0
	.set _ZN9rocsparseL20bsrxmvn_17_32_kernelILj19EdlldddEEvT2_20rocsparse_direction_NS_24const_host_device_scalarIT0_EES1_PKS1_PKT1_SA_S7_PKT3_PKT4_S5_PT5_21rocsparse_index_base_b.private_seg_size, 0
	.set _ZN9rocsparseL20bsrxmvn_17_32_kernelILj19EdlldddEEvT2_20rocsparse_direction_NS_24const_host_device_scalarIT0_EES1_PKS1_PKT1_SA_S7_PKT3_PKT4_S5_PT5_21rocsparse_index_base_b.uses_vcc, 1
	.set _ZN9rocsparseL20bsrxmvn_17_32_kernelILj19EdlldddEEvT2_20rocsparse_direction_NS_24const_host_device_scalarIT0_EES1_PKS1_PKT1_SA_S7_PKT3_PKT4_S5_PT5_21rocsparse_index_base_b.uses_flat_scratch, 0
	.set _ZN9rocsparseL20bsrxmvn_17_32_kernelILj19EdlldddEEvT2_20rocsparse_direction_NS_24const_host_device_scalarIT0_EES1_PKS1_PKT1_SA_S7_PKT3_PKT4_S5_PT5_21rocsparse_index_base_b.has_dyn_sized_stack, 0
	.set _ZN9rocsparseL20bsrxmvn_17_32_kernelILj19EdlldddEEvT2_20rocsparse_direction_NS_24const_host_device_scalarIT0_EES1_PKS1_PKT1_SA_S7_PKT3_PKT4_S5_PT5_21rocsparse_index_base_b.has_recursion, 0
	.set _ZN9rocsparseL20bsrxmvn_17_32_kernelILj19EdlldddEEvT2_20rocsparse_direction_NS_24const_host_device_scalarIT0_EES1_PKS1_PKT1_SA_S7_PKT3_PKT4_S5_PT5_21rocsparse_index_base_b.has_indirect_call, 0
	.section	.AMDGPU.csdata,"",@progbits
; Kernel info:
; codeLenInByte = 1404
; TotalNumSgprs: 26
; NumVgprs: 22
; ScratchSize: 0
; MemoryBound: 1
; FloatMode: 240
; IeeeMode: 1
; LDSByteSize: 2888 bytes/workgroup (compile time only)
; SGPRBlocks: 8
; VGPRBlocks: 6
; NumSGPRsForWavesPerEU: 65
; NumVGPRsForWavesPerEU: 25
; Occupancy: 9
; WaveLimiterHint : 1
; COMPUTE_PGM_RSRC2:SCRATCH_EN: 0
; COMPUTE_PGM_RSRC2:USER_SGPR: 6
; COMPUTE_PGM_RSRC2:TRAP_HANDLER: 0
; COMPUTE_PGM_RSRC2:TGID_X_EN: 1
; COMPUTE_PGM_RSRC2:TGID_Y_EN: 0
; COMPUTE_PGM_RSRC2:TGID_Z_EN: 0
; COMPUTE_PGM_RSRC2:TIDIG_COMP_CNT: 0
	.section	.text._ZN9rocsparseL20bsrxmvn_17_32_kernelILj20EdlldddEEvT2_20rocsparse_direction_NS_24const_host_device_scalarIT0_EES1_PKS1_PKT1_SA_S7_PKT3_PKT4_S5_PT5_21rocsparse_index_base_b,"axG",@progbits,_ZN9rocsparseL20bsrxmvn_17_32_kernelILj20EdlldddEEvT2_20rocsparse_direction_NS_24const_host_device_scalarIT0_EES1_PKS1_PKT1_SA_S7_PKT3_PKT4_S5_PT5_21rocsparse_index_base_b,comdat
	.globl	_ZN9rocsparseL20bsrxmvn_17_32_kernelILj20EdlldddEEvT2_20rocsparse_direction_NS_24const_host_device_scalarIT0_EES1_PKS1_PKT1_SA_S7_PKT3_PKT4_S5_PT5_21rocsparse_index_base_b ; -- Begin function _ZN9rocsparseL20bsrxmvn_17_32_kernelILj20EdlldddEEvT2_20rocsparse_direction_NS_24const_host_device_scalarIT0_EES1_PKS1_PKT1_SA_S7_PKT3_PKT4_S5_PT5_21rocsparse_index_base_b
	.p2align	8
	.type	_ZN9rocsparseL20bsrxmvn_17_32_kernelILj20EdlldddEEvT2_20rocsparse_direction_NS_24const_host_device_scalarIT0_EES1_PKS1_PKT1_SA_S7_PKT3_PKT4_S5_PT5_21rocsparse_index_base_b,@function
_ZN9rocsparseL20bsrxmvn_17_32_kernelILj20EdlldddEEvT2_20rocsparse_direction_NS_24const_host_device_scalarIT0_EES1_PKS1_PKT1_SA_S7_PKT3_PKT4_S5_PT5_21rocsparse_index_base_b: ; @_ZN9rocsparseL20bsrxmvn_17_32_kernelILj20EdlldddEEvT2_20rocsparse_direction_NS_24const_host_device_scalarIT0_EES1_PKS1_PKT1_SA_S7_PKT3_PKT4_S5_PT5_21rocsparse_index_base_b
; %bb.0:
	s_load_dwordx2 s[14:15], s[4:5], 0x60
	s_load_dwordx2 s[8:9], s[4:5], 0x10
	;; [unrolled: 1-line block ×3, first 2 shown]
	s_waitcnt lgkmcnt(0)
	s_bitcmp1_b32 s15, 0
	s_cselect_b64 s[10:11], -1, 0
	v_mov_b32_e32 v3, s8
	s_xor_b64 s[2:3], s[10:11], -1
	s_and_b64 vcc, exec, s[10:11]
	v_mov_b32_e32 v4, s9
	s_cbranch_vccnz .LBB147_2
; %bb.1:
	v_mov_b32_e32 v1, s8
	v_mov_b32_e32 v2, s9
	flat_load_dwordx2 v[3:4], v[1:2]
.LBB147_2:
	v_mov_b32_e32 v2, s1
	s_andn2_b64 vcc, exec, s[2:3]
	v_mov_b32_e32 v1, s0
	s_cbranch_vccnz .LBB147_4
; %bb.3:
	v_mov_b32_e32 v2, s1
	v_mov_b32_e32 v1, s0
	flat_load_dwordx2 v[1:2], v[1:2]
.LBB147_4:
	s_waitcnt vmcnt(0) lgkmcnt(0)
	v_cmp_neq_f64_e32 vcc, 0, v[3:4]
	v_cmp_neq_f64_e64 s[0:1], 1.0, v[1:2]
	s_or_b64 s[0:1], vcc, s[0:1]
	s_and_saveexec_b64 s[2:3], s[0:1]
	s_cbranch_execz .LBB147_41
; %bb.5:
	s_load_dwordx4 s[0:3], s[4:5], 0x20
	s_load_dwordx2 s[8:9], s[4:5], 0x30
	s_mov_b32 s7, 0
	s_waitcnt lgkmcnt(0)
	s_cmp_eq_u64 s[0:1], 0
	s_cbranch_scc1 .LBB147_7
; %bb.6:
	s_lshl_b64 s[6:7], s[6:7], 3
	s_add_u32 s0, s0, s6
	s_addc_u32 s1, s1, s7
	s_load_dwordx2 s[0:1], s[0:1], 0x0
	s_waitcnt lgkmcnt(0)
	s_sub_u32 s6, s0, s14
	s_subb_u32 s7, s1, 0
.LBB147_7:
	s_load_dword s10, s[4:5], 0x8
	s_load_dwordx2 s[12:13], s[4:5], 0x58
	v_mul_u32_u24_e32 v7, 0xccd, v0
	v_mov_b32_e32 v8, 20
	v_mul_lo_u16_sdwa v5, v7, v8 dst_sel:DWORD dst_unused:UNUSED_PAD src0_sel:WORD_1 src1_sel:DWORD
	s_waitcnt lgkmcnt(0)
	s_cmp_eq_u32 s10, 1
	s_cselect_b64 s[0:1], -1, 0
	s_cmp_lg_u32 s10, 1
	s_cselect_b64 s[16:17], -1, 0
	s_lshl_b64 s[10:11], s[6:7], 3
	s_add_u32 s20, s2, s10
	s_addc_u32 s21, s3, s11
	s_add_u32 s2, s20, 8
	s_addc_u32 s3, s21, 0
	;; [unrolled: 2-line block ×3, first 2 shown]
	s_cmp_eq_u64 s[8:9], 0
	s_cselect_b32 s9, s3, s11
	s_cselect_b32 s8, s2, s10
	s_load_dwordx2 s[2:3], s[8:9], 0x0
	s_load_dwordx2 s[18:19], s[20:21], 0x0
	v_sub_u16_e32 v16, v0, v5
	v_lshlrev_b32_e32 v15, 3, v0
	s_waitcnt lgkmcnt(0)
	v_mov_b32_e32 v6, s3
	v_mov_b32_e32 v5, s2
	v_cmp_ge_i64_e32 vcc, s[18:19], v[5:6]
	v_mov_b32_e32 v5, 0
	v_mov_b32_e32 v6, 0
	s_cbranch_vccnz .LBB147_12
; %bb.8:
	v_mov_b32_e32 v5, 13
	v_mul_lo_u16_sdwa v5, v7, v5 dst_sel:DWORD dst_unused:UNUSED_PAD src0_sel:WORD_1 src1_sel:DWORD
	s_sub_u32 s2, s2, s14
	s_load_dwordx4 s[8:11], s[4:5], 0x38
	s_load_dwordx2 s[20:21], s[4:5], 0x48
	v_mul_lo_u16_sdwa v5, v5, v8 dst_sel:DWORD dst_unused:UNUSED_PAD src0_sel:BYTE_1 src1_sel:DWORD
	s_subb_u32 s3, s3, 0
	v_sub_u16_sdwa v5, v7, v5 dst_sel:DWORD dst_unused:UNUSED_PAD src0_sel:WORD_1 src1_sel:DWORD
	s_sub_u32 s4, s18, s14
	v_and_b32_e32 v5, 0xff, v5
	s_subb_u32 s5, s19, 0
	v_cndmask_b32_e64 v5, v16, v5, s[0:1]
	s_mul_i32 s0, s5, 0xc80
	s_mul_hi_u32 s1, s4, 0xc80
	v_lshlrev_b32_e32 v5, 3, v5
	s_add_i32 s1, s1, s0
	s_mul_i32 s0, s4, 0xc80
	s_waitcnt lgkmcnt(0)
	v_mov_b32_e32 v6, s21
	v_add_co_u32_e32 v7, vcc, s20, v5
	s_add_u32 s0, s10, s0
	v_addc_co_u32_e32 v8, vcc, 0, v6, vcc
	s_addc_u32 s1, s11, s1
	v_mov_b32_e32 v5, s1
	v_add_co_u32_e32 v9, vcc, s0, v15
	s_movk_i32 s0, 0xa4
	v_addc_co_u32_e32 v10, vcc, 0, v5, vcc
	v_mul_u32_u24_sdwa v5, v0, s0 dst_sel:DWORD dst_unused:UNUSED_PAD src0_sel:WORD_0 src1_sel:DWORD
	v_lshrrev_b32_e32 v17, 16, v5
	v_mov_b32_e32 v5, s19
	v_add_co_u32_e32 v6, vcc, s18, v17
	v_addc_co_u32_e32 v11, vcc, 0, v5, vcc
	v_subrev_co_u32_e32 v5, vcc, s14, v6
	v_subbrev_co_u32_e32 v6, vcc, 0, v11, vcc
	v_lshlrev_b64 v[5:6], 3, v[5:6]
	v_mov_b32_e32 v12, s9
	v_add_co_u32_e32 v11, vcc, s8, v5
	v_addc_co_u32_e32 v12, vcc, v12, v6, vcc
	v_mov_b32_e32 v5, 0
	v_mov_b32_e32 v14, s3
	;; [unrolled: 1-line block ×3, first 2 shown]
	s_movk_i32 s8, 0xa0
	v_mov_b32_e32 v13, s2
	s_branch .LBB147_10
.LBB147_9:                              ;   in Loop: Header=BB147_10 Depth=1
	s_or_b64 exec, exec, s[0:1]
	s_add_u32 s4, s4, 1
	s_addc_u32 s5, s5, 0
	v_cmp_lt_i64_e32 vcc, s[4:5], v[13:14]
	v_add_co_u32_e64 v11, s[0:1], 8, v11
	v_addc_co_u32_e64 v12, s[0:1], 0, v12, s[0:1]
	s_cbranch_vccz .LBB147_12
.LBB147_10:                             ; =>This Inner Loop Header: Depth=1
	v_mov_b32_e32 v19, s5
	v_add_co_u32_e32 v18, vcc, s4, v17
	v_addc_co_u32_e32 v19, vcc, 0, v19, vcc
	v_cmp_gt_i64_e32 vcc, s[2:3], v[18:19]
	s_and_saveexec_b64 s[0:1], vcc
	s_cbranch_execz .LBB147_9
; %bb.11:                               ;   in Loop: Header=BB147_10 Depth=1
	global_load_dwordx2 v[18:19], v[11:12], off
	s_waitcnt vmcnt(0)
	v_subrev_co_u32_e32 v18, vcc, s14, v18
	v_subbrev_co_u32_e32 v20, vcc, 0, v19, vcc
	v_mad_u64_u32 v[18:19], s[10:11], v18, s8, v[7:8]
	v_mad_u64_u32 v[19:20], s[10:11], v20, s8, v[19:20]
	global_load_dwordx2 v[20:21], v[9:10], off
	s_nop 0
	global_load_dwordx2 v[18:19], v[18:19], off
	v_add_co_u32_e32 v9, vcc, 0xc80, v9
	v_addc_co_u32_e32 v10, vcc, 0, v10, vcc
	s_waitcnt vmcnt(0)
	v_fma_f64 v[5:6], v[20:21], v[18:19], v[5:6]
	s_branch .LBB147_9
.LBB147_12:
	s_and_b64 vcc, exec, s[16:17]
	ds_write_b64 v15, v[5:6]
	s_waitcnt lgkmcnt(0)
	s_barrier
	s_cbranch_vccz .LBB147_24
; %bb.13:
	v_cmp_gt_u16_e32 vcc, 4, v16
	s_and_saveexec_b64 s[0:1], vcc
	s_cbranch_execz .LBB147_15
; %bb.14:
	ds_read2_b64 v[7:10], v15 offset1:16
	s_waitcnt lgkmcnt(0)
	v_add_f64 v[7:8], v[9:10], v[7:8]
	ds_write_b64 v15, v[7:8]
.LBB147_15:
	s_or_b64 exec, exec, s[0:1]
	v_cmp_gt_u16_e64 s[0:1], 8, v16
	s_waitcnt lgkmcnt(0)
	s_barrier
	s_and_saveexec_b64 s[2:3], s[0:1]
	s_cbranch_execz .LBB147_17
; %bb.16:
	ds_read2_b64 v[7:10], v15 offset1:8
	s_waitcnt lgkmcnt(0)
	v_add_f64 v[7:8], v[9:10], v[7:8]
	ds_write_b64 v15, v[7:8]
.LBB147_17:
	s_or_b64 exec, exec, s[2:3]
	s_waitcnt lgkmcnt(0)
	s_barrier
	s_and_saveexec_b64 s[0:1], vcc
	s_cbranch_execz .LBB147_19
; %bb.18:
	ds_read2_b64 v[7:10], v15 offset1:4
	s_waitcnt lgkmcnt(0)
	v_add_f64 v[7:8], v[9:10], v[7:8]
	ds_write_b64 v15, v[7:8]
.LBB147_19:
	s_or_b64 exec, exec, s[0:1]
	v_cmp_gt_u16_e32 vcc, 2, v16
	s_waitcnt lgkmcnt(0)
	s_barrier
	s_and_saveexec_b64 s[0:1], vcc
	s_cbranch_execz .LBB147_21
; %bb.20:
	ds_read2_b64 v[7:10], v15 offset1:2
	s_waitcnt lgkmcnt(0)
	v_add_f64 v[7:8], v[9:10], v[7:8]
	ds_write_b64 v15, v[7:8]
.LBB147_21:
	s_or_b64 exec, exec, s[0:1]
	v_mov_b32_e32 v8, v6
	v_cmp_gt_u32_e32 vcc, 20, v0
	v_mov_b32_e32 v7, v5
	s_waitcnt lgkmcnt(0)
	s_barrier
	s_and_saveexec_b64 s[0:1], vcc
	s_cbranch_execz .LBB147_23
; %bb.22:
	s_movk_i32 s2, 0x98
	v_mad_u32_u24 v7, v0, s2, v15
	ds_read_b128 v[7:10], v7
	s_waitcnt lgkmcnt(0)
	v_add_f64 v[7:8], v[7:8], v[9:10]
.LBB147_23:
	s_or_b64 exec, exec, s[0:1]
	s_branch .LBB147_36
.LBB147_24:
                                        ; implicit-def: $vgpr7_vgpr8
	s_cbranch_execz .LBB147_36
; %bb.25:
	s_movk_i32 s0, 0x50
	v_cmp_gt_u32_e32 vcc, s0, v0
	s_and_saveexec_b64 s[0:1], vcc
	s_cbranch_execz .LBB147_27
; %bb.26:
	ds_read2st64_b64 v[7:10], v15 offset1:5
	s_waitcnt lgkmcnt(0)
	v_add_f64 v[7:8], v[9:10], v[7:8]
	ds_write_b64 v15, v[7:8]
.LBB147_27:
	s_or_b64 exec, exec, s[0:1]
	s_movk_i32 s0, 0xa0
	v_cmp_gt_u32_e64 s[0:1], s0, v0
	s_waitcnt lgkmcnt(0)
	s_barrier
	s_and_saveexec_b64 s[2:3], s[0:1]
	s_cbranch_execz .LBB147_29
; %bb.28:
	ds_read2_b64 v[7:10], v15 offset1:160
	s_waitcnt lgkmcnt(0)
	v_add_f64 v[7:8], v[9:10], v[7:8]
	ds_write_b64 v15, v[7:8]
.LBB147_29:
	s_or_b64 exec, exec, s[2:3]
	s_waitcnt lgkmcnt(0)
	s_barrier
	s_and_saveexec_b64 s[0:1], vcc
	s_cbranch_execz .LBB147_31
; %bb.30:
	ds_read2_b64 v[7:10], v15 offset1:80
	s_waitcnt lgkmcnt(0)
	v_add_f64 v[7:8], v[9:10], v[7:8]
	ds_write_b64 v15, v[7:8]
.LBB147_31:
	s_or_b64 exec, exec, s[0:1]
	v_cmp_gt_u32_e32 vcc, 40, v0
	s_waitcnt lgkmcnt(0)
	s_barrier
	s_and_saveexec_b64 s[0:1], vcc
	s_cbranch_execz .LBB147_33
; %bb.32:
	ds_read2_b64 v[7:10], v15 offset1:40
	s_waitcnt lgkmcnt(0)
	v_add_f64 v[7:8], v[9:10], v[7:8]
	ds_write_b64 v15, v[7:8]
.LBB147_33:
	s_or_b64 exec, exec, s[0:1]
	v_cmp_gt_u32_e32 vcc, 20, v0
	s_waitcnt lgkmcnt(0)
	s_and_saveexec_b64 s[0:1], vcc
	s_cbranch_execz .LBB147_35
; %bb.34:
	ds_read2_b64 v[5:8], v15 offset1:20
	s_waitcnt lgkmcnt(0)
	v_add_f64 v[5:6], v[5:6], v[7:8]
.LBB147_35:
	s_or_b64 exec, exec, s[0:1]
	v_mov_b32_e32 v8, v6
	v_mov_b32_e32 v7, v5
.LBB147_36:
	v_cmp_gt_u32_e32 vcc, 20, v0
	s_and_b64 exec, exec, vcc
	s_cbranch_execz .LBB147_41
; %bb.37:
	v_cmp_eq_f64_e32 vcc, 0, v[1:2]
	v_mul_f64 v[3:4], v[3:4], v[7:8]
	s_mul_i32 s2, s7, 0xa0
	s_mul_hi_u32 s3, s6, 0xa0
	s_mul_i32 s4, s6, 0xa0
	s_and_saveexec_b64 s[0:1], vcc
	s_xor_b64 s[0:1], exec, s[0:1]
	s_cbranch_execz .LBB147_39
; %bb.38:
	s_add_i32 s5, s3, s2
	s_add_u32 s6, s12, s4
	s_addc_u32 s7, s13, s5
	global_store_dwordx2 v15, v[3:4], s[6:7]
                                        ; implicit-def: $vgpr15
                                        ; implicit-def: $vgpr1_vgpr2
                                        ; implicit-def: $vgpr3_vgpr4
.LBB147_39:
	s_andn2_saveexec_b64 s[0:1], s[0:1]
	s_cbranch_execz .LBB147_41
; %bb.40:
	s_add_i32 s3, s3, s2
	s_add_u32 s0, s12, s4
	s_addc_u32 s1, s13, s3
	global_load_dwordx2 v[5:6], v15, s[0:1]
	s_waitcnt vmcnt(0)
	v_fma_f64 v[0:1], v[1:2], v[5:6], v[3:4]
	global_store_dwordx2 v15, v[0:1], s[0:1]
.LBB147_41:
	s_endpgm
	.section	.rodata,"a",@progbits
	.p2align	6, 0x0
	.amdhsa_kernel _ZN9rocsparseL20bsrxmvn_17_32_kernelILj20EdlldddEEvT2_20rocsparse_direction_NS_24const_host_device_scalarIT0_EES1_PKS1_PKT1_SA_S7_PKT3_PKT4_S5_PT5_21rocsparse_index_base_b
		.amdhsa_group_segment_fixed_size 3200
		.amdhsa_private_segment_fixed_size 0
		.amdhsa_kernarg_size 104
		.amdhsa_user_sgpr_count 6
		.amdhsa_user_sgpr_private_segment_buffer 1
		.amdhsa_user_sgpr_dispatch_ptr 0
		.amdhsa_user_sgpr_queue_ptr 0
		.amdhsa_user_sgpr_kernarg_segment_ptr 1
		.amdhsa_user_sgpr_dispatch_id 0
		.amdhsa_user_sgpr_flat_scratch_init 0
		.amdhsa_user_sgpr_private_segment_size 0
		.amdhsa_uses_dynamic_stack 0
		.amdhsa_system_sgpr_private_segment_wavefront_offset 0
		.amdhsa_system_sgpr_workgroup_id_x 1
		.amdhsa_system_sgpr_workgroup_id_y 0
		.amdhsa_system_sgpr_workgroup_id_z 0
		.amdhsa_system_sgpr_workgroup_info 0
		.amdhsa_system_vgpr_workitem_id 0
		.amdhsa_next_free_vgpr 25
		.amdhsa_next_free_sgpr 61
		.amdhsa_reserve_vcc 1
		.amdhsa_reserve_flat_scratch 0
		.amdhsa_float_round_mode_32 0
		.amdhsa_float_round_mode_16_64 0
		.amdhsa_float_denorm_mode_32 3
		.amdhsa_float_denorm_mode_16_64 3
		.amdhsa_dx10_clamp 1
		.amdhsa_ieee_mode 1
		.amdhsa_fp16_overflow 0
		.amdhsa_exception_fp_ieee_invalid_op 0
		.amdhsa_exception_fp_denorm_src 0
		.amdhsa_exception_fp_ieee_div_zero 0
		.amdhsa_exception_fp_ieee_overflow 0
		.amdhsa_exception_fp_ieee_underflow 0
		.amdhsa_exception_fp_ieee_inexact 0
		.amdhsa_exception_int_div_zero 0
	.end_amdhsa_kernel
	.section	.text._ZN9rocsparseL20bsrxmvn_17_32_kernelILj20EdlldddEEvT2_20rocsparse_direction_NS_24const_host_device_scalarIT0_EES1_PKS1_PKT1_SA_S7_PKT3_PKT4_S5_PT5_21rocsparse_index_base_b,"axG",@progbits,_ZN9rocsparseL20bsrxmvn_17_32_kernelILj20EdlldddEEvT2_20rocsparse_direction_NS_24const_host_device_scalarIT0_EES1_PKS1_PKT1_SA_S7_PKT3_PKT4_S5_PT5_21rocsparse_index_base_b,comdat
.Lfunc_end147:
	.size	_ZN9rocsparseL20bsrxmvn_17_32_kernelILj20EdlldddEEvT2_20rocsparse_direction_NS_24const_host_device_scalarIT0_EES1_PKS1_PKT1_SA_S7_PKT3_PKT4_S5_PT5_21rocsparse_index_base_b, .Lfunc_end147-_ZN9rocsparseL20bsrxmvn_17_32_kernelILj20EdlldddEEvT2_20rocsparse_direction_NS_24const_host_device_scalarIT0_EES1_PKS1_PKT1_SA_S7_PKT3_PKT4_S5_PT5_21rocsparse_index_base_b
                                        ; -- End function
	.set _ZN9rocsparseL20bsrxmvn_17_32_kernelILj20EdlldddEEvT2_20rocsparse_direction_NS_24const_host_device_scalarIT0_EES1_PKS1_PKT1_SA_S7_PKT3_PKT4_S5_PT5_21rocsparse_index_base_b.num_vgpr, 22
	.set _ZN9rocsparseL20bsrxmvn_17_32_kernelILj20EdlldddEEvT2_20rocsparse_direction_NS_24const_host_device_scalarIT0_EES1_PKS1_PKT1_SA_S7_PKT3_PKT4_S5_PT5_21rocsparse_index_base_b.num_agpr, 0
	.set _ZN9rocsparseL20bsrxmvn_17_32_kernelILj20EdlldddEEvT2_20rocsparse_direction_NS_24const_host_device_scalarIT0_EES1_PKS1_PKT1_SA_S7_PKT3_PKT4_S5_PT5_21rocsparse_index_base_b.numbered_sgpr, 22
	.set _ZN9rocsparseL20bsrxmvn_17_32_kernelILj20EdlldddEEvT2_20rocsparse_direction_NS_24const_host_device_scalarIT0_EES1_PKS1_PKT1_SA_S7_PKT3_PKT4_S5_PT5_21rocsparse_index_base_b.num_named_barrier, 0
	.set _ZN9rocsparseL20bsrxmvn_17_32_kernelILj20EdlldddEEvT2_20rocsparse_direction_NS_24const_host_device_scalarIT0_EES1_PKS1_PKT1_SA_S7_PKT3_PKT4_S5_PT5_21rocsparse_index_base_b.private_seg_size, 0
	.set _ZN9rocsparseL20bsrxmvn_17_32_kernelILj20EdlldddEEvT2_20rocsparse_direction_NS_24const_host_device_scalarIT0_EES1_PKS1_PKT1_SA_S7_PKT3_PKT4_S5_PT5_21rocsparse_index_base_b.uses_vcc, 1
	.set _ZN9rocsparseL20bsrxmvn_17_32_kernelILj20EdlldddEEvT2_20rocsparse_direction_NS_24const_host_device_scalarIT0_EES1_PKS1_PKT1_SA_S7_PKT3_PKT4_S5_PT5_21rocsparse_index_base_b.uses_flat_scratch, 0
	.set _ZN9rocsparseL20bsrxmvn_17_32_kernelILj20EdlldddEEvT2_20rocsparse_direction_NS_24const_host_device_scalarIT0_EES1_PKS1_PKT1_SA_S7_PKT3_PKT4_S5_PT5_21rocsparse_index_base_b.has_dyn_sized_stack, 0
	.set _ZN9rocsparseL20bsrxmvn_17_32_kernelILj20EdlldddEEvT2_20rocsparse_direction_NS_24const_host_device_scalarIT0_EES1_PKS1_PKT1_SA_S7_PKT3_PKT4_S5_PT5_21rocsparse_index_base_b.has_recursion, 0
	.set _ZN9rocsparseL20bsrxmvn_17_32_kernelILj20EdlldddEEvT2_20rocsparse_direction_NS_24const_host_device_scalarIT0_EES1_PKS1_PKT1_SA_S7_PKT3_PKT4_S5_PT5_21rocsparse_index_base_b.has_indirect_call, 0
	.section	.AMDGPU.csdata,"",@progbits
; Kernel info:
; codeLenInByte = 1396
; TotalNumSgprs: 26
; NumVgprs: 22
; ScratchSize: 0
; MemoryBound: 1
; FloatMode: 240
; IeeeMode: 1
; LDSByteSize: 3200 bytes/workgroup (compile time only)
; SGPRBlocks: 8
; VGPRBlocks: 6
; NumSGPRsForWavesPerEU: 65
; NumVGPRsForWavesPerEU: 25
; Occupancy: 9
; WaveLimiterHint : 1
; COMPUTE_PGM_RSRC2:SCRATCH_EN: 0
; COMPUTE_PGM_RSRC2:USER_SGPR: 6
; COMPUTE_PGM_RSRC2:TRAP_HANDLER: 0
; COMPUTE_PGM_RSRC2:TGID_X_EN: 1
; COMPUTE_PGM_RSRC2:TGID_Y_EN: 0
; COMPUTE_PGM_RSRC2:TGID_Z_EN: 0
; COMPUTE_PGM_RSRC2:TIDIG_COMP_CNT: 0
	.section	.text._ZN9rocsparseL20bsrxmvn_17_32_kernelILj21EdlldddEEvT2_20rocsparse_direction_NS_24const_host_device_scalarIT0_EES1_PKS1_PKT1_SA_S7_PKT3_PKT4_S5_PT5_21rocsparse_index_base_b,"axG",@progbits,_ZN9rocsparseL20bsrxmvn_17_32_kernelILj21EdlldddEEvT2_20rocsparse_direction_NS_24const_host_device_scalarIT0_EES1_PKS1_PKT1_SA_S7_PKT3_PKT4_S5_PT5_21rocsparse_index_base_b,comdat
	.globl	_ZN9rocsparseL20bsrxmvn_17_32_kernelILj21EdlldddEEvT2_20rocsparse_direction_NS_24const_host_device_scalarIT0_EES1_PKS1_PKT1_SA_S7_PKT3_PKT4_S5_PT5_21rocsparse_index_base_b ; -- Begin function _ZN9rocsparseL20bsrxmvn_17_32_kernelILj21EdlldddEEvT2_20rocsparse_direction_NS_24const_host_device_scalarIT0_EES1_PKS1_PKT1_SA_S7_PKT3_PKT4_S5_PT5_21rocsparse_index_base_b
	.p2align	8
	.type	_ZN9rocsparseL20bsrxmvn_17_32_kernelILj21EdlldddEEvT2_20rocsparse_direction_NS_24const_host_device_scalarIT0_EES1_PKS1_PKT1_SA_S7_PKT3_PKT4_S5_PT5_21rocsparse_index_base_b,@function
_ZN9rocsparseL20bsrxmvn_17_32_kernelILj21EdlldddEEvT2_20rocsparse_direction_NS_24const_host_device_scalarIT0_EES1_PKS1_PKT1_SA_S7_PKT3_PKT4_S5_PT5_21rocsparse_index_base_b: ; @_ZN9rocsparseL20bsrxmvn_17_32_kernelILj21EdlldddEEvT2_20rocsparse_direction_NS_24const_host_device_scalarIT0_EES1_PKS1_PKT1_SA_S7_PKT3_PKT4_S5_PT5_21rocsparse_index_base_b
; %bb.0:
	s_load_dwordx2 s[14:15], s[4:5], 0x60
	s_load_dwordx2 s[8:9], s[4:5], 0x10
	;; [unrolled: 1-line block ×3, first 2 shown]
	s_waitcnt lgkmcnt(0)
	s_bitcmp1_b32 s15, 0
	s_cselect_b64 s[10:11], -1, 0
	v_mov_b32_e32 v3, s8
	s_xor_b64 s[2:3], s[10:11], -1
	s_and_b64 vcc, exec, s[10:11]
	v_mov_b32_e32 v4, s9
	s_cbranch_vccnz .LBB148_2
; %bb.1:
	v_mov_b32_e32 v1, s8
	v_mov_b32_e32 v2, s9
	flat_load_dwordx2 v[3:4], v[1:2]
.LBB148_2:
	v_mov_b32_e32 v2, s1
	s_andn2_b64 vcc, exec, s[2:3]
	v_mov_b32_e32 v1, s0
	s_cbranch_vccnz .LBB148_4
; %bb.3:
	v_mov_b32_e32 v2, s1
	v_mov_b32_e32 v1, s0
	flat_load_dwordx2 v[1:2], v[1:2]
.LBB148_4:
	s_waitcnt vmcnt(0) lgkmcnt(0)
	v_cmp_neq_f64_e32 vcc, 0, v[3:4]
	v_cmp_neq_f64_e64 s[0:1], 1.0, v[1:2]
	s_or_b64 s[0:1], vcc, s[0:1]
	s_and_saveexec_b64 s[2:3], s[0:1]
	s_cbranch_execz .LBB148_41
; %bb.5:
	s_load_dwordx4 s[0:3], s[4:5], 0x20
	s_load_dwordx2 s[8:9], s[4:5], 0x30
	s_mov_b32 s7, 0
	s_waitcnt lgkmcnt(0)
	s_cmp_eq_u64 s[0:1], 0
	s_cbranch_scc1 .LBB148_7
; %bb.6:
	s_lshl_b64 s[6:7], s[6:7], 3
	s_add_u32 s0, s0, s6
	s_addc_u32 s1, s1, s7
	s_load_dwordx2 s[0:1], s[0:1], 0x0
	s_waitcnt lgkmcnt(0)
	s_sub_u32 s6, s0, s14
	s_subb_u32 s7, s1, 0
.LBB148_7:
	s_load_dword s10, s[4:5], 0x8
	s_load_dwordx2 s[12:13], s[4:5], 0x58
	v_mul_u32_u24_e32 v7, 0xc31, v0
	v_mov_b32_e32 v5, 21
	v_mul_lo_u16_sdwa v5, v7, v5 dst_sel:DWORD dst_unused:UNUSED_PAD src0_sel:WORD_1 src1_sel:DWORD
	s_waitcnt lgkmcnt(0)
	s_cmp_eq_u32 s10, 1
	s_cselect_b64 s[0:1], -1, 0
	s_cmp_lg_u32 s10, 1
	s_cselect_b64 s[16:17], -1, 0
	s_lshl_b64 s[10:11], s[6:7], 3
	s_add_u32 s20, s2, s10
	s_addc_u32 s21, s3, s11
	s_add_u32 s2, s20, 8
	s_addc_u32 s3, s21, 0
	s_add_u32 s10, s8, s10
	s_addc_u32 s11, s9, s11
	s_cmp_eq_u64 s[8:9], 0
	s_cselect_b32 s9, s3, s11
	s_cselect_b32 s8, s2, s10
	s_load_dwordx2 s[2:3], s[8:9], 0x0
	s_load_dwordx2 s[18:19], s[20:21], 0x0
	v_sub_u16_e32 v16, v0, v5
	v_lshlrev_b32_e32 v15, 3, v0
	s_waitcnt lgkmcnt(0)
	v_mov_b32_e32 v6, s3
	v_mov_b32_e32 v5, s2
	v_cmp_ge_i64_e32 vcc, s[18:19], v[5:6]
	v_mov_b32_e32 v5, 0
	v_mov_b32_e32 v6, 0
	s_cbranch_vccnz .LBB148_12
; %bb.8:
	v_mov_b32_e32 v5, 25
	v_mul_lo_u16_sdwa v5, v7, v5 dst_sel:DWORD dst_unused:UNUSED_PAD src0_sel:WORD_1 src1_sel:DWORD
	v_lshrrev_b16_e32 v5, 9, v5
	s_sub_u32 s2, s2, s14
	s_load_dwordx4 s[8:11], s[4:5], 0x38
	s_load_dwordx2 s[20:21], s[4:5], 0x48
	v_mul_lo_u16_e32 v5, 21, v5
	s_subb_u32 s3, s3, 0
	v_sub_u16_sdwa v5, v7, v5 dst_sel:DWORD dst_unused:UNUSED_PAD src0_sel:WORD_1 src1_sel:DWORD
	s_sub_u32 s4, s18, s14
	v_and_b32_e32 v5, 0xff, v5
	s_subb_u32 s5, s19, 0
	v_cndmask_b32_e64 v5, v16, v5, s[0:1]
	s_mul_i32 s0, s5, 0xdc8
	s_mul_hi_u32 s1, s4, 0xdc8
	v_lshlrev_b32_e32 v5, 3, v5
	s_add_i32 s1, s1, s0
	s_mul_i32 s0, s4, 0xdc8
	s_waitcnt lgkmcnt(0)
	v_mov_b32_e32 v6, s21
	v_add_co_u32_e32 v7, vcc, s20, v5
	s_add_u32 s0, s10, s0
	v_addc_co_u32_e32 v8, vcc, 0, v6, vcc
	s_addc_u32 s1, s11, s1
	v_mov_b32_e32 v5, s1
	v_add_co_u32_e32 v9, vcc, s0, v15
	s_movk_i32 s0, 0x253
	v_addc_co_u32_e32 v10, vcc, 0, v5, vcc
	v_mul_u32_u24_sdwa v5, v0, s0 dst_sel:DWORD dst_unused:UNUSED_PAD src0_sel:WORD_0 src1_sel:DWORD
	v_lshrrev_b32_e32 v17, 18, v5
	v_mov_b32_e32 v5, s19
	v_add_co_u32_e32 v6, vcc, s18, v17
	v_addc_co_u32_e32 v11, vcc, 0, v5, vcc
	v_subrev_co_u32_e32 v5, vcc, s14, v6
	v_subbrev_co_u32_e32 v6, vcc, 0, v11, vcc
	v_lshlrev_b64 v[5:6], 3, v[5:6]
	v_mov_b32_e32 v12, s9
	v_add_co_u32_e32 v11, vcc, s8, v5
	v_addc_co_u32_e32 v12, vcc, v12, v6, vcc
	v_mov_b32_e32 v5, 0
	v_mov_b32_e32 v14, s3
	;; [unrolled: 1-line block ×3, first 2 shown]
	s_movk_i32 s8, 0xa8
	v_mov_b32_e32 v13, s2
	s_branch .LBB148_10
.LBB148_9:                              ;   in Loop: Header=BB148_10 Depth=1
	s_or_b64 exec, exec, s[0:1]
	s_add_u32 s4, s4, 1
	s_addc_u32 s5, s5, 0
	v_cmp_lt_i64_e32 vcc, s[4:5], v[13:14]
	v_add_co_u32_e64 v11, s[0:1], 8, v11
	v_addc_co_u32_e64 v12, s[0:1], 0, v12, s[0:1]
	s_cbranch_vccz .LBB148_12
.LBB148_10:                             ; =>This Inner Loop Header: Depth=1
	v_mov_b32_e32 v19, s5
	v_add_co_u32_e32 v18, vcc, s4, v17
	v_addc_co_u32_e32 v19, vcc, 0, v19, vcc
	v_cmp_gt_i64_e32 vcc, s[2:3], v[18:19]
	s_and_saveexec_b64 s[0:1], vcc
	s_cbranch_execz .LBB148_9
; %bb.11:                               ;   in Loop: Header=BB148_10 Depth=1
	global_load_dwordx2 v[18:19], v[11:12], off
	s_waitcnt vmcnt(0)
	v_subrev_co_u32_e32 v18, vcc, s14, v18
	v_subbrev_co_u32_e32 v20, vcc, 0, v19, vcc
	v_mad_u64_u32 v[18:19], s[10:11], v18, s8, v[7:8]
	v_mad_u64_u32 v[19:20], s[10:11], v20, s8, v[19:20]
	global_load_dwordx2 v[20:21], v[9:10], off
	s_nop 0
	global_load_dwordx2 v[18:19], v[18:19], off
	v_add_co_u32_e32 v9, vcc, 0xdc8, v9
	v_addc_co_u32_e32 v10, vcc, 0, v10, vcc
	s_waitcnt vmcnt(0)
	v_fma_f64 v[5:6], v[20:21], v[18:19], v[5:6]
	s_branch .LBB148_9
.LBB148_12:
	s_and_b64 vcc, exec, s[16:17]
	ds_write_b64 v15, v[5:6]
	s_waitcnt lgkmcnt(0)
	s_barrier
	s_cbranch_vccz .LBB148_24
; %bb.13:
	v_cmp_gt_u16_e32 vcc, 5, v16
	s_and_saveexec_b64 s[0:1], vcc
	s_cbranch_execz .LBB148_15
; %bb.14:
	ds_read2_b64 v[7:10], v15 offset1:16
	s_waitcnt lgkmcnt(0)
	v_add_f64 v[7:8], v[9:10], v[7:8]
	ds_write_b64 v15, v[7:8]
.LBB148_15:
	s_or_b64 exec, exec, s[0:1]
	v_cmp_gt_u16_e32 vcc, 8, v16
	s_waitcnt lgkmcnt(0)
	s_barrier
	s_and_saveexec_b64 s[0:1], vcc
	s_cbranch_execz .LBB148_17
; %bb.16:
	ds_read2_b64 v[7:10], v15 offset1:8
	s_waitcnt lgkmcnt(0)
	v_add_f64 v[7:8], v[9:10], v[7:8]
	ds_write_b64 v15, v[7:8]
.LBB148_17:
	s_or_b64 exec, exec, s[0:1]
	v_cmp_gt_u16_e32 vcc, 4, v16
	s_waitcnt lgkmcnt(0)
	s_barrier
	;; [unrolled: 12-line block ×3, first 2 shown]
	s_and_saveexec_b64 s[0:1], vcc
	s_cbranch_execz .LBB148_21
; %bb.20:
	ds_read2_b64 v[7:10], v15 offset1:2
	s_waitcnt lgkmcnt(0)
	v_add_f64 v[7:8], v[9:10], v[7:8]
	ds_write_b64 v15, v[7:8]
.LBB148_21:
	s_or_b64 exec, exec, s[0:1]
	v_mov_b32_e32 v8, v6
	v_cmp_gt_u32_e32 vcc, 21, v0
	v_mov_b32_e32 v7, v5
	s_waitcnt lgkmcnt(0)
	s_barrier
	s_and_saveexec_b64 s[0:1], vcc
	s_cbranch_execz .LBB148_23
; %bb.22:
	s_movk_i32 s2, 0xa0
	v_mad_u32_u24 v7, v0, s2, v15
	ds_read2_b64 v[7:10], v7 offset1:1
	s_waitcnt lgkmcnt(0)
	v_add_f64 v[7:8], v[7:8], v[9:10]
.LBB148_23:
	s_or_b64 exec, exec, s[0:1]
	s_branch .LBB148_36
.LBB148_24:
                                        ; implicit-def: $vgpr7_vgpr8
	s_cbranch_execz .LBB148_36
; %bb.25:
	s_movk_i32 s0, 0x69
	v_cmp_gt_u32_e32 vcc, s0, v0
	s_and_saveexec_b64 s[0:1], vcc
	s_cbranch_execz .LBB148_27
; %bb.26:
	ds_read_b64 v[7:8], v15 offset:2688
	ds_read_b64 v[9:10], v15
	s_waitcnt lgkmcnt(0)
	v_add_f64 v[7:8], v[7:8], v[9:10]
	ds_write_b64 v15, v[7:8]
.LBB148_27:
	s_or_b64 exec, exec, s[0:1]
	s_movk_i32 s0, 0xa8
	v_cmp_gt_u32_e32 vcc, s0, v0
	s_waitcnt lgkmcnt(0)
	s_barrier
	s_and_saveexec_b64 s[0:1], vcc
	s_cbranch_execz .LBB148_29
; %bb.28:
	ds_read2_b64 v[7:10], v15 offset1:168
	s_waitcnt lgkmcnt(0)
	v_add_f64 v[7:8], v[9:10], v[7:8]
	ds_write_b64 v15, v[7:8]
.LBB148_29:
	s_or_b64 exec, exec, s[0:1]
	s_movk_i32 s0, 0x54
	v_cmp_gt_u32_e32 vcc, s0, v0
	s_waitcnt lgkmcnt(0)
	s_barrier
	s_and_saveexec_b64 s[0:1], vcc
	s_cbranch_execz .LBB148_31
; %bb.30:
	ds_read2_b64 v[7:10], v15 offset1:84
	s_waitcnt lgkmcnt(0)
	v_add_f64 v[7:8], v[9:10], v[7:8]
	ds_write_b64 v15, v[7:8]
.LBB148_31:
	s_or_b64 exec, exec, s[0:1]
	v_cmp_gt_u32_e32 vcc, 42, v0
	s_waitcnt lgkmcnt(0)
	s_barrier
	s_and_saveexec_b64 s[0:1], vcc
	s_cbranch_execz .LBB148_33
; %bb.32:
	ds_read2_b64 v[7:10], v15 offset1:42
	s_waitcnt lgkmcnt(0)
	v_add_f64 v[7:8], v[9:10], v[7:8]
	ds_write_b64 v15, v[7:8]
.LBB148_33:
	s_or_b64 exec, exec, s[0:1]
	v_cmp_gt_u32_e32 vcc, 21, v0
	s_waitcnt lgkmcnt(0)
	s_and_saveexec_b64 s[0:1], vcc
	s_cbranch_execz .LBB148_35
; %bb.34:
	ds_read2_b64 v[5:8], v15 offset1:21
	s_waitcnt lgkmcnt(0)
	v_add_f64 v[5:6], v[5:6], v[7:8]
.LBB148_35:
	s_or_b64 exec, exec, s[0:1]
	v_mov_b32_e32 v8, v6
	v_mov_b32_e32 v7, v5
.LBB148_36:
	v_cmp_gt_u32_e32 vcc, 21, v0
	s_and_b64 exec, exec, vcc
	s_cbranch_execz .LBB148_41
; %bb.37:
	v_cmp_eq_f64_e32 vcc, 0, v[1:2]
	v_mul_f64 v[3:4], v[3:4], v[7:8]
	s_mul_i32 s2, s7, 0xa8
	s_mul_hi_u32 s3, s6, 0xa8
	s_mul_i32 s4, s6, 0xa8
	s_and_saveexec_b64 s[0:1], vcc
	s_xor_b64 s[0:1], exec, s[0:1]
	s_cbranch_execz .LBB148_39
; %bb.38:
	s_add_i32 s5, s3, s2
	s_add_u32 s6, s12, s4
	s_addc_u32 s7, s13, s5
	global_store_dwordx2 v15, v[3:4], s[6:7]
                                        ; implicit-def: $vgpr15
                                        ; implicit-def: $vgpr1_vgpr2
                                        ; implicit-def: $vgpr3_vgpr4
.LBB148_39:
	s_andn2_saveexec_b64 s[0:1], s[0:1]
	s_cbranch_execz .LBB148_41
; %bb.40:
	s_add_i32 s3, s3, s2
	s_add_u32 s0, s12, s4
	s_addc_u32 s1, s13, s3
	global_load_dwordx2 v[5:6], v15, s[0:1]
	s_waitcnt vmcnt(0)
	v_fma_f64 v[0:1], v[1:2], v[5:6], v[3:4]
	global_store_dwordx2 v15, v[0:1], s[0:1]
.LBB148_41:
	s_endpgm
	.section	.rodata,"a",@progbits
	.p2align	6, 0x0
	.amdhsa_kernel _ZN9rocsparseL20bsrxmvn_17_32_kernelILj21EdlldddEEvT2_20rocsparse_direction_NS_24const_host_device_scalarIT0_EES1_PKS1_PKT1_SA_S7_PKT3_PKT4_S5_PT5_21rocsparse_index_base_b
		.amdhsa_group_segment_fixed_size 3528
		.amdhsa_private_segment_fixed_size 0
		.amdhsa_kernarg_size 104
		.amdhsa_user_sgpr_count 6
		.amdhsa_user_sgpr_private_segment_buffer 1
		.amdhsa_user_sgpr_dispatch_ptr 0
		.amdhsa_user_sgpr_queue_ptr 0
		.amdhsa_user_sgpr_kernarg_segment_ptr 1
		.amdhsa_user_sgpr_dispatch_id 0
		.amdhsa_user_sgpr_flat_scratch_init 0
		.amdhsa_user_sgpr_private_segment_size 0
		.amdhsa_uses_dynamic_stack 0
		.amdhsa_system_sgpr_private_segment_wavefront_offset 0
		.amdhsa_system_sgpr_workgroup_id_x 1
		.amdhsa_system_sgpr_workgroup_id_y 0
		.amdhsa_system_sgpr_workgroup_id_z 0
		.amdhsa_system_sgpr_workgroup_info 0
		.amdhsa_system_vgpr_workitem_id 0
		.amdhsa_next_free_vgpr 25
		.amdhsa_next_free_sgpr 61
		.amdhsa_reserve_vcc 1
		.amdhsa_reserve_flat_scratch 0
		.amdhsa_float_round_mode_32 0
		.amdhsa_float_round_mode_16_64 0
		.amdhsa_float_denorm_mode_32 3
		.amdhsa_float_denorm_mode_16_64 3
		.amdhsa_dx10_clamp 1
		.amdhsa_ieee_mode 1
		.amdhsa_fp16_overflow 0
		.amdhsa_exception_fp_ieee_invalid_op 0
		.amdhsa_exception_fp_denorm_src 0
		.amdhsa_exception_fp_ieee_div_zero 0
		.amdhsa_exception_fp_ieee_overflow 0
		.amdhsa_exception_fp_ieee_underflow 0
		.amdhsa_exception_fp_ieee_inexact 0
		.amdhsa_exception_int_div_zero 0
	.end_amdhsa_kernel
	.section	.text._ZN9rocsparseL20bsrxmvn_17_32_kernelILj21EdlldddEEvT2_20rocsparse_direction_NS_24const_host_device_scalarIT0_EES1_PKS1_PKT1_SA_S7_PKT3_PKT4_S5_PT5_21rocsparse_index_base_b,"axG",@progbits,_ZN9rocsparseL20bsrxmvn_17_32_kernelILj21EdlldddEEvT2_20rocsparse_direction_NS_24const_host_device_scalarIT0_EES1_PKS1_PKT1_SA_S7_PKT3_PKT4_S5_PT5_21rocsparse_index_base_b,comdat
.Lfunc_end148:
	.size	_ZN9rocsparseL20bsrxmvn_17_32_kernelILj21EdlldddEEvT2_20rocsparse_direction_NS_24const_host_device_scalarIT0_EES1_PKS1_PKT1_SA_S7_PKT3_PKT4_S5_PT5_21rocsparse_index_base_b, .Lfunc_end148-_ZN9rocsparseL20bsrxmvn_17_32_kernelILj21EdlldddEEvT2_20rocsparse_direction_NS_24const_host_device_scalarIT0_EES1_PKS1_PKT1_SA_S7_PKT3_PKT4_S5_PT5_21rocsparse_index_base_b
                                        ; -- End function
	.set _ZN9rocsparseL20bsrxmvn_17_32_kernelILj21EdlldddEEvT2_20rocsparse_direction_NS_24const_host_device_scalarIT0_EES1_PKS1_PKT1_SA_S7_PKT3_PKT4_S5_PT5_21rocsparse_index_base_b.num_vgpr, 22
	.set _ZN9rocsparseL20bsrxmvn_17_32_kernelILj21EdlldddEEvT2_20rocsparse_direction_NS_24const_host_device_scalarIT0_EES1_PKS1_PKT1_SA_S7_PKT3_PKT4_S5_PT5_21rocsparse_index_base_b.num_agpr, 0
	.set _ZN9rocsparseL20bsrxmvn_17_32_kernelILj21EdlldddEEvT2_20rocsparse_direction_NS_24const_host_device_scalarIT0_EES1_PKS1_PKT1_SA_S7_PKT3_PKT4_S5_PT5_21rocsparse_index_base_b.numbered_sgpr, 22
	.set _ZN9rocsparseL20bsrxmvn_17_32_kernelILj21EdlldddEEvT2_20rocsparse_direction_NS_24const_host_device_scalarIT0_EES1_PKS1_PKT1_SA_S7_PKT3_PKT4_S5_PT5_21rocsparse_index_base_b.num_named_barrier, 0
	.set _ZN9rocsparseL20bsrxmvn_17_32_kernelILj21EdlldddEEvT2_20rocsparse_direction_NS_24const_host_device_scalarIT0_EES1_PKS1_PKT1_SA_S7_PKT3_PKT4_S5_PT5_21rocsparse_index_base_b.private_seg_size, 0
	.set _ZN9rocsparseL20bsrxmvn_17_32_kernelILj21EdlldddEEvT2_20rocsparse_direction_NS_24const_host_device_scalarIT0_EES1_PKS1_PKT1_SA_S7_PKT3_PKT4_S5_PT5_21rocsparse_index_base_b.uses_vcc, 1
	.set _ZN9rocsparseL20bsrxmvn_17_32_kernelILj21EdlldddEEvT2_20rocsparse_direction_NS_24const_host_device_scalarIT0_EES1_PKS1_PKT1_SA_S7_PKT3_PKT4_S5_PT5_21rocsparse_index_base_b.uses_flat_scratch, 0
	.set _ZN9rocsparseL20bsrxmvn_17_32_kernelILj21EdlldddEEvT2_20rocsparse_direction_NS_24const_host_device_scalarIT0_EES1_PKS1_PKT1_SA_S7_PKT3_PKT4_S5_PT5_21rocsparse_index_base_b.has_dyn_sized_stack, 0
	.set _ZN9rocsparseL20bsrxmvn_17_32_kernelILj21EdlldddEEvT2_20rocsparse_direction_NS_24const_host_device_scalarIT0_EES1_PKS1_PKT1_SA_S7_PKT3_PKT4_S5_PT5_21rocsparse_index_base_b.has_recursion, 0
	.set _ZN9rocsparseL20bsrxmvn_17_32_kernelILj21EdlldddEEvT2_20rocsparse_direction_NS_24const_host_device_scalarIT0_EES1_PKS1_PKT1_SA_S7_PKT3_PKT4_S5_PT5_21rocsparse_index_base_b.has_indirect_call, 0
	.section	.AMDGPU.csdata,"",@progbits
; Kernel info:
; codeLenInByte = 1408
; TotalNumSgprs: 26
; NumVgprs: 22
; ScratchSize: 0
; MemoryBound: 1
; FloatMode: 240
; IeeeMode: 1
; LDSByteSize: 3528 bytes/workgroup (compile time only)
; SGPRBlocks: 8
; VGPRBlocks: 6
; NumSGPRsForWavesPerEU: 65
; NumVGPRsForWavesPerEU: 25
; Occupancy: 9
; WaveLimiterHint : 1
; COMPUTE_PGM_RSRC2:SCRATCH_EN: 0
; COMPUTE_PGM_RSRC2:USER_SGPR: 6
; COMPUTE_PGM_RSRC2:TRAP_HANDLER: 0
; COMPUTE_PGM_RSRC2:TGID_X_EN: 1
; COMPUTE_PGM_RSRC2:TGID_Y_EN: 0
; COMPUTE_PGM_RSRC2:TGID_Z_EN: 0
; COMPUTE_PGM_RSRC2:TIDIG_COMP_CNT: 0
	.section	.text._ZN9rocsparseL20bsrxmvn_17_32_kernelILj22EdlldddEEvT2_20rocsparse_direction_NS_24const_host_device_scalarIT0_EES1_PKS1_PKT1_SA_S7_PKT3_PKT4_S5_PT5_21rocsparse_index_base_b,"axG",@progbits,_ZN9rocsparseL20bsrxmvn_17_32_kernelILj22EdlldddEEvT2_20rocsparse_direction_NS_24const_host_device_scalarIT0_EES1_PKS1_PKT1_SA_S7_PKT3_PKT4_S5_PT5_21rocsparse_index_base_b,comdat
	.globl	_ZN9rocsparseL20bsrxmvn_17_32_kernelILj22EdlldddEEvT2_20rocsparse_direction_NS_24const_host_device_scalarIT0_EES1_PKS1_PKT1_SA_S7_PKT3_PKT4_S5_PT5_21rocsparse_index_base_b ; -- Begin function _ZN9rocsparseL20bsrxmvn_17_32_kernelILj22EdlldddEEvT2_20rocsparse_direction_NS_24const_host_device_scalarIT0_EES1_PKS1_PKT1_SA_S7_PKT3_PKT4_S5_PT5_21rocsparse_index_base_b
	.p2align	8
	.type	_ZN9rocsparseL20bsrxmvn_17_32_kernelILj22EdlldddEEvT2_20rocsparse_direction_NS_24const_host_device_scalarIT0_EES1_PKS1_PKT1_SA_S7_PKT3_PKT4_S5_PT5_21rocsparse_index_base_b,@function
_ZN9rocsparseL20bsrxmvn_17_32_kernelILj22EdlldddEEvT2_20rocsparse_direction_NS_24const_host_device_scalarIT0_EES1_PKS1_PKT1_SA_S7_PKT3_PKT4_S5_PT5_21rocsparse_index_base_b: ; @_ZN9rocsparseL20bsrxmvn_17_32_kernelILj22EdlldddEEvT2_20rocsparse_direction_NS_24const_host_device_scalarIT0_EES1_PKS1_PKT1_SA_S7_PKT3_PKT4_S5_PT5_21rocsparse_index_base_b
; %bb.0:
	s_load_dwordx2 s[14:15], s[4:5], 0x60
	s_load_dwordx2 s[8:9], s[4:5], 0x10
	;; [unrolled: 1-line block ×3, first 2 shown]
	s_waitcnt lgkmcnt(0)
	s_bitcmp1_b32 s15, 0
	s_cselect_b64 s[10:11], -1, 0
	v_mov_b32_e32 v3, s8
	s_xor_b64 s[2:3], s[10:11], -1
	s_and_b64 vcc, exec, s[10:11]
	v_mov_b32_e32 v4, s9
	s_cbranch_vccnz .LBB149_2
; %bb.1:
	v_mov_b32_e32 v1, s8
	v_mov_b32_e32 v2, s9
	flat_load_dwordx2 v[3:4], v[1:2]
.LBB149_2:
	v_mov_b32_e32 v2, s1
	s_andn2_b64 vcc, exec, s[2:3]
	v_mov_b32_e32 v1, s0
	s_cbranch_vccnz .LBB149_4
; %bb.3:
	v_mov_b32_e32 v2, s1
	v_mov_b32_e32 v1, s0
	flat_load_dwordx2 v[1:2], v[1:2]
.LBB149_4:
	s_waitcnt vmcnt(0) lgkmcnt(0)
	v_cmp_neq_f64_e32 vcc, 0, v[3:4]
	v_cmp_neq_f64_e64 s[0:1], 1.0, v[1:2]
	s_or_b64 s[0:1], vcc, s[0:1]
	s_and_saveexec_b64 s[2:3], s[0:1]
	s_cbranch_execz .LBB149_41
; %bb.5:
	s_load_dwordx4 s[0:3], s[4:5], 0x20
	s_load_dwordx2 s[8:9], s[4:5], 0x30
	s_mov_b32 s7, 0
	s_waitcnt lgkmcnt(0)
	s_cmp_eq_u64 s[0:1], 0
	s_cbranch_scc1 .LBB149_7
; %bb.6:
	s_lshl_b64 s[6:7], s[6:7], 3
	s_add_u32 s0, s0, s6
	s_addc_u32 s1, s1, s7
	s_load_dwordx2 s[0:1], s[0:1], 0x0
	s_waitcnt lgkmcnt(0)
	s_sub_u32 s6, s0, s14
	s_subb_u32 s7, s1, 0
.LBB149_7:
	s_load_dword s10, s[4:5], 0x8
	s_load_dwordx2 s[12:13], s[4:5], 0x58
	v_mul_u32_u24_e32 v7, 0xba3, v0
	v_mov_b32_e32 v8, 22
	v_mul_lo_u16_sdwa v5, v7, v8 dst_sel:DWORD dst_unused:UNUSED_PAD src0_sel:WORD_1 src1_sel:DWORD
	s_waitcnt lgkmcnt(0)
	s_cmp_eq_u32 s10, 1
	s_cselect_b64 s[0:1], -1, 0
	s_cmp_lg_u32 s10, 1
	s_cselect_b64 s[16:17], -1, 0
	s_lshl_b64 s[10:11], s[6:7], 3
	s_add_u32 s20, s2, s10
	s_addc_u32 s21, s3, s11
	s_add_u32 s2, s20, 8
	s_addc_u32 s3, s21, 0
	;; [unrolled: 2-line block ×3, first 2 shown]
	s_cmp_eq_u64 s[8:9], 0
	s_cselect_b32 s9, s3, s11
	s_cselect_b32 s8, s2, s10
	s_load_dwordx2 s[2:3], s[8:9], 0x0
	s_load_dwordx2 s[18:19], s[20:21], 0x0
	v_sub_u16_e32 v16, v0, v5
	v_lshlrev_b32_e32 v15, 3, v0
	s_waitcnt lgkmcnt(0)
	v_mov_b32_e32 v6, s3
	v_mov_b32_e32 v5, s2
	v_cmp_ge_i64_e32 vcc, s[18:19], v[5:6]
	v_mov_b32_e32 v5, 0
	v_mov_b32_e32 v6, 0
	s_cbranch_vccnz .LBB149_12
; %bb.8:
	v_mov_b32_e32 v5, 12
	v_mul_lo_u16_sdwa v5, v7, v5 dst_sel:DWORD dst_unused:UNUSED_PAD src0_sel:WORD_1 src1_sel:DWORD
	s_sub_u32 s2, s2, s14
	s_load_dwordx4 s[8:11], s[4:5], 0x38
	s_load_dwordx2 s[20:21], s[4:5], 0x48
	v_mul_lo_u16_sdwa v5, v5, v8 dst_sel:DWORD dst_unused:UNUSED_PAD src0_sel:BYTE_1 src1_sel:DWORD
	s_subb_u32 s3, s3, 0
	v_sub_u16_sdwa v5, v7, v5 dst_sel:DWORD dst_unused:UNUSED_PAD src0_sel:WORD_1 src1_sel:DWORD
	s_sub_u32 s4, s18, s14
	v_and_b32_e32 v5, 0xff, v5
	s_subb_u32 s5, s19, 0
	v_cndmask_b32_e64 v5, v16, v5, s[0:1]
	s_mul_i32 s0, s5, 0xf20
	s_mul_hi_u32 s1, s4, 0xf20
	v_lshlrev_b32_e32 v5, 3, v5
	s_add_i32 s1, s1, s0
	s_mul_i32 s0, s4, 0xf20
	s_waitcnt lgkmcnt(0)
	v_mov_b32_e32 v6, s21
	v_add_co_u32_e32 v7, vcc, s20, v5
	s_add_u32 s0, s10, s0
	v_addc_co_u32_e32 v8, vcc, 0, v6, vcc
	s_addc_u32 s1, s11, s1
	v_mov_b32_e32 v5, s1
	v_add_co_u32_e32 v9, vcc, s0, v15
	s_movk_i32 s0, 0x10f
	v_addc_co_u32_e32 v10, vcc, 0, v5, vcc
	v_mul_u32_u24_sdwa v5, v0, s0 dst_sel:DWORD dst_unused:UNUSED_PAD src0_sel:WORD_0 src1_sel:DWORD
	v_lshrrev_b32_e32 v17, 17, v5
	v_mov_b32_e32 v5, s19
	v_add_co_u32_e32 v6, vcc, s18, v17
	v_addc_co_u32_e32 v11, vcc, 0, v5, vcc
	v_subrev_co_u32_e32 v5, vcc, s14, v6
	v_subbrev_co_u32_e32 v6, vcc, 0, v11, vcc
	v_lshlrev_b64 v[5:6], 3, v[5:6]
	v_mov_b32_e32 v12, s9
	v_add_co_u32_e32 v11, vcc, s8, v5
	v_addc_co_u32_e32 v12, vcc, v12, v6, vcc
	v_mov_b32_e32 v5, 0
	v_mov_b32_e32 v14, s3
	;; [unrolled: 1-line block ×3, first 2 shown]
	s_movk_i32 s8, 0xb0
	v_mov_b32_e32 v13, s2
	s_branch .LBB149_10
.LBB149_9:                              ;   in Loop: Header=BB149_10 Depth=1
	s_or_b64 exec, exec, s[0:1]
	s_add_u32 s4, s4, 1
	s_addc_u32 s5, s5, 0
	v_cmp_lt_i64_e32 vcc, s[4:5], v[13:14]
	v_add_co_u32_e64 v11, s[0:1], 8, v11
	v_addc_co_u32_e64 v12, s[0:1], 0, v12, s[0:1]
	s_cbranch_vccz .LBB149_12
.LBB149_10:                             ; =>This Inner Loop Header: Depth=1
	v_mov_b32_e32 v19, s5
	v_add_co_u32_e32 v18, vcc, s4, v17
	v_addc_co_u32_e32 v19, vcc, 0, v19, vcc
	v_cmp_gt_i64_e32 vcc, s[2:3], v[18:19]
	s_and_saveexec_b64 s[0:1], vcc
	s_cbranch_execz .LBB149_9
; %bb.11:                               ;   in Loop: Header=BB149_10 Depth=1
	global_load_dwordx2 v[18:19], v[11:12], off
	s_waitcnt vmcnt(0)
	v_subrev_co_u32_e32 v18, vcc, s14, v18
	v_subbrev_co_u32_e32 v20, vcc, 0, v19, vcc
	v_mad_u64_u32 v[18:19], s[10:11], v18, s8, v[7:8]
	v_mad_u64_u32 v[19:20], s[10:11], v20, s8, v[19:20]
	global_load_dwordx2 v[20:21], v[9:10], off
	s_nop 0
	global_load_dwordx2 v[18:19], v[18:19], off
	v_add_co_u32_e32 v9, vcc, 0xf20, v9
	v_addc_co_u32_e32 v10, vcc, 0, v10, vcc
	s_waitcnt vmcnt(0)
	v_fma_f64 v[5:6], v[20:21], v[18:19], v[5:6]
	s_branch .LBB149_9
.LBB149_12:
	s_and_b64 vcc, exec, s[16:17]
	ds_write_b64 v15, v[5:6]
	s_waitcnt lgkmcnt(0)
	s_barrier
	s_cbranch_vccz .LBB149_24
; %bb.13:
	v_cmp_gt_u16_e32 vcc, 6, v16
	s_and_saveexec_b64 s[0:1], vcc
	s_cbranch_execz .LBB149_15
; %bb.14:
	ds_read2_b64 v[7:10], v15 offset1:16
	s_waitcnt lgkmcnt(0)
	v_add_f64 v[7:8], v[9:10], v[7:8]
	ds_write_b64 v15, v[7:8]
.LBB149_15:
	s_or_b64 exec, exec, s[0:1]
	v_cmp_gt_u16_e32 vcc, 8, v16
	s_waitcnt lgkmcnt(0)
	s_barrier
	s_and_saveexec_b64 s[0:1], vcc
	s_cbranch_execz .LBB149_17
; %bb.16:
	ds_read2_b64 v[7:10], v15 offset1:8
	s_waitcnt lgkmcnt(0)
	v_add_f64 v[7:8], v[9:10], v[7:8]
	ds_write_b64 v15, v[7:8]
.LBB149_17:
	s_or_b64 exec, exec, s[0:1]
	v_cmp_gt_u16_e32 vcc, 4, v16
	s_waitcnt lgkmcnt(0)
	s_barrier
	;; [unrolled: 12-line block ×3, first 2 shown]
	s_and_saveexec_b64 s[0:1], vcc
	s_cbranch_execz .LBB149_21
; %bb.20:
	ds_read2_b64 v[7:10], v15 offset1:2
	s_waitcnt lgkmcnt(0)
	v_add_f64 v[7:8], v[9:10], v[7:8]
	ds_write_b64 v15, v[7:8]
.LBB149_21:
	s_or_b64 exec, exec, s[0:1]
	v_mov_b32_e32 v8, v6
	v_cmp_gt_u32_e32 vcc, 22, v0
	v_mov_b32_e32 v7, v5
	s_waitcnt lgkmcnt(0)
	s_barrier
	s_and_saveexec_b64 s[0:1], vcc
	s_cbranch_execz .LBB149_23
; %bb.22:
	s_movk_i32 s2, 0xa8
	v_mad_u32_u24 v7, v0, s2, v15
	ds_read_b128 v[7:10], v7
	s_waitcnt lgkmcnt(0)
	v_add_f64 v[7:8], v[7:8], v[9:10]
.LBB149_23:
	s_or_b64 exec, exec, s[0:1]
	s_branch .LBB149_36
.LBB149_24:
                                        ; implicit-def: $vgpr7_vgpr8
	s_cbranch_execz .LBB149_36
; %bb.25:
	s_movk_i32 s0, 0x84
	v_cmp_gt_u32_e32 vcc, s0, v0
	s_and_saveexec_b64 s[0:1], vcc
	s_cbranch_execz .LBB149_27
; %bb.26:
	ds_read_b64 v[7:8], v15 offset:2816
	ds_read_b64 v[9:10], v15
	s_waitcnt lgkmcnt(0)
	v_add_f64 v[7:8], v[7:8], v[9:10]
	ds_write_b64 v15, v[7:8]
.LBB149_27:
	s_or_b64 exec, exec, s[0:1]
	s_movk_i32 s0, 0xb0
	v_cmp_gt_u32_e32 vcc, s0, v0
	s_waitcnt lgkmcnt(0)
	s_barrier
	s_and_saveexec_b64 s[0:1], vcc
	s_cbranch_execz .LBB149_29
; %bb.28:
	ds_read2_b64 v[7:10], v15 offset1:176
	s_waitcnt lgkmcnt(0)
	v_add_f64 v[7:8], v[9:10], v[7:8]
	ds_write_b64 v15, v[7:8]
.LBB149_29:
	s_or_b64 exec, exec, s[0:1]
	s_movk_i32 s0, 0x58
	v_cmp_gt_u32_e32 vcc, s0, v0
	s_waitcnt lgkmcnt(0)
	s_barrier
	s_and_saveexec_b64 s[0:1], vcc
	s_cbranch_execz .LBB149_31
; %bb.30:
	ds_read2_b64 v[7:10], v15 offset1:88
	s_waitcnt lgkmcnt(0)
	v_add_f64 v[7:8], v[9:10], v[7:8]
	ds_write_b64 v15, v[7:8]
.LBB149_31:
	s_or_b64 exec, exec, s[0:1]
	v_cmp_gt_u32_e32 vcc, 44, v0
	s_waitcnt lgkmcnt(0)
	s_barrier
	s_and_saveexec_b64 s[0:1], vcc
	s_cbranch_execz .LBB149_33
; %bb.32:
	ds_read2_b64 v[7:10], v15 offset1:44
	s_waitcnt lgkmcnt(0)
	v_add_f64 v[7:8], v[9:10], v[7:8]
	ds_write_b64 v15, v[7:8]
.LBB149_33:
	s_or_b64 exec, exec, s[0:1]
	v_cmp_gt_u32_e32 vcc, 22, v0
	s_waitcnt lgkmcnt(0)
	s_and_saveexec_b64 s[0:1], vcc
	s_cbranch_execz .LBB149_35
; %bb.34:
	ds_read2_b64 v[5:8], v15 offset1:22
	s_waitcnt lgkmcnt(0)
	v_add_f64 v[5:6], v[5:6], v[7:8]
.LBB149_35:
	s_or_b64 exec, exec, s[0:1]
	v_mov_b32_e32 v8, v6
	v_mov_b32_e32 v7, v5
.LBB149_36:
	v_cmp_gt_u32_e32 vcc, 22, v0
	s_and_b64 exec, exec, vcc
	s_cbranch_execz .LBB149_41
; %bb.37:
	v_cmp_eq_f64_e32 vcc, 0, v[1:2]
	v_mul_f64 v[3:4], v[3:4], v[7:8]
	s_mul_i32 s2, s7, 0xb0
	s_mul_hi_u32 s3, s6, 0xb0
	s_mul_i32 s4, s6, 0xb0
	s_and_saveexec_b64 s[0:1], vcc
	s_xor_b64 s[0:1], exec, s[0:1]
	s_cbranch_execz .LBB149_39
; %bb.38:
	s_add_i32 s5, s3, s2
	s_add_u32 s6, s12, s4
	s_addc_u32 s7, s13, s5
	global_store_dwordx2 v15, v[3:4], s[6:7]
                                        ; implicit-def: $vgpr15
                                        ; implicit-def: $vgpr1_vgpr2
                                        ; implicit-def: $vgpr3_vgpr4
.LBB149_39:
	s_andn2_saveexec_b64 s[0:1], s[0:1]
	s_cbranch_execz .LBB149_41
; %bb.40:
	s_add_i32 s3, s3, s2
	s_add_u32 s0, s12, s4
	s_addc_u32 s1, s13, s3
	global_load_dwordx2 v[5:6], v15, s[0:1]
	s_waitcnt vmcnt(0)
	v_fma_f64 v[0:1], v[1:2], v[5:6], v[3:4]
	global_store_dwordx2 v15, v[0:1], s[0:1]
.LBB149_41:
	s_endpgm
	.section	.rodata,"a",@progbits
	.p2align	6, 0x0
	.amdhsa_kernel _ZN9rocsparseL20bsrxmvn_17_32_kernelILj22EdlldddEEvT2_20rocsparse_direction_NS_24const_host_device_scalarIT0_EES1_PKS1_PKT1_SA_S7_PKT3_PKT4_S5_PT5_21rocsparse_index_base_b
		.amdhsa_group_segment_fixed_size 3872
		.amdhsa_private_segment_fixed_size 0
		.amdhsa_kernarg_size 104
		.amdhsa_user_sgpr_count 6
		.amdhsa_user_sgpr_private_segment_buffer 1
		.amdhsa_user_sgpr_dispatch_ptr 0
		.amdhsa_user_sgpr_queue_ptr 0
		.amdhsa_user_sgpr_kernarg_segment_ptr 1
		.amdhsa_user_sgpr_dispatch_id 0
		.amdhsa_user_sgpr_flat_scratch_init 0
		.amdhsa_user_sgpr_private_segment_size 0
		.amdhsa_uses_dynamic_stack 0
		.amdhsa_system_sgpr_private_segment_wavefront_offset 0
		.amdhsa_system_sgpr_workgroup_id_x 1
		.amdhsa_system_sgpr_workgroup_id_y 0
		.amdhsa_system_sgpr_workgroup_id_z 0
		.amdhsa_system_sgpr_workgroup_info 0
		.amdhsa_system_vgpr_workitem_id 0
		.amdhsa_next_free_vgpr 22
		.amdhsa_next_free_sgpr 22
		.amdhsa_reserve_vcc 1
		.amdhsa_reserve_flat_scratch 0
		.amdhsa_float_round_mode_32 0
		.amdhsa_float_round_mode_16_64 0
		.amdhsa_float_denorm_mode_32 3
		.amdhsa_float_denorm_mode_16_64 3
		.amdhsa_dx10_clamp 1
		.amdhsa_ieee_mode 1
		.amdhsa_fp16_overflow 0
		.amdhsa_exception_fp_ieee_invalid_op 0
		.amdhsa_exception_fp_denorm_src 0
		.amdhsa_exception_fp_ieee_div_zero 0
		.amdhsa_exception_fp_ieee_overflow 0
		.amdhsa_exception_fp_ieee_underflow 0
		.amdhsa_exception_fp_ieee_inexact 0
		.amdhsa_exception_int_div_zero 0
	.end_amdhsa_kernel
	.section	.text._ZN9rocsparseL20bsrxmvn_17_32_kernelILj22EdlldddEEvT2_20rocsparse_direction_NS_24const_host_device_scalarIT0_EES1_PKS1_PKT1_SA_S7_PKT3_PKT4_S5_PT5_21rocsparse_index_base_b,"axG",@progbits,_ZN9rocsparseL20bsrxmvn_17_32_kernelILj22EdlldddEEvT2_20rocsparse_direction_NS_24const_host_device_scalarIT0_EES1_PKS1_PKT1_SA_S7_PKT3_PKT4_S5_PT5_21rocsparse_index_base_b,comdat
.Lfunc_end149:
	.size	_ZN9rocsparseL20bsrxmvn_17_32_kernelILj22EdlldddEEvT2_20rocsparse_direction_NS_24const_host_device_scalarIT0_EES1_PKS1_PKT1_SA_S7_PKT3_PKT4_S5_PT5_21rocsparse_index_base_b, .Lfunc_end149-_ZN9rocsparseL20bsrxmvn_17_32_kernelILj22EdlldddEEvT2_20rocsparse_direction_NS_24const_host_device_scalarIT0_EES1_PKS1_PKT1_SA_S7_PKT3_PKT4_S5_PT5_21rocsparse_index_base_b
                                        ; -- End function
	.set _ZN9rocsparseL20bsrxmvn_17_32_kernelILj22EdlldddEEvT2_20rocsparse_direction_NS_24const_host_device_scalarIT0_EES1_PKS1_PKT1_SA_S7_PKT3_PKT4_S5_PT5_21rocsparse_index_base_b.num_vgpr, 22
	.set _ZN9rocsparseL20bsrxmvn_17_32_kernelILj22EdlldddEEvT2_20rocsparse_direction_NS_24const_host_device_scalarIT0_EES1_PKS1_PKT1_SA_S7_PKT3_PKT4_S5_PT5_21rocsparse_index_base_b.num_agpr, 0
	.set _ZN9rocsparseL20bsrxmvn_17_32_kernelILj22EdlldddEEvT2_20rocsparse_direction_NS_24const_host_device_scalarIT0_EES1_PKS1_PKT1_SA_S7_PKT3_PKT4_S5_PT5_21rocsparse_index_base_b.numbered_sgpr, 22
	.set _ZN9rocsparseL20bsrxmvn_17_32_kernelILj22EdlldddEEvT2_20rocsparse_direction_NS_24const_host_device_scalarIT0_EES1_PKS1_PKT1_SA_S7_PKT3_PKT4_S5_PT5_21rocsparse_index_base_b.num_named_barrier, 0
	.set _ZN9rocsparseL20bsrxmvn_17_32_kernelILj22EdlldddEEvT2_20rocsparse_direction_NS_24const_host_device_scalarIT0_EES1_PKS1_PKT1_SA_S7_PKT3_PKT4_S5_PT5_21rocsparse_index_base_b.private_seg_size, 0
	.set _ZN9rocsparseL20bsrxmvn_17_32_kernelILj22EdlldddEEvT2_20rocsparse_direction_NS_24const_host_device_scalarIT0_EES1_PKS1_PKT1_SA_S7_PKT3_PKT4_S5_PT5_21rocsparse_index_base_b.uses_vcc, 1
	.set _ZN9rocsparseL20bsrxmvn_17_32_kernelILj22EdlldddEEvT2_20rocsparse_direction_NS_24const_host_device_scalarIT0_EES1_PKS1_PKT1_SA_S7_PKT3_PKT4_S5_PT5_21rocsparse_index_base_b.uses_flat_scratch, 0
	.set _ZN9rocsparseL20bsrxmvn_17_32_kernelILj22EdlldddEEvT2_20rocsparse_direction_NS_24const_host_device_scalarIT0_EES1_PKS1_PKT1_SA_S7_PKT3_PKT4_S5_PT5_21rocsparse_index_base_b.has_dyn_sized_stack, 0
	.set _ZN9rocsparseL20bsrxmvn_17_32_kernelILj22EdlldddEEvT2_20rocsparse_direction_NS_24const_host_device_scalarIT0_EES1_PKS1_PKT1_SA_S7_PKT3_PKT4_S5_PT5_21rocsparse_index_base_b.has_recursion, 0
	.set _ZN9rocsparseL20bsrxmvn_17_32_kernelILj22EdlldddEEvT2_20rocsparse_direction_NS_24const_host_device_scalarIT0_EES1_PKS1_PKT1_SA_S7_PKT3_PKT4_S5_PT5_21rocsparse_index_base_b.has_indirect_call, 0
	.section	.AMDGPU.csdata,"",@progbits
; Kernel info:
; codeLenInByte = 1408
; TotalNumSgprs: 26
; NumVgprs: 22
; ScratchSize: 0
; MemoryBound: 1
; FloatMode: 240
; IeeeMode: 1
; LDSByteSize: 3872 bytes/workgroup (compile time only)
; SGPRBlocks: 3
; VGPRBlocks: 5
; NumSGPRsForWavesPerEU: 26
; NumVGPRsForWavesPerEU: 22
; Occupancy: 10
; WaveLimiterHint : 1
; COMPUTE_PGM_RSRC2:SCRATCH_EN: 0
; COMPUTE_PGM_RSRC2:USER_SGPR: 6
; COMPUTE_PGM_RSRC2:TRAP_HANDLER: 0
; COMPUTE_PGM_RSRC2:TGID_X_EN: 1
; COMPUTE_PGM_RSRC2:TGID_Y_EN: 0
; COMPUTE_PGM_RSRC2:TGID_Z_EN: 0
; COMPUTE_PGM_RSRC2:TIDIG_COMP_CNT: 0
	.section	.text._ZN9rocsparseL20bsrxmvn_17_32_kernelILj23EdlldddEEvT2_20rocsparse_direction_NS_24const_host_device_scalarIT0_EES1_PKS1_PKT1_SA_S7_PKT3_PKT4_S5_PT5_21rocsparse_index_base_b,"axG",@progbits,_ZN9rocsparseL20bsrxmvn_17_32_kernelILj23EdlldddEEvT2_20rocsparse_direction_NS_24const_host_device_scalarIT0_EES1_PKS1_PKT1_SA_S7_PKT3_PKT4_S5_PT5_21rocsparse_index_base_b,comdat
	.globl	_ZN9rocsparseL20bsrxmvn_17_32_kernelILj23EdlldddEEvT2_20rocsparse_direction_NS_24const_host_device_scalarIT0_EES1_PKS1_PKT1_SA_S7_PKT3_PKT4_S5_PT5_21rocsparse_index_base_b ; -- Begin function _ZN9rocsparseL20bsrxmvn_17_32_kernelILj23EdlldddEEvT2_20rocsparse_direction_NS_24const_host_device_scalarIT0_EES1_PKS1_PKT1_SA_S7_PKT3_PKT4_S5_PT5_21rocsparse_index_base_b
	.p2align	8
	.type	_ZN9rocsparseL20bsrxmvn_17_32_kernelILj23EdlldddEEvT2_20rocsparse_direction_NS_24const_host_device_scalarIT0_EES1_PKS1_PKT1_SA_S7_PKT3_PKT4_S5_PT5_21rocsparse_index_base_b,@function
_ZN9rocsparseL20bsrxmvn_17_32_kernelILj23EdlldddEEvT2_20rocsparse_direction_NS_24const_host_device_scalarIT0_EES1_PKS1_PKT1_SA_S7_PKT3_PKT4_S5_PT5_21rocsparse_index_base_b: ; @_ZN9rocsparseL20bsrxmvn_17_32_kernelILj23EdlldddEEvT2_20rocsparse_direction_NS_24const_host_device_scalarIT0_EES1_PKS1_PKT1_SA_S7_PKT3_PKT4_S5_PT5_21rocsparse_index_base_b
; %bb.0:
	s_load_dwordx2 s[14:15], s[4:5], 0x60
	s_load_dwordx2 s[8:9], s[4:5], 0x10
	;; [unrolled: 1-line block ×3, first 2 shown]
	s_waitcnt lgkmcnt(0)
	s_bitcmp1_b32 s15, 0
	s_cselect_b64 s[10:11], -1, 0
	v_mov_b32_e32 v3, s8
	s_xor_b64 s[2:3], s[10:11], -1
	s_and_b64 vcc, exec, s[10:11]
	v_mov_b32_e32 v4, s9
	s_cbranch_vccnz .LBB150_2
; %bb.1:
	v_mov_b32_e32 v1, s8
	v_mov_b32_e32 v2, s9
	flat_load_dwordx2 v[3:4], v[1:2]
.LBB150_2:
	v_mov_b32_e32 v2, s1
	s_andn2_b64 vcc, exec, s[2:3]
	v_mov_b32_e32 v1, s0
	s_cbranch_vccnz .LBB150_4
; %bb.3:
	v_mov_b32_e32 v2, s1
	v_mov_b32_e32 v1, s0
	flat_load_dwordx2 v[1:2], v[1:2]
.LBB150_4:
	s_waitcnt vmcnt(0) lgkmcnt(0)
	v_cmp_neq_f64_e32 vcc, 0, v[3:4]
	v_cmp_neq_f64_e64 s[0:1], 1.0, v[1:2]
	s_or_b64 s[0:1], vcc, s[0:1]
	s_and_saveexec_b64 s[2:3], s[0:1]
	s_cbranch_execz .LBB150_41
; %bb.5:
	s_load_dwordx4 s[0:3], s[4:5], 0x20
	s_load_dwordx2 s[8:9], s[4:5], 0x30
	s_mov_b32 s7, 0
	s_waitcnt lgkmcnt(0)
	s_cmp_eq_u64 s[0:1], 0
	s_cbranch_scc1 .LBB150_7
; %bb.6:
	s_lshl_b64 s[6:7], s[6:7], 3
	s_add_u32 s0, s0, s6
	s_addc_u32 s1, s1, s7
	s_load_dwordx2 s[0:1], s[0:1], 0x0
	s_waitcnt lgkmcnt(0)
	s_sub_u32 s6, s0, s14
	s_subb_u32 s7, s1, 0
.LBB150_7:
	s_load_dword s10, s[4:5], 0x8
	s_load_dwordx2 s[12:13], s[4:5], 0x58
	v_mul_u32_u24_e32 v8, 0xb22, v0
	v_mov_b32_e32 v5, 23
	v_mul_lo_u16_sdwa v5, v8, v5 dst_sel:DWORD dst_unused:UNUSED_PAD src0_sel:WORD_1 src1_sel:DWORD
	s_waitcnt lgkmcnt(0)
	s_cmp_eq_u32 s10, 1
	s_cselect_b64 s[0:1], -1, 0
	s_cmp_lg_u32 s10, 1
	s_cselect_b64 s[16:17], -1, 0
	s_lshl_b64 s[10:11], s[6:7], 3
	s_add_u32 s20, s2, s10
	s_addc_u32 s21, s3, s11
	s_add_u32 s2, s20, 8
	s_addc_u32 s3, s21, 0
	;; [unrolled: 2-line block ×3, first 2 shown]
	s_cmp_eq_u64 s[8:9], 0
	s_cselect_b32 s9, s3, s11
	s_cselect_b32 s8, s2, s10
	s_load_dwordx2 s[2:3], s[8:9], 0x0
	s_load_dwordx2 s[18:19], s[20:21], 0x0
	v_sub_u16_e32 v16, v0, v5
	v_mov_b32_e32 v7, 0
	v_lshlrev_b32_e32 v15, 3, v0
	s_waitcnt lgkmcnt(0)
	v_mov_b32_e32 v6, s3
	v_mov_b32_e32 v5, s2
	v_cmp_ge_i64_e32 vcc, s[18:19], v[5:6]
	v_mov_b32_e32 v5, 0
	v_mov_b32_e32 v6, 0
	s_cbranch_vccnz .LBB150_12
; %bb.8:
	s_load_dwordx4 s[8:11], s[4:5], 0x38
	s_load_dwordx2 s[20:21], s[4:5], 0x48
	s_mov_b32 s4, 0xffff
	s_movk_i32 s5, 0x211
	v_and_b32_sdwa v5, s4, v8 dst_sel:DWORD dst_unused:UNUSED_PAD src0_sel:DWORD src1_sel:WORD_1
	s_sub_u32 s2, s2, s14
	v_subrev_u32_e32 v6, 23, v5
	v_cmp_gt_u32_e32 vcc, s5, v0
	s_subb_u32 s3, s3, 0
	v_cndmask_b32_e32 v5, v6, v5, vcc
	s_sub_u32 s4, s18, s14
	v_cndmask_b32_e64 v6, v16, v5, s[0:1]
	s_subb_u32 s5, s19, 0
	v_lshlrev_b64 v[5:6], 3, v[6:7]
	s_mul_i32 s0, s5, 0x1088
	s_mul_hi_u32 s1, s4, 0x1088
	s_add_i32 s1, s1, s0
	s_mul_i32 s0, s4, 0x1088
	s_waitcnt lgkmcnt(0)
	v_mov_b32_e32 v8, s21
	v_add_co_u32_e32 v7, vcc, s20, v5
	s_add_u32 s0, s10, s0
	v_addc_co_u32_e32 v8, vcc, v8, v6, vcc
	s_addc_u32 s1, s11, s1
	v_mov_b32_e32 v5, s1
	v_add_co_u32_e32 v9, vcc, s0, v15
	v_addc_co_u32_e32 v10, vcc, 0, v5, vcc
	s_movk_i32 s0, 0x210
	v_cmp_lt_u32_e32 vcc, s0, v0
	v_cndmask_b32_e64 v17, 0, 1, vcc
	v_mov_b32_e32 v5, s19
	v_add_co_u32_e32 v6, vcc, s18, v17
	v_addc_co_u32_e32 v11, vcc, 0, v5, vcc
	v_subrev_co_u32_e32 v5, vcc, s14, v6
	v_subbrev_co_u32_e32 v6, vcc, 0, v11, vcc
	v_lshlrev_b64 v[5:6], 3, v[5:6]
	v_mov_b32_e32 v12, s9
	v_add_co_u32_e32 v11, vcc, s8, v5
	v_addc_co_u32_e32 v12, vcc, v12, v6, vcc
	v_mov_b32_e32 v5, 0
	v_mov_b32_e32 v14, s3
	;; [unrolled: 1-line block ×3, first 2 shown]
	s_movk_i32 s8, 0xb8
	v_mov_b32_e32 v13, s2
	s_branch .LBB150_10
.LBB150_9:                              ;   in Loop: Header=BB150_10 Depth=1
	s_or_b64 exec, exec, s[0:1]
	s_add_u32 s4, s4, 1
	s_addc_u32 s5, s5, 0
	v_cmp_lt_i64_e32 vcc, s[4:5], v[13:14]
	v_add_co_u32_e64 v11, s[0:1], 8, v11
	v_addc_co_u32_e64 v12, s[0:1], 0, v12, s[0:1]
	s_cbranch_vccz .LBB150_12
.LBB150_10:                             ; =>This Inner Loop Header: Depth=1
	v_mov_b32_e32 v19, s5
	v_add_co_u32_e32 v18, vcc, s4, v17
	v_addc_co_u32_e32 v19, vcc, 0, v19, vcc
	v_cmp_gt_i64_e32 vcc, s[2:3], v[18:19]
	s_and_saveexec_b64 s[0:1], vcc
	s_cbranch_execz .LBB150_9
; %bb.11:                               ;   in Loop: Header=BB150_10 Depth=1
	global_load_dwordx2 v[18:19], v[11:12], off
	s_waitcnt vmcnt(0)
	v_subrev_co_u32_e32 v18, vcc, s14, v18
	v_subbrev_co_u32_e32 v20, vcc, 0, v19, vcc
	v_mad_u64_u32 v[18:19], s[10:11], v18, s8, v[7:8]
	v_mad_u64_u32 v[19:20], s[10:11], v20, s8, v[19:20]
	global_load_dwordx2 v[20:21], v[9:10], off
	s_nop 0
	global_load_dwordx2 v[18:19], v[18:19], off
	v_add_co_u32_e32 v9, vcc, 0x1088, v9
	v_addc_co_u32_e32 v10, vcc, 0, v10, vcc
	s_waitcnt vmcnt(0)
	v_fma_f64 v[5:6], v[20:21], v[18:19], v[5:6]
	s_branch .LBB150_9
.LBB150_12:
	s_and_b64 vcc, exec, s[16:17]
	ds_write_b64 v15, v[5:6]
	s_waitcnt lgkmcnt(0)
	s_barrier
	s_cbranch_vccz .LBB150_24
; %bb.13:
	v_cmp_gt_u16_e32 vcc, 7, v16
	s_and_saveexec_b64 s[0:1], vcc
	s_cbranch_execz .LBB150_15
; %bb.14:
	ds_read2_b64 v[7:10], v15 offset1:16
	s_waitcnt lgkmcnt(0)
	v_add_f64 v[7:8], v[9:10], v[7:8]
	ds_write_b64 v15, v[7:8]
.LBB150_15:
	s_or_b64 exec, exec, s[0:1]
	v_cmp_gt_u16_e32 vcc, 8, v16
	s_waitcnt lgkmcnt(0)
	s_barrier
	s_and_saveexec_b64 s[0:1], vcc
	s_cbranch_execz .LBB150_17
; %bb.16:
	ds_read2_b64 v[7:10], v15 offset1:8
	s_waitcnt lgkmcnt(0)
	v_add_f64 v[7:8], v[9:10], v[7:8]
	ds_write_b64 v15, v[7:8]
.LBB150_17:
	s_or_b64 exec, exec, s[0:1]
	v_cmp_gt_u16_e32 vcc, 4, v16
	s_waitcnt lgkmcnt(0)
	s_barrier
	;; [unrolled: 12-line block ×3, first 2 shown]
	s_and_saveexec_b64 s[0:1], vcc
	s_cbranch_execz .LBB150_21
; %bb.20:
	ds_read2_b64 v[7:10], v15 offset1:2
	s_waitcnt lgkmcnt(0)
	v_add_f64 v[7:8], v[9:10], v[7:8]
	ds_write_b64 v15, v[7:8]
.LBB150_21:
	s_or_b64 exec, exec, s[0:1]
	v_mov_b32_e32 v8, v6
	v_cmp_gt_u32_e32 vcc, 23, v0
	v_mov_b32_e32 v7, v5
	s_waitcnt lgkmcnt(0)
	s_barrier
	s_and_saveexec_b64 s[0:1], vcc
	s_cbranch_execz .LBB150_23
; %bb.22:
	s_movk_i32 s2, 0xb0
	v_mad_u32_u24 v7, v0, s2, v15
	ds_read2_b64 v[7:10], v7 offset1:1
	s_waitcnt lgkmcnt(0)
	v_add_f64 v[7:8], v[7:8], v[9:10]
.LBB150_23:
	s_or_b64 exec, exec, s[0:1]
	s_branch .LBB150_36
.LBB150_24:
                                        ; implicit-def: $vgpr7_vgpr8
	s_cbranch_execz .LBB150_36
; %bb.25:
	s_movk_i32 s0, 0xa1
	v_cmp_gt_u32_e32 vcc, s0, v0
	s_and_saveexec_b64 s[0:1], vcc
	s_cbranch_execz .LBB150_27
; %bb.26:
	ds_read_b64 v[7:8], v15 offset:2944
	ds_read_b64 v[9:10], v15
	s_waitcnt lgkmcnt(0)
	v_add_f64 v[7:8], v[7:8], v[9:10]
	ds_write_b64 v15, v[7:8]
.LBB150_27:
	s_or_b64 exec, exec, s[0:1]
	s_movk_i32 s0, 0xb8
	v_cmp_gt_u32_e32 vcc, s0, v0
	s_waitcnt lgkmcnt(0)
	s_barrier
	s_and_saveexec_b64 s[0:1], vcc
	s_cbranch_execz .LBB150_29
; %bb.28:
	ds_read2_b64 v[7:10], v15 offset1:184
	s_waitcnt lgkmcnt(0)
	v_add_f64 v[7:8], v[9:10], v[7:8]
	ds_write_b64 v15, v[7:8]
.LBB150_29:
	s_or_b64 exec, exec, s[0:1]
	s_movk_i32 s0, 0x5c
	v_cmp_gt_u32_e32 vcc, s0, v0
	s_waitcnt lgkmcnt(0)
	s_barrier
	s_and_saveexec_b64 s[0:1], vcc
	s_cbranch_execz .LBB150_31
; %bb.30:
	ds_read2_b64 v[7:10], v15 offset1:92
	s_waitcnt lgkmcnt(0)
	v_add_f64 v[7:8], v[9:10], v[7:8]
	ds_write_b64 v15, v[7:8]
.LBB150_31:
	s_or_b64 exec, exec, s[0:1]
	v_cmp_gt_u32_e32 vcc, 46, v0
	s_waitcnt lgkmcnt(0)
	s_barrier
	s_and_saveexec_b64 s[0:1], vcc
	s_cbranch_execz .LBB150_33
; %bb.32:
	ds_read2_b64 v[7:10], v15 offset1:46
	s_waitcnt lgkmcnt(0)
	v_add_f64 v[7:8], v[9:10], v[7:8]
	ds_write_b64 v15, v[7:8]
.LBB150_33:
	s_or_b64 exec, exec, s[0:1]
	v_cmp_gt_u32_e32 vcc, 23, v0
	s_waitcnt lgkmcnt(0)
	s_and_saveexec_b64 s[0:1], vcc
	s_cbranch_execz .LBB150_35
; %bb.34:
	ds_read2_b64 v[5:8], v15 offset1:23
	s_waitcnt lgkmcnt(0)
	v_add_f64 v[5:6], v[5:6], v[7:8]
.LBB150_35:
	s_or_b64 exec, exec, s[0:1]
	v_mov_b32_e32 v8, v6
	v_mov_b32_e32 v7, v5
.LBB150_36:
	v_cmp_gt_u32_e32 vcc, 23, v0
	s_and_b64 exec, exec, vcc
	s_cbranch_execz .LBB150_41
; %bb.37:
	v_cmp_eq_f64_e32 vcc, 0, v[1:2]
	v_mul_f64 v[3:4], v[3:4], v[7:8]
	s_mul_i32 s2, s7, 0xb8
	s_mul_hi_u32 s3, s6, 0xb8
	s_mul_i32 s4, s6, 0xb8
	s_and_saveexec_b64 s[0:1], vcc
	s_xor_b64 s[0:1], exec, s[0:1]
	s_cbranch_execz .LBB150_39
; %bb.38:
	s_add_i32 s5, s3, s2
	s_add_u32 s6, s12, s4
	s_addc_u32 s7, s13, s5
	global_store_dwordx2 v15, v[3:4], s[6:7]
                                        ; implicit-def: $vgpr15
                                        ; implicit-def: $vgpr1_vgpr2
                                        ; implicit-def: $vgpr3_vgpr4
.LBB150_39:
	s_andn2_saveexec_b64 s[0:1], s[0:1]
	s_cbranch_execz .LBB150_41
; %bb.40:
	s_add_i32 s3, s3, s2
	s_add_u32 s0, s12, s4
	s_addc_u32 s1, s13, s3
	global_load_dwordx2 v[5:6], v15, s[0:1]
	s_waitcnt vmcnt(0)
	v_fma_f64 v[0:1], v[1:2], v[5:6], v[3:4]
	global_store_dwordx2 v15, v[0:1], s[0:1]
.LBB150_41:
	s_endpgm
	.section	.rodata,"a",@progbits
	.p2align	6, 0x0
	.amdhsa_kernel _ZN9rocsparseL20bsrxmvn_17_32_kernelILj23EdlldddEEvT2_20rocsparse_direction_NS_24const_host_device_scalarIT0_EES1_PKS1_PKT1_SA_S7_PKT3_PKT4_S5_PT5_21rocsparse_index_base_b
		.amdhsa_group_segment_fixed_size 4232
		.amdhsa_private_segment_fixed_size 0
		.amdhsa_kernarg_size 104
		.amdhsa_user_sgpr_count 6
		.amdhsa_user_sgpr_private_segment_buffer 1
		.amdhsa_user_sgpr_dispatch_ptr 0
		.amdhsa_user_sgpr_queue_ptr 0
		.amdhsa_user_sgpr_kernarg_segment_ptr 1
		.amdhsa_user_sgpr_dispatch_id 0
		.amdhsa_user_sgpr_flat_scratch_init 0
		.amdhsa_user_sgpr_private_segment_size 0
		.amdhsa_uses_dynamic_stack 0
		.amdhsa_system_sgpr_private_segment_wavefront_offset 0
		.amdhsa_system_sgpr_workgroup_id_x 1
		.amdhsa_system_sgpr_workgroup_id_y 0
		.amdhsa_system_sgpr_workgroup_id_z 0
		.amdhsa_system_sgpr_workgroup_info 0
		.amdhsa_system_vgpr_workitem_id 0
		.amdhsa_next_free_vgpr 25
		.amdhsa_next_free_sgpr 61
		.amdhsa_reserve_vcc 1
		.amdhsa_reserve_flat_scratch 0
		.amdhsa_float_round_mode_32 0
		.amdhsa_float_round_mode_16_64 0
		.amdhsa_float_denorm_mode_32 3
		.amdhsa_float_denorm_mode_16_64 3
		.amdhsa_dx10_clamp 1
		.amdhsa_ieee_mode 1
		.amdhsa_fp16_overflow 0
		.amdhsa_exception_fp_ieee_invalid_op 0
		.amdhsa_exception_fp_denorm_src 0
		.amdhsa_exception_fp_ieee_div_zero 0
		.amdhsa_exception_fp_ieee_overflow 0
		.amdhsa_exception_fp_ieee_underflow 0
		.amdhsa_exception_fp_ieee_inexact 0
		.amdhsa_exception_int_div_zero 0
	.end_amdhsa_kernel
	.section	.text._ZN9rocsparseL20bsrxmvn_17_32_kernelILj23EdlldddEEvT2_20rocsparse_direction_NS_24const_host_device_scalarIT0_EES1_PKS1_PKT1_SA_S7_PKT3_PKT4_S5_PT5_21rocsparse_index_base_b,"axG",@progbits,_ZN9rocsparseL20bsrxmvn_17_32_kernelILj23EdlldddEEvT2_20rocsparse_direction_NS_24const_host_device_scalarIT0_EES1_PKS1_PKT1_SA_S7_PKT3_PKT4_S5_PT5_21rocsparse_index_base_b,comdat
.Lfunc_end150:
	.size	_ZN9rocsparseL20bsrxmvn_17_32_kernelILj23EdlldddEEvT2_20rocsparse_direction_NS_24const_host_device_scalarIT0_EES1_PKS1_PKT1_SA_S7_PKT3_PKT4_S5_PT5_21rocsparse_index_base_b, .Lfunc_end150-_ZN9rocsparseL20bsrxmvn_17_32_kernelILj23EdlldddEEvT2_20rocsparse_direction_NS_24const_host_device_scalarIT0_EES1_PKS1_PKT1_SA_S7_PKT3_PKT4_S5_PT5_21rocsparse_index_base_b
                                        ; -- End function
	.set _ZN9rocsparseL20bsrxmvn_17_32_kernelILj23EdlldddEEvT2_20rocsparse_direction_NS_24const_host_device_scalarIT0_EES1_PKS1_PKT1_SA_S7_PKT3_PKT4_S5_PT5_21rocsparse_index_base_b.num_vgpr, 22
	.set _ZN9rocsparseL20bsrxmvn_17_32_kernelILj23EdlldddEEvT2_20rocsparse_direction_NS_24const_host_device_scalarIT0_EES1_PKS1_PKT1_SA_S7_PKT3_PKT4_S5_PT5_21rocsparse_index_base_b.num_agpr, 0
	.set _ZN9rocsparseL20bsrxmvn_17_32_kernelILj23EdlldddEEvT2_20rocsparse_direction_NS_24const_host_device_scalarIT0_EES1_PKS1_PKT1_SA_S7_PKT3_PKT4_S5_PT5_21rocsparse_index_base_b.numbered_sgpr, 22
	.set _ZN9rocsparseL20bsrxmvn_17_32_kernelILj23EdlldddEEvT2_20rocsparse_direction_NS_24const_host_device_scalarIT0_EES1_PKS1_PKT1_SA_S7_PKT3_PKT4_S5_PT5_21rocsparse_index_base_b.num_named_barrier, 0
	.set _ZN9rocsparseL20bsrxmvn_17_32_kernelILj23EdlldddEEvT2_20rocsparse_direction_NS_24const_host_device_scalarIT0_EES1_PKS1_PKT1_SA_S7_PKT3_PKT4_S5_PT5_21rocsparse_index_base_b.private_seg_size, 0
	.set _ZN9rocsparseL20bsrxmvn_17_32_kernelILj23EdlldddEEvT2_20rocsparse_direction_NS_24const_host_device_scalarIT0_EES1_PKS1_PKT1_SA_S7_PKT3_PKT4_S5_PT5_21rocsparse_index_base_b.uses_vcc, 1
	.set _ZN9rocsparseL20bsrxmvn_17_32_kernelILj23EdlldddEEvT2_20rocsparse_direction_NS_24const_host_device_scalarIT0_EES1_PKS1_PKT1_SA_S7_PKT3_PKT4_S5_PT5_21rocsparse_index_base_b.uses_flat_scratch, 0
	.set _ZN9rocsparseL20bsrxmvn_17_32_kernelILj23EdlldddEEvT2_20rocsparse_direction_NS_24const_host_device_scalarIT0_EES1_PKS1_PKT1_SA_S7_PKT3_PKT4_S5_PT5_21rocsparse_index_base_b.has_dyn_sized_stack, 0
	.set _ZN9rocsparseL20bsrxmvn_17_32_kernelILj23EdlldddEEvT2_20rocsparse_direction_NS_24const_host_device_scalarIT0_EES1_PKS1_PKT1_SA_S7_PKT3_PKT4_S5_PT5_21rocsparse_index_base_b.has_recursion, 0
	.set _ZN9rocsparseL20bsrxmvn_17_32_kernelILj23EdlldddEEvT2_20rocsparse_direction_NS_24const_host_device_scalarIT0_EES1_PKS1_PKT1_SA_S7_PKT3_PKT4_S5_PT5_21rocsparse_index_base_b.has_indirect_call, 0
	.section	.AMDGPU.csdata,"",@progbits
; Kernel info:
; codeLenInByte = 1412
; TotalNumSgprs: 26
; NumVgprs: 22
; ScratchSize: 0
; MemoryBound: 1
; FloatMode: 240
; IeeeMode: 1
; LDSByteSize: 4232 bytes/workgroup (compile time only)
; SGPRBlocks: 8
; VGPRBlocks: 6
; NumSGPRsForWavesPerEU: 65
; NumVGPRsForWavesPerEU: 25
; Occupancy: 9
; WaveLimiterHint : 1
; COMPUTE_PGM_RSRC2:SCRATCH_EN: 0
; COMPUTE_PGM_RSRC2:USER_SGPR: 6
; COMPUTE_PGM_RSRC2:TRAP_HANDLER: 0
; COMPUTE_PGM_RSRC2:TGID_X_EN: 1
; COMPUTE_PGM_RSRC2:TGID_Y_EN: 0
; COMPUTE_PGM_RSRC2:TGID_Z_EN: 0
; COMPUTE_PGM_RSRC2:TIDIG_COMP_CNT: 0
	.section	.text._ZN9rocsparseL20bsrxmvn_17_32_kernelILj24EdlldddEEvT2_20rocsparse_direction_NS_24const_host_device_scalarIT0_EES1_PKS1_PKT1_SA_S7_PKT3_PKT4_S5_PT5_21rocsparse_index_base_b,"axG",@progbits,_ZN9rocsparseL20bsrxmvn_17_32_kernelILj24EdlldddEEvT2_20rocsparse_direction_NS_24const_host_device_scalarIT0_EES1_PKS1_PKT1_SA_S7_PKT3_PKT4_S5_PT5_21rocsparse_index_base_b,comdat
	.globl	_ZN9rocsparseL20bsrxmvn_17_32_kernelILj24EdlldddEEvT2_20rocsparse_direction_NS_24const_host_device_scalarIT0_EES1_PKS1_PKT1_SA_S7_PKT3_PKT4_S5_PT5_21rocsparse_index_base_b ; -- Begin function _ZN9rocsparseL20bsrxmvn_17_32_kernelILj24EdlldddEEvT2_20rocsparse_direction_NS_24const_host_device_scalarIT0_EES1_PKS1_PKT1_SA_S7_PKT3_PKT4_S5_PT5_21rocsparse_index_base_b
	.p2align	8
	.type	_ZN9rocsparseL20bsrxmvn_17_32_kernelILj24EdlldddEEvT2_20rocsparse_direction_NS_24const_host_device_scalarIT0_EES1_PKS1_PKT1_SA_S7_PKT3_PKT4_S5_PT5_21rocsparse_index_base_b,@function
_ZN9rocsparseL20bsrxmvn_17_32_kernelILj24EdlldddEEvT2_20rocsparse_direction_NS_24const_host_device_scalarIT0_EES1_PKS1_PKT1_SA_S7_PKT3_PKT4_S5_PT5_21rocsparse_index_base_b: ; @_ZN9rocsparseL20bsrxmvn_17_32_kernelILj24EdlldddEEvT2_20rocsparse_direction_NS_24const_host_device_scalarIT0_EES1_PKS1_PKT1_SA_S7_PKT3_PKT4_S5_PT5_21rocsparse_index_base_b
; %bb.0:
	s_load_dwordx2 s[14:15], s[4:5], 0x60
	s_load_dwordx2 s[8:9], s[4:5], 0x10
	;; [unrolled: 1-line block ×3, first 2 shown]
	s_waitcnt lgkmcnt(0)
	s_bitcmp1_b32 s15, 0
	s_cselect_b64 s[10:11], -1, 0
	v_mov_b32_e32 v3, s8
	s_xor_b64 s[2:3], s[10:11], -1
	s_and_b64 vcc, exec, s[10:11]
	v_mov_b32_e32 v4, s9
	s_cbranch_vccnz .LBB151_2
; %bb.1:
	v_mov_b32_e32 v1, s8
	v_mov_b32_e32 v2, s9
	flat_load_dwordx2 v[3:4], v[1:2]
.LBB151_2:
	v_mov_b32_e32 v2, s1
	s_andn2_b64 vcc, exec, s[2:3]
	v_mov_b32_e32 v1, s0
	s_cbranch_vccnz .LBB151_4
; %bb.3:
	v_mov_b32_e32 v2, s1
	v_mov_b32_e32 v1, s0
	flat_load_dwordx2 v[1:2], v[1:2]
.LBB151_4:
	s_waitcnt vmcnt(0) lgkmcnt(0)
	v_cmp_neq_f64_e32 vcc, 0, v[3:4]
	v_cmp_neq_f64_e64 s[0:1], 1.0, v[1:2]
	s_or_b64 s[0:1], vcc, s[0:1]
	s_and_saveexec_b64 s[2:3], s[0:1]
	s_cbranch_execz .LBB151_41
; %bb.5:
	s_load_dwordx4 s[0:3], s[4:5], 0x20
	s_load_dwordx2 s[8:9], s[4:5], 0x30
	s_mov_b32 s7, 0
	s_waitcnt lgkmcnt(0)
	s_cmp_eq_u64 s[0:1], 0
	s_cbranch_scc1 .LBB151_7
; %bb.6:
	s_lshl_b64 s[6:7], s[6:7], 3
	s_add_u32 s0, s0, s6
	s_addc_u32 s1, s1, s7
	s_load_dwordx2 s[0:1], s[0:1], 0x0
	s_waitcnt lgkmcnt(0)
	s_sub_u32 s6, s0, s14
	s_subb_u32 s7, s1, 0
.LBB151_7:
	s_load_dword s10, s[4:5], 0x8
	s_load_dwordx2 s[12:13], s[4:5], 0x58
	v_mul_u32_u24_e32 v8, 0xaab, v0
	v_mov_b32_e32 v5, 24
	v_mul_lo_u16_sdwa v5, v8, v5 dst_sel:DWORD dst_unused:UNUSED_PAD src0_sel:WORD_1 src1_sel:DWORD
	s_waitcnt lgkmcnt(0)
	s_cmp_eq_u32 s10, 1
	s_cselect_b64 s[0:1], -1, 0
	s_cmp_lg_u32 s10, 1
	s_cselect_b64 s[16:17], -1, 0
	s_lshl_b64 s[10:11], s[6:7], 3
	s_add_u32 s20, s2, s10
	s_addc_u32 s21, s3, s11
	s_add_u32 s2, s20, 8
	s_addc_u32 s3, s21, 0
	;; [unrolled: 2-line block ×3, first 2 shown]
	s_cmp_eq_u64 s[8:9], 0
	s_cselect_b32 s9, s3, s11
	s_cselect_b32 s8, s2, s10
	s_load_dwordx2 s[2:3], s[8:9], 0x0
	s_load_dwordx2 s[18:19], s[20:21], 0x0
	v_sub_u16_e32 v16, v0, v5
	v_mov_b32_e32 v7, 0
	v_lshlrev_b32_e32 v15, 3, v0
	s_waitcnt lgkmcnt(0)
	v_mov_b32_e32 v6, s3
	v_mov_b32_e32 v5, s2
	v_cmp_ge_i64_e32 vcc, s[18:19], v[5:6]
	v_mov_b32_e32 v5, 0
	v_mov_b32_e32 v6, 0
	s_cbranch_vccnz .LBB151_12
; %bb.8:
	s_load_dwordx4 s[8:11], s[4:5], 0x38
	s_load_dwordx2 s[20:21], s[4:5], 0x48
	s_mov_b32 s4, 0xffff
	s_movk_i32 s5, 0x240
	v_and_b32_sdwa v5, s4, v8 dst_sel:DWORD dst_unused:UNUSED_PAD src0_sel:DWORD src1_sel:WORD_1
	s_sub_u32 s2, s2, s14
	v_subrev_u32_e32 v6, 24, v5
	v_cmp_gt_u32_e32 vcc, s5, v0
	s_subb_u32 s3, s3, 0
	v_cndmask_b32_e32 v5, v6, v5, vcc
	s_sub_u32 s4, s18, s14
	v_cndmask_b32_e64 v6, v16, v5, s[0:1]
	s_subb_u32 s5, s19, 0
	v_lshlrev_b64 v[5:6], 3, v[6:7]
	s_mul_i32 s0, s5, 0x1200
	s_mul_hi_u32 s1, s4, 0x1200
	s_add_i32 s1, s1, s0
	s_mul_i32 s0, s4, 0x1200
	s_waitcnt lgkmcnt(0)
	v_mov_b32_e32 v8, s21
	v_add_co_u32_e32 v7, vcc, s20, v5
	s_add_u32 s0, s10, s0
	v_addc_co_u32_e32 v8, vcc, v8, v6, vcc
	s_addc_u32 s1, s11, s1
	v_mov_b32_e32 v5, s1
	v_add_co_u32_e32 v9, vcc, s0, v15
	v_addc_co_u32_e32 v10, vcc, 0, v5, vcc
	s_movk_i32 s0, 0x23f
	v_cmp_lt_u32_e32 vcc, s0, v0
	v_cndmask_b32_e64 v17, 0, 1, vcc
	v_mov_b32_e32 v5, s19
	v_add_co_u32_e32 v6, vcc, s18, v17
	v_addc_co_u32_e32 v11, vcc, 0, v5, vcc
	v_subrev_co_u32_e32 v5, vcc, s14, v6
	v_subbrev_co_u32_e32 v6, vcc, 0, v11, vcc
	v_lshlrev_b64 v[5:6], 3, v[5:6]
	v_mov_b32_e32 v12, s9
	v_add_co_u32_e32 v11, vcc, s8, v5
	v_addc_co_u32_e32 v12, vcc, v12, v6, vcc
	v_mov_b32_e32 v5, 0
	v_mov_b32_e32 v14, s3
	;; [unrolled: 1-line block ×3, first 2 shown]
	s_movk_i32 s8, 0xc0
	v_mov_b32_e32 v13, s2
	s_branch .LBB151_10
.LBB151_9:                              ;   in Loop: Header=BB151_10 Depth=1
	s_or_b64 exec, exec, s[0:1]
	s_add_u32 s4, s4, 1
	s_addc_u32 s5, s5, 0
	v_cmp_lt_i64_e32 vcc, s[4:5], v[13:14]
	v_add_co_u32_e64 v11, s[0:1], 8, v11
	v_addc_co_u32_e64 v12, s[0:1], 0, v12, s[0:1]
	s_cbranch_vccz .LBB151_12
.LBB151_10:                             ; =>This Inner Loop Header: Depth=1
	v_mov_b32_e32 v19, s5
	v_add_co_u32_e32 v18, vcc, s4, v17
	v_addc_co_u32_e32 v19, vcc, 0, v19, vcc
	v_cmp_gt_i64_e32 vcc, s[2:3], v[18:19]
	s_and_saveexec_b64 s[0:1], vcc
	s_cbranch_execz .LBB151_9
; %bb.11:                               ;   in Loop: Header=BB151_10 Depth=1
	global_load_dwordx2 v[18:19], v[11:12], off
	s_waitcnt vmcnt(0)
	v_subrev_co_u32_e32 v18, vcc, s14, v18
	v_subbrev_co_u32_e32 v20, vcc, 0, v19, vcc
	v_mad_u64_u32 v[18:19], s[10:11], v18, s8, v[7:8]
	v_mad_u64_u32 v[19:20], s[10:11], v20, s8, v[19:20]
	global_load_dwordx2 v[20:21], v[9:10], off
	s_nop 0
	global_load_dwordx2 v[18:19], v[18:19], off
	v_add_co_u32_e32 v9, vcc, 0x1200, v9
	v_addc_co_u32_e32 v10, vcc, 0, v10, vcc
	s_waitcnt vmcnt(0)
	v_fma_f64 v[5:6], v[20:21], v[18:19], v[5:6]
	s_branch .LBB151_9
.LBB151_12:
	s_and_b64 vcc, exec, s[16:17]
	ds_write_b64 v15, v[5:6]
	s_waitcnt lgkmcnt(0)
	s_barrier
	s_cbranch_vccz .LBB151_24
; %bb.13:
	v_cmp_gt_u16_e32 vcc, 8, v16
	s_and_saveexec_b64 s[0:1], vcc
	s_cbranch_execz .LBB151_15
; %bb.14:
	ds_read2_b64 v[7:10], v15 offset1:16
	s_waitcnt lgkmcnt(0)
	v_add_f64 v[7:8], v[9:10], v[7:8]
	ds_write_b64 v15, v[7:8]
.LBB151_15:
	s_or_b64 exec, exec, s[0:1]
	s_waitcnt lgkmcnt(0)
	s_barrier
	s_and_saveexec_b64 s[0:1], vcc
	s_cbranch_execz .LBB151_17
; %bb.16:
	ds_read2_b64 v[7:10], v15 offset1:8
	s_waitcnt lgkmcnt(0)
	v_add_f64 v[7:8], v[9:10], v[7:8]
	ds_write_b64 v15, v[7:8]
.LBB151_17:
	s_or_b64 exec, exec, s[0:1]
	v_cmp_gt_u16_e32 vcc, 4, v16
	s_waitcnt lgkmcnt(0)
	s_barrier
	s_and_saveexec_b64 s[0:1], vcc
	s_cbranch_execz .LBB151_19
; %bb.18:
	ds_read2_b64 v[7:10], v15 offset1:4
	s_waitcnt lgkmcnt(0)
	v_add_f64 v[7:8], v[9:10], v[7:8]
	ds_write_b64 v15, v[7:8]
.LBB151_19:
	s_or_b64 exec, exec, s[0:1]
	v_cmp_gt_u16_e32 vcc, 2, v16
	s_waitcnt lgkmcnt(0)
	s_barrier
	s_and_saveexec_b64 s[0:1], vcc
	s_cbranch_execz .LBB151_21
; %bb.20:
	ds_read2_b64 v[7:10], v15 offset1:2
	s_waitcnt lgkmcnt(0)
	v_add_f64 v[7:8], v[9:10], v[7:8]
	ds_write_b64 v15, v[7:8]
.LBB151_21:
	s_or_b64 exec, exec, s[0:1]
	v_mov_b32_e32 v8, v6
	v_cmp_gt_u32_e32 vcc, 24, v0
	v_mov_b32_e32 v7, v5
	s_waitcnt lgkmcnt(0)
	s_barrier
	s_and_saveexec_b64 s[0:1], vcc
	s_cbranch_execz .LBB151_23
; %bb.22:
	s_movk_i32 s2, 0xb8
	v_mad_u32_u24 v7, v0, s2, v15
	ds_read_b128 v[7:10], v7
	s_waitcnt lgkmcnt(0)
	v_add_f64 v[7:8], v[7:8], v[9:10]
.LBB151_23:
	s_or_b64 exec, exec, s[0:1]
	s_branch .LBB151_36
.LBB151_24:
                                        ; implicit-def: $vgpr7_vgpr8
	s_cbranch_execz .LBB151_36
; %bb.25:
	s_movk_i32 s0, 0xc0
	v_cmp_gt_u32_e32 vcc, s0, v0
	s_and_saveexec_b64 s[0:1], vcc
	s_cbranch_execz .LBB151_27
; %bb.26:
	ds_read2st64_b64 v[7:10], v15 offset1:6
	s_waitcnt lgkmcnt(0)
	v_add_f64 v[7:8], v[9:10], v[7:8]
	ds_write_b64 v15, v[7:8]
.LBB151_27:
	s_or_b64 exec, exec, s[0:1]
	s_waitcnt lgkmcnt(0)
	s_barrier
	s_and_saveexec_b64 s[0:1], vcc
	s_cbranch_execz .LBB151_29
; %bb.28:
	ds_read2st64_b64 v[7:10], v15 offset1:3
	s_waitcnt lgkmcnt(0)
	v_add_f64 v[7:8], v[9:10], v[7:8]
	ds_write_b64 v15, v[7:8]
.LBB151_29:
	s_or_b64 exec, exec, s[0:1]
	s_movk_i32 s0, 0x60
	v_cmp_gt_u32_e32 vcc, s0, v0
	s_waitcnt lgkmcnt(0)
	s_barrier
	s_and_saveexec_b64 s[0:1], vcc
	s_cbranch_execz .LBB151_31
; %bb.30:
	ds_read2_b64 v[7:10], v15 offset1:96
	s_waitcnt lgkmcnt(0)
	v_add_f64 v[7:8], v[9:10], v[7:8]
	ds_write_b64 v15, v[7:8]
.LBB151_31:
	s_or_b64 exec, exec, s[0:1]
	v_cmp_gt_u32_e32 vcc, 48, v0
	s_waitcnt lgkmcnt(0)
	s_barrier
	s_and_saveexec_b64 s[0:1], vcc
	s_cbranch_execz .LBB151_33
; %bb.32:
	ds_read2_b64 v[7:10], v15 offset1:48
	s_waitcnt lgkmcnt(0)
	v_add_f64 v[7:8], v[9:10], v[7:8]
	ds_write_b64 v15, v[7:8]
.LBB151_33:
	s_or_b64 exec, exec, s[0:1]
	v_cmp_gt_u32_e32 vcc, 24, v0
	s_waitcnt lgkmcnt(0)
	s_and_saveexec_b64 s[0:1], vcc
	s_cbranch_execz .LBB151_35
; %bb.34:
	ds_read2_b64 v[5:8], v15 offset1:24
	s_waitcnt lgkmcnt(0)
	v_add_f64 v[5:6], v[5:6], v[7:8]
.LBB151_35:
	s_or_b64 exec, exec, s[0:1]
	v_mov_b32_e32 v8, v6
	v_mov_b32_e32 v7, v5
.LBB151_36:
	v_cmp_gt_u32_e32 vcc, 24, v0
	s_and_b64 exec, exec, vcc
	s_cbranch_execz .LBB151_41
; %bb.37:
	v_cmp_eq_f64_e32 vcc, 0, v[1:2]
	v_mul_f64 v[3:4], v[3:4], v[7:8]
	s_mul_i32 s2, s7, 0xc0
	s_mul_hi_u32 s3, s6, 0xc0
	s_mul_i32 s4, s6, 0xc0
	s_and_saveexec_b64 s[0:1], vcc
	s_xor_b64 s[0:1], exec, s[0:1]
	s_cbranch_execz .LBB151_39
; %bb.38:
	s_add_i32 s5, s3, s2
	s_add_u32 s6, s12, s4
	s_addc_u32 s7, s13, s5
	global_store_dwordx2 v15, v[3:4], s[6:7]
                                        ; implicit-def: $vgpr15
                                        ; implicit-def: $vgpr1_vgpr2
                                        ; implicit-def: $vgpr3_vgpr4
.LBB151_39:
	s_andn2_saveexec_b64 s[0:1], s[0:1]
	s_cbranch_execz .LBB151_41
; %bb.40:
	s_add_i32 s3, s3, s2
	s_add_u32 s0, s12, s4
	s_addc_u32 s1, s13, s3
	global_load_dwordx2 v[5:6], v15, s[0:1]
	s_waitcnt vmcnt(0)
	v_fma_f64 v[0:1], v[1:2], v[5:6], v[3:4]
	global_store_dwordx2 v15, v[0:1], s[0:1]
.LBB151_41:
	s_endpgm
	.section	.rodata,"a",@progbits
	.p2align	6, 0x0
	.amdhsa_kernel _ZN9rocsparseL20bsrxmvn_17_32_kernelILj24EdlldddEEvT2_20rocsparse_direction_NS_24const_host_device_scalarIT0_EES1_PKS1_PKT1_SA_S7_PKT3_PKT4_S5_PT5_21rocsparse_index_base_b
		.amdhsa_group_segment_fixed_size 4608
		.amdhsa_private_segment_fixed_size 0
		.amdhsa_kernarg_size 104
		.amdhsa_user_sgpr_count 6
		.amdhsa_user_sgpr_private_segment_buffer 1
		.amdhsa_user_sgpr_dispatch_ptr 0
		.amdhsa_user_sgpr_queue_ptr 0
		.amdhsa_user_sgpr_kernarg_segment_ptr 1
		.amdhsa_user_sgpr_dispatch_id 0
		.amdhsa_user_sgpr_flat_scratch_init 0
		.amdhsa_user_sgpr_private_segment_size 0
		.amdhsa_uses_dynamic_stack 0
		.amdhsa_system_sgpr_private_segment_wavefront_offset 0
		.amdhsa_system_sgpr_workgroup_id_x 1
		.amdhsa_system_sgpr_workgroup_id_y 0
		.amdhsa_system_sgpr_workgroup_id_z 0
		.amdhsa_system_sgpr_workgroup_info 0
		.amdhsa_system_vgpr_workitem_id 0
		.amdhsa_next_free_vgpr 25
		.amdhsa_next_free_sgpr 61
		.amdhsa_reserve_vcc 1
		.amdhsa_reserve_flat_scratch 0
		.amdhsa_float_round_mode_32 0
		.amdhsa_float_round_mode_16_64 0
		.amdhsa_float_denorm_mode_32 3
		.amdhsa_float_denorm_mode_16_64 3
		.amdhsa_dx10_clamp 1
		.amdhsa_ieee_mode 1
		.amdhsa_fp16_overflow 0
		.amdhsa_exception_fp_ieee_invalid_op 0
		.amdhsa_exception_fp_denorm_src 0
		.amdhsa_exception_fp_ieee_div_zero 0
		.amdhsa_exception_fp_ieee_overflow 0
		.amdhsa_exception_fp_ieee_underflow 0
		.amdhsa_exception_fp_ieee_inexact 0
		.amdhsa_exception_int_div_zero 0
	.end_amdhsa_kernel
	.section	.text._ZN9rocsparseL20bsrxmvn_17_32_kernelILj24EdlldddEEvT2_20rocsparse_direction_NS_24const_host_device_scalarIT0_EES1_PKS1_PKT1_SA_S7_PKT3_PKT4_S5_PT5_21rocsparse_index_base_b,"axG",@progbits,_ZN9rocsparseL20bsrxmvn_17_32_kernelILj24EdlldddEEvT2_20rocsparse_direction_NS_24const_host_device_scalarIT0_EES1_PKS1_PKT1_SA_S7_PKT3_PKT4_S5_PT5_21rocsparse_index_base_b,comdat
.Lfunc_end151:
	.size	_ZN9rocsparseL20bsrxmvn_17_32_kernelILj24EdlldddEEvT2_20rocsparse_direction_NS_24const_host_device_scalarIT0_EES1_PKS1_PKT1_SA_S7_PKT3_PKT4_S5_PT5_21rocsparse_index_base_b, .Lfunc_end151-_ZN9rocsparseL20bsrxmvn_17_32_kernelILj24EdlldddEEvT2_20rocsparse_direction_NS_24const_host_device_scalarIT0_EES1_PKS1_PKT1_SA_S7_PKT3_PKT4_S5_PT5_21rocsparse_index_base_b
                                        ; -- End function
	.set _ZN9rocsparseL20bsrxmvn_17_32_kernelILj24EdlldddEEvT2_20rocsparse_direction_NS_24const_host_device_scalarIT0_EES1_PKS1_PKT1_SA_S7_PKT3_PKT4_S5_PT5_21rocsparse_index_base_b.num_vgpr, 22
	.set _ZN9rocsparseL20bsrxmvn_17_32_kernelILj24EdlldddEEvT2_20rocsparse_direction_NS_24const_host_device_scalarIT0_EES1_PKS1_PKT1_SA_S7_PKT3_PKT4_S5_PT5_21rocsparse_index_base_b.num_agpr, 0
	.set _ZN9rocsparseL20bsrxmvn_17_32_kernelILj24EdlldddEEvT2_20rocsparse_direction_NS_24const_host_device_scalarIT0_EES1_PKS1_PKT1_SA_S7_PKT3_PKT4_S5_PT5_21rocsparse_index_base_b.numbered_sgpr, 22
	.set _ZN9rocsparseL20bsrxmvn_17_32_kernelILj24EdlldddEEvT2_20rocsparse_direction_NS_24const_host_device_scalarIT0_EES1_PKS1_PKT1_SA_S7_PKT3_PKT4_S5_PT5_21rocsparse_index_base_b.num_named_barrier, 0
	.set _ZN9rocsparseL20bsrxmvn_17_32_kernelILj24EdlldddEEvT2_20rocsparse_direction_NS_24const_host_device_scalarIT0_EES1_PKS1_PKT1_SA_S7_PKT3_PKT4_S5_PT5_21rocsparse_index_base_b.private_seg_size, 0
	.set _ZN9rocsparseL20bsrxmvn_17_32_kernelILj24EdlldddEEvT2_20rocsparse_direction_NS_24const_host_device_scalarIT0_EES1_PKS1_PKT1_SA_S7_PKT3_PKT4_S5_PT5_21rocsparse_index_base_b.uses_vcc, 1
	.set _ZN9rocsparseL20bsrxmvn_17_32_kernelILj24EdlldddEEvT2_20rocsparse_direction_NS_24const_host_device_scalarIT0_EES1_PKS1_PKT1_SA_S7_PKT3_PKT4_S5_PT5_21rocsparse_index_base_b.uses_flat_scratch, 0
	.set _ZN9rocsparseL20bsrxmvn_17_32_kernelILj24EdlldddEEvT2_20rocsparse_direction_NS_24const_host_device_scalarIT0_EES1_PKS1_PKT1_SA_S7_PKT3_PKT4_S5_PT5_21rocsparse_index_base_b.has_dyn_sized_stack, 0
	.set _ZN9rocsparseL20bsrxmvn_17_32_kernelILj24EdlldddEEvT2_20rocsparse_direction_NS_24const_host_device_scalarIT0_EES1_PKS1_PKT1_SA_S7_PKT3_PKT4_S5_PT5_21rocsparse_index_base_b.has_recursion, 0
	.set _ZN9rocsparseL20bsrxmvn_17_32_kernelILj24EdlldddEEvT2_20rocsparse_direction_NS_24const_host_device_scalarIT0_EES1_PKS1_PKT1_SA_S7_PKT3_PKT4_S5_PT5_21rocsparse_index_base_b.has_indirect_call, 0
	.section	.AMDGPU.csdata,"",@progbits
; Kernel info:
; codeLenInByte = 1392
; TotalNumSgprs: 26
; NumVgprs: 22
; ScratchSize: 0
; MemoryBound: 1
; FloatMode: 240
; IeeeMode: 1
; LDSByteSize: 4608 bytes/workgroup (compile time only)
; SGPRBlocks: 8
; VGPRBlocks: 6
; NumSGPRsForWavesPerEU: 65
; NumVGPRsForWavesPerEU: 25
; Occupancy: 9
; WaveLimiterHint : 1
; COMPUTE_PGM_RSRC2:SCRATCH_EN: 0
; COMPUTE_PGM_RSRC2:USER_SGPR: 6
; COMPUTE_PGM_RSRC2:TRAP_HANDLER: 0
; COMPUTE_PGM_RSRC2:TGID_X_EN: 1
; COMPUTE_PGM_RSRC2:TGID_Y_EN: 0
; COMPUTE_PGM_RSRC2:TGID_Z_EN: 0
; COMPUTE_PGM_RSRC2:TIDIG_COMP_CNT: 0
	.section	.text._ZN9rocsparseL20bsrxmvn_17_32_kernelILj25EdlldddEEvT2_20rocsparse_direction_NS_24const_host_device_scalarIT0_EES1_PKS1_PKT1_SA_S7_PKT3_PKT4_S5_PT5_21rocsparse_index_base_b,"axG",@progbits,_ZN9rocsparseL20bsrxmvn_17_32_kernelILj25EdlldddEEvT2_20rocsparse_direction_NS_24const_host_device_scalarIT0_EES1_PKS1_PKT1_SA_S7_PKT3_PKT4_S5_PT5_21rocsparse_index_base_b,comdat
	.globl	_ZN9rocsparseL20bsrxmvn_17_32_kernelILj25EdlldddEEvT2_20rocsparse_direction_NS_24const_host_device_scalarIT0_EES1_PKS1_PKT1_SA_S7_PKT3_PKT4_S5_PT5_21rocsparse_index_base_b ; -- Begin function _ZN9rocsparseL20bsrxmvn_17_32_kernelILj25EdlldddEEvT2_20rocsparse_direction_NS_24const_host_device_scalarIT0_EES1_PKS1_PKT1_SA_S7_PKT3_PKT4_S5_PT5_21rocsparse_index_base_b
	.p2align	8
	.type	_ZN9rocsparseL20bsrxmvn_17_32_kernelILj25EdlldddEEvT2_20rocsparse_direction_NS_24const_host_device_scalarIT0_EES1_PKS1_PKT1_SA_S7_PKT3_PKT4_S5_PT5_21rocsparse_index_base_b,@function
_ZN9rocsparseL20bsrxmvn_17_32_kernelILj25EdlldddEEvT2_20rocsparse_direction_NS_24const_host_device_scalarIT0_EES1_PKS1_PKT1_SA_S7_PKT3_PKT4_S5_PT5_21rocsparse_index_base_b: ; @_ZN9rocsparseL20bsrxmvn_17_32_kernelILj25EdlldddEEvT2_20rocsparse_direction_NS_24const_host_device_scalarIT0_EES1_PKS1_PKT1_SA_S7_PKT3_PKT4_S5_PT5_21rocsparse_index_base_b
; %bb.0:
	s_load_dwordx2 s[14:15], s[4:5], 0x60
	s_load_dwordx2 s[8:9], s[4:5], 0x10
	;; [unrolled: 1-line block ×3, first 2 shown]
	s_waitcnt lgkmcnt(0)
	s_bitcmp1_b32 s15, 0
	s_cselect_b64 s[10:11], -1, 0
	v_mov_b32_e32 v3, s8
	s_xor_b64 s[2:3], s[10:11], -1
	s_and_b64 vcc, exec, s[10:11]
	v_mov_b32_e32 v4, s9
	s_cbranch_vccnz .LBB152_2
; %bb.1:
	v_mov_b32_e32 v1, s8
	v_mov_b32_e32 v2, s9
	flat_load_dwordx2 v[3:4], v[1:2]
.LBB152_2:
	v_mov_b32_e32 v2, s1
	s_andn2_b64 vcc, exec, s[2:3]
	v_mov_b32_e32 v1, s0
	s_cbranch_vccnz .LBB152_4
; %bb.3:
	v_mov_b32_e32 v2, s1
	v_mov_b32_e32 v1, s0
	flat_load_dwordx2 v[1:2], v[1:2]
.LBB152_4:
	s_waitcnt vmcnt(0) lgkmcnt(0)
	v_cmp_neq_f64_e32 vcc, 0, v[3:4]
	v_cmp_neq_f64_e64 s[0:1], 1.0, v[1:2]
	s_or_b64 s[0:1], vcc, s[0:1]
	s_and_saveexec_b64 s[2:3], s[0:1]
	s_cbranch_execz .LBB152_41
; %bb.5:
	s_load_dwordx4 s[0:3], s[4:5], 0x20
	s_load_dwordx2 s[8:9], s[4:5], 0x30
	s_mov_b32 s7, 0
	s_waitcnt lgkmcnt(0)
	s_cmp_eq_u64 s[0:1], 0
	s_cbranch_scc1 .LBB152_7
; %bb.6:
	s_lshl_b64 s[6:7], s[6:7], 3
	s_add_u32 s0, s0, s6
	s_addc_u32 s1, s1, s7
	s_load_dwordx2 s[0:1], s[0:1], 0x0
	s_waitcnt lgkmcnt(0)
	s_sub_u32 s6, s0, s14
	s_subb_u32 s7, s1, 0
.LBB152_7:
	s_load_dword s10, s[4:5], 0x8
	s_load_dwordx2 s[12:13], s[4:5], 0x58
	v_mul_u32_u24_e32 v8, 0xa3e, v0
	v_mov_b32_e32 v5, 25
	v_mul_lo_u16_sdwa v5, v8, v5 dst_sel:DWORD dst_unused:UNUSED_PAD src0_sel:WORD_1 src1_sel:DWORD
	s_waitcnt lgkmcnt(0)
	s_cmp_eq_u32 s10, 1
	s_cselect_b64 s[0:1], -1, 0
	s_cmp_lg_u32 s10, 1
	s_cselect_b64 s[16:17], -1, 0
	s_lshl_b64 s[10:11], s[6:7], 3
	s_add_u32 s20, s2, s10
	s_addc_u32 s21, s3, s11
	s_add_u32 s2, s20, 8
	s_addc_u32 s3, s21, 0
	;; [unrolled: 2-line block ×3, first 2 shown]
	s_cmp_eq_u64 s[8:9], 0
	s_cselect_b32 s9, s3, s11
	s_cselect_b32 s8, s2, s10
	s_load_dwordx2 s[2:3], s[8:9], 0x0
	s_load_dwordx2 s[18:19], s[20:21], 0x0
	v_sub_u16_e32 v16, v0, v5
	v_mov_b32_e32 v7, 0
	v_lshlrev_b32_e32 v15, 3, v0
	s_waitcnt lgkmcnt(0)
	v_mov_b32_e32 v6, s3
	v_mov_b32_e32 v5, s2
	v_cmp_ge_i64_e32 vcc, s[18:19], v[5:6]
	v_mov_b32_e32 v5, 0
	v_mov_b32_e32 v6, 0
	s_cbranch_vccnz .LBB152_12
; %bb.8:
	s_load_dwordx4 s[8:11], s[4:5], 0x38
	s_load_dwordx2 s[20:21], s[4:5], 0x48
	s_mov_b32 s4, 0xffff
	s_movk_i32 s5, 0x271
	v_and_b32_sdwa v5, s4, v8 dst_sel:DWORD dst_unused:UNUSED_PAD src0_sel:DWORD src1_sel:WORD_1
	s_sub_u32 s2, s2, s14
	v_subrev_u32_e32 v6, 25, v5
	v_cmp_gt_u32_e32 vcc, s5, v0
	s_subb_u32 s3, s3, 0
	v_cndmask_b32_e32 v5, v6, v5, vcc
	s_sub_u32 s4, s18, s14
	v_cndmask_b32_e64 v6, v16, v5, s[0:1]
	s_subb_u32 s5, s19, 0
	v_lshlrev_b64 v[5:6], 3, v[6:7]
	s_mul_i32 s0, s5, 0x1388
	s_mul_hi_u32 s1, s4, 0x1388
	s_add_i32 s1, s1, s0
	s_mul_i32 s0, s4, 0x1388
	s_waitcnt lgkmcnt(0)
	v_mov_b32_e32 v8, s21
	v_add_co_u32_e32 v7, vcc, s20, v5
	s_add_u32 s0, s10, s0
	v_addc_co_u32_e32 v8, vcc, v8, v6, vcc
	s_addc_u32 s1, s11, s1
	v_mov_b32_e32 v5, s1
	v_add_co_u32_e32 v9, vcc, s0, v15
	v_addc_co_u32_e32 v10, vcc, 0, v5, vcc
	s_movk_i32 s0, 0x270
	v_cmp_lt_u32_e32 vcc, s0, v0
	v_cndmask_b32_e64 v17, 0, 1, vcc
	v_mov_b32_e32 v5, s19
	v_add_co_u32_e32 v6, vcc, s18, v17
	v_addc_co_u32_e32 v11, vcc, 0, v5, vcc
	v_subrev_co_u32_e32 v5, vcc, s14, v6
	v_subbrev_co_u32_e32 v6, vcc, 0, v11, vcc
	v_lshlrev_b64 v[5:6], 3, v[5:6]
	v_mov_b32_e32 v12, s9
	v_add_co_u32_e32 v11, vcc, s8, v5
	v_addc_co_u32_e32 v12, vcc, v12, v6, vcc
	v_mov_b32_e32 v5, 0
	v_mov_b32_e32 v14, s3
	;; [unrolled: 1-line block ×3, first 2 shown]
	s_movk_i32 s8, 0xc8
	v_mov_b32_e32 v13, s2
	s_branch .LBB152_10
.LBB152_9:                              ;   in Loop: Header=BB152_10 Depth=1
	s_or_b64 exec, exec, s[0:1]
	s_add_u32 s4, s4, 1
	s_addc_u32 s5, s5, 0
	v_cmp_lt_i64_e32 vcc, s[4:5], v[13:14]
	v_add_co_u32_e64 v11, s[0:1], 8, v11
	v_addc_co_u32_e64 v12, s[0:1], 0, v12, s[0:1]
	s_cbranch_vccz .LBB152_12
.LBB152_10:                             ; =>This Inner Loop Header: Depth=1
	v_mov_b32_e32 v19, s5
	v_add_co_u32_e32 v18, vcc, s4, v17
	v_addc_co_u32_e32 v19, vcc, 0, v19, vcc
	v_cmp_gt_i64_e32 vcc, s[2:3], v[18:19]
	s_and_saveexec_b64 s[0:1], vcc
	s_cbranch_execz .LBB152_9
; %bb.11:                               ;   in Loop: Header=BB152_10 Depth=1
	global_load_dwordx2 v[18:19], v[11:12], off
	s_waitcnt vmcnt(0)
	v_subrev_co_u32_e32 v18, vcc, s14, v18
	v_subbrev_co_u32_e32 v20, vcc, 0, v19, vcc
	v_mad_u64_u32 v[18:19], s[10:11], v18, s8, v[7:8]
	v_mad_u64_u32 v[19:20], s[10:11], v20, s8, v[19:20]
	global_load_dwordx2 v[20:21], v[9:10], off
	s_nop 0
	global_load_dwordx2 v[18:19], v[18:19], off
	v_add_co_u32_e32 v9, vcc, 0x1388, v9
	v_addc_co_u32_e32 v10, vcc, 0, v10, vcc
	s_waitcnt vmcnt(0)
	v_fma_f64 v[5:6], v[20:21], v[18:19], v[5:6]
	s_branch .LBB152_9
.LBB152_12:
	s_and_b64 vcc, exec, s[16:17]
	ds_write_b64 v15, v[5:6]
	s_waitcnt lgkmcnt(0)
	s_barrier
	s_cbranch_vccz .LBB152_24
; %bb.13:
	v_cmp_gt_u16_e32 vcc, 9, v16
	s_and_saveexec_b64 s[0:1], vcc
	s_cbranch_execz .LBB152_15
; %bb.14:
	ds_read2_b64 v[7:10], v15 offset1:16
	s_waitcnt lgkmcnt(0)
	v_add_f64 v[7:8], v[9:10], v[7:8]
	ds_write_b64 v15, v[7:8]
.LBB152_15:
	s_or_b64 exec, exec, s[0:1]
	v_cmp_gt_u16_e32 vcc, 8, v16
	s_waitcnt lgkmcnt(0)
	s_barrier
	s_and_saveexec_b64 s[0:1], vcc
	s_cbranch_execz .LBB152_17
; %bb.16:
	ds_read2_b64 v[7:10], v15 offset1:8
	s_waitcnt lgkmcnt(0)
	v_add_f64 v[7:8], v[9:10], v[7:8]
	ds_write_b64 v15, v[7:8]
.LBB152_17:
	s_or_b64 exec, exec, s[0:1]
	v_cmp_gt_u16_e32 vcc, 4, v16
	s_waitcnt lgkmcnt(0)
	s_barrier
	;; [unrolled: 12-line block ×3, first 2 shown]
	s_and_saveexec_b64 s[0:1], vcc
	s_cbranch_execz .LBB152_21
; %bb.20:
	ds_read2_b64 v[7:10], v15 offset1:2
	s_waitcnt lgkmcnt(0)
	v_add_f64 v[7:8], v[9:10], v[7:8]
	ds_write_b64 v15, v[7:8]
.LBB152_21:
	s_or_b64 exec, exec, s[0:1]
	v_mov_b32_e32 v8, v6
	v_cmp_gt_u32_e32 vcc, 25, v0
	v_mov_b32_e32 v7, v5
	s_waitcnt lgkmcnt(0)
	s_barrier
	s_and_saveexec_b64 s[0:1], vcc
	s_cbranch_execz .LBB152_23
; %bb.22:
	s_movk_i32 s2, 0xc0
	v_mad_u32_u24 v7, v0, s2, v15
	ds_read2_b64 v[7:10], v7 offset1:1
	s_waitcnt lgkmcnt(0)
	v_add_f64 v[7:8], v[7:8], v[9:10]
.LBB152_23:
	s_or_b64 exec, exec, s[0:1]
	s_branch .LBB152_36
.LBB152_24:
                                        ; implicit-def: $vgpr7_vgpr8
	s_cbranch_execz .LBB152_36
; %bb.25:
	s_movk_i32 s0, 0xe1
	v_cmp_gt_u32_e32 vcc, s0, v0
	s_and_saveexec_b64 s[0:1], vcc
	s_cbranch_execz .LBB152_27
; %bb.26:
	ds_read_b64 v[7:8], v15 offset:3200
	ds_read_b64 v[9:10], v15
	s_waitcnt lgkmcnt(0)
	v_add_f64 v[7:8], v[7:8], v[9:10]
	ds_write_b64 v15, v[7:8]
.LBB152_27:
	s_or_b64 exec, exec, s[0:1]
	s_movk_i32 s0, 0xc8
	v_cmp_gt_u32_e32 vcc, s0, v0
	s_waitcnt lgkmcnt(0)
	s_barrier
	s_and_saveexec_b64 s[0:1], vcc
	s_cbranch_execz .LBB152_29
; %bb.28:
	ds_read2_b64 v[7:10], v15 offset1:200
	s_waitcnt lgkmcnt(0)
	v_add_f64 v[7:8], v[9:10], v[7:8]
	ds_write_b64 v15, v[7:8]
.LBB152_29:
	s_or_b64 exec, exec, s[0:1]
	s_movk_i32 s0, 0x64
	v_cmp_gt_u32_e32 vcc, s0, v0
	s_waitcnt lgkmcnt(0)
	s_barrier
	s_and_saveexec_b64 s[0:1], vcc
	s_cbranch_execz .LBB152_31
; %bb.30:
	ds_read2_b64 v[7:10], v15 offset1:100
	s_waitcnt lgkmcnt(0)
	v_add_f64 v[7:8], v[9:10], v[7:8]
	ds_write_b64 v15, v[7:8]
.LBB152_31:
	s_or_b64 exec, exec, s[0:1]
	v_cmp_gt_u32_e32 vcc, 50, v0
	s_waitcnt lgkmcnt(0)
	s_barrier
	s_and_saveexec_b64 s[0:1], vcc
	s_cbranch_execz .LBB152_33
; %bb.32:
	ds_read2_b64 v[7:10], v15 offset1:50
	s_waitcnt lgkmcnt(0)
	v_add_f64 v[7:8], v[9:10], v[7:8]
	ds_write_b64 v15, v[7:8]
.LBB152_33:
	s_or_b64 exec, exec, s[0:1]
	v_cmp_gt_u32_e32 vcc, 25, v0
	s_waitcnt lgkmcnt(0)
	s_and_saveexec_b64 s[0:1], vcc
	s_cbranch_execz .LBB152_35
; %bb.34:
	ds_read2_b64 v[5:8], v15 offset1:25
	s_waitcnt lgkmcnt(0)
	v_add_f64 v[5:6], v[5:6], v[7:8]
.LBB152_35:
	s_or_b64 exec, exec, s[0:1]
	v_mov_b32_e32 v8, v6
	v_mov_b32_e32 v7, v5
.LBB152_36:
	v_cmp_gt_u32_e32 vcc, 25, v0
	s_and_b64 exec, exec, vcc
	s_cbranch_execz .LBB152_41
; %bb.37:
	v_cmp_eq_f64_e32 vcc, 0, v[1:2]
	v_mul_f64 v[3:4], v[3:4], v[7:8]
	s_mul_i32 s2, s7, 0xc8
	s_mul_hi_u32 s3, s6, 0xc8
	s_mul_i32 s4, s6, 0xc8
	s_and_saveexec_b64 s[0:1], vcc
	s_xor_b64 s[0:1], exec, s[0:1]
	s_cbranch_execz .LBB152_39
; %bb.38:
	s_add_i32 s5, s3, s2
	s_add_u32 s6, s12, s4
	s_addc_u32 s7, s13, s5
	global_store_dwordx2 v15, v[3:4], s[6:7]
                                        ; implicit-def: $vgpr15
                                        ; implicit-def: $vgpr1_vgpr2
                                        ; implicit-def: $vgpr3_vgpr4
.LBB152_39:
	s_andn2_saveexec_b64 s[0:1], s[0:1]
	s_cbranch_execz .LBB152_41
; %bb.40:
	s_add_i32 s3, s3, s2
	s_add_u32 s0, s12, s4
	s_addc_u32 s1, s13, s3
	global_load_dwordx2 v[5:6], v15, s[0:1]
	s_waitcnt vmcnt(0)
	v_fma_f64 v[0:1], v[1:2], v[5:6], v[3:4]
	global_store_dwordx2 v15, v[0:1], s[0:1]
.LBB152_41:
	s_endpgm
	.section	.rodata,"a",@progbits
	.p2align	6, 0x0
	.amdhsa_kernel _ZN9rocsparseL20bsrxmvn_17_32_kernelILj25EdlldddEEvT2_20rocsparse_direction_NS_24const_host_device_scalarIT0_EES1_PKS1_PKT1_SA_S7_PKT3_PKT4_S5_PT5_21rocsparse_index_base_b
		.amdhsa_group_segment_fixed_size 5000
		.amdhsa_private_segment_fixed_size 0
		.amdhsa_kernarg_size 104
		.amdhsa_user_sgpr_count 6
		.amdhsa_user_sgpr_private_segment_buffer 1
		.amdhsa_user_sgpr_dispatch_ptr 0
		.amdhsa_user_sgpr_queue_ptr 0
		.amdhsa_user_sgpr_kernarg_segment_ptr 1
		.amdhsa_user_sgpr_dispatch_id 0
		.amdhsa_user_sgpr_flat_scratch_init 0
		.amdhsa_user_sgpr_private_segment_size 0
		.amdhsa_uses_dynamic_stack 0
		.amdhsa_system_sgpr_private_segment_wavefront_offset 0
		.amdhsa_system_sgpr_workgroup_id_x 1
		.amdhsa_system_sgpr_workgroup_id_y 0
		.amdhsa_system_sgpr_workgroup_id_z 0
		.amdhsa_system_sgpr_workgroup_info 0
		.amdhsa_system_vgpr_workitem_id 0
		.amdhsa_next_free_vgpr 22
		.amdhsa_next_free_sgpr 22
		.amdhsa_reserve_vcc 1
		.amdhsa_reserve_flat_scratch 0
		.amdhsa_float_round_mode_32 0
		.amdhsa_float_round_mode_16_64 0
		.amdhsa_float_denorm_mode_32 3
		.amdhsa_float_denorm_mode_16_64 3
		.amdhsa_dx10_clamp 1
		.amdhsa_ieee_mode 1
		.amdhsa_fp16_overflow 0
		.amdhsa_exception_fp_ieee_invalid_op 0
		.amdhsa_exception_fp_denorm_src 0
		.amdhsa_exception_fp_ieee_div_zero 0
		.amdhsa_exception_fp_ieee_overflow 0
		.amdhsa_exception_fp_ieee_underflow 0
		.amdhsa_exception_fp_ieee_inexact 0
		.amdhsa_exception_int_div_zero 0
	.end_amdhsa_kernel
	.section	.text._ZN9rocsparseL20bsrxmvn_17_32_kernelILj25EdlldddEEvT2_20rocsparse_direction_NS_24const_host_device_scalarIT0_EES1_PKS1_PKT1_SA_S7_PKT3_PKT4_S5_PT5_21rocsparse_index_base_b,"axG",@progbits,_ZN9rocsparseL20bsrxmvn_17_32_kernelILj25EdlldddEEvT2_20rocsparse_direction_NS_24const_host_device_scalarIT0_EES1_PKS1_PKT1_SA_S7_PKT3_PKT4_S5_PT5_21rocsparse_index_base_b,comdat
.Lfunc_end152:
	.size	_ZN9rocsparseL20bsrxmvn_17_32_kernelILj25EdlldddEEvT2_20rocsparse_direction_NS_24const_host_device_scalarIT0_EES1_PKS1_PKT1_SA_S7_PKT3_PKT4_S5_PT5_21rocsparse_index_base_b, .Lfunc_end152-_ZN9rocsparseL20bsrxmvn_17_32_kernelILj25EdlldddEEvT2_20rocsparse_direction_NS_24const_host_device_scalarIT0_EES1_PKS1_PKT1_SA_S7_PKT3_PKT4_S5_PT5_21rocsparse_index_base_b
                                        ; -- End function
	.set _ZN9rocsparseL20bsrxmvn_17_32_kernelILj25EdlldddEEvT2_20rocsparse_direction_NS_24const_host_device_scalarIT0_EES1_PKS1_PKT1_SA_S7_PKT3_PKT4_S5_PT5_21rocsparse_index_base_b.num_vgpr, 22
	.set _ZN9rocsparseL20bsrxmvn_17_32_kernelILj25EdlldddEEvT2_20rocsparse_direction_NS_24const_host_device_scalarIT0_EES1_PKS1_PKT1_SA_S7_PKT3_PKT4_S5_PT5_21rocsparse_index_base_b.num_agpr, 0
	.set _ZN9rocsparseL20bsrxmvn_17_32_kernelILj25EdlldddEEvT2_20rocsparse_direction_NS_24const_host_device_scalarIT0_EES1_PKS1_PKT1_SA_S7_PKT3_PKT4_S5_PT5_21rocsparse_index_base_b.numbered_sgpr, 22
	.set _ZN9rocsparseL20bsrxmvn_17_32_kernelILj25EdlldddEEvT2_20rocsparse_direction_NS_24const_host_device_scalarIT0_EES1_PKS1_PKT1_SA_S7_PKT3_PKT4_S5_PT5_21rocsparse_index_base_b.num_named_barrier, 0
	.set _ZN9rocsparseL20bsrxmvn_17_32_kernelILj25EdlldddEEvT2_20rocsparse_direction_NS_24const_host_device_scalarIT0_EES1_PKS1_PKT1_SA_S7_PKT3_PKT4_S5_PT5_21rocsparse_index_base_b.private_seg_size, 0
	.set _ZN9rocsparseL20bsrxmvn_17_32_kernelILj25EdlldddEEvT2_20rocsparse_direction_NS_24const_host_device_scalarIT0_EES1_PKS1_PKT1_SA_S7_PKT3_PKT4_S5_PT5_21rocsparse_index_base_b.uses_vcc, 1
	.set _ZN9rocsparseL20bsrxmvn_17_32_kernelILj25EdlldddEEvT2_20rocsparse_direction_NS_24const_host_device_scalarIT0_EES1_PKS1_PKT1_SA_S7_PKT3_PKT4_S5_PT5_21rocsparse_index_base_b.uses_flat_scratch, 0
	.set _ZN9rocsparseL20bsrxmvn_17_32_kernelILj25EdlldddEEvT2_20rocsparse_direction_NS_24const_host_device_scalarIT0_EES1_PKS1_PKT1_SA_S7_PKT3_PKT4_S5_PT5_21rocsparse_index_base_b.has_dyn_sized_stack, 0
	.set _ZN9rocsparseL20bsrxmvn_17_32_kernelILj25EdlldddEEvT2_20rocsparse_direction_NS_24const_host_device_scalarIT0_EES1_PKS1_PKT1_SA_S7_PKT3_PKT4_S5_PT5_21rocsparse_index_base_b.has_recursion, 0
	.set _ZN9rocsparseL20bsrxmvn_17_32_kernelILj25EdlldddEEvT2_20rocsparse_direction_NS_24const_host_device_scalarIT0_EES1_PKS1_PKT1_SA_S7_PKT3_PKT4_S5_PT5_21rocsparse_index_base_b.has_indirect_call, 0
	.section	.AMDGPU.csdata,"",@progbits
; Kernel info:
; codeLenInByte = 1412
; TotalNumSgprs: 26
; NumVgprs: 22
; ScratchSize: 0
; MemoryBound: 1
; FloatMode: 240
; IeeeMode: 1
; LDSByteSize: 5000 bytes/workgroup (compile time only)
; SGPRBlocks: 3
; VGPRBlocks: 5
; NumSGPRsForWavesPerEU: 26
; NumVGPRsForWavesPerEU: 22
; Occupancy: 10
; WaveLimiterHint : 1
; COMPUTE_PGM_RSRC2:SCRATCH_EN: 0
; COMPUTE_PGM_RSRC2:USER_SGPR: 6
; COMPUTE_PGM_RSRC2:TRAP_HANDLER: 0
; COMPUTE_PGM_RSRC2:TGID_X_EN: 1
; COMPUTE_PGM_RSRC2:TGID_Y_EN: 0
; COMPUTE_PGM_RSRC2:TGID_Z_EN: 0
; COMPUTE_PGM_RSRC2:TIDIG_COMP_CNT: 0
	.section	.text._ZN9rocsparseL20bsrxmvn_17_32_kernelILj26EdlldddEEvT2_20rocsparse_direction_NS_24const_host_device_scalarIT0_EES1_PKS1_PKT1_SA_S7_PKT3_PKT4_S5_PT5_21rocsparse_index_base_b,"axG",@progbits,_ZN9rocsparseL20bsrxmvn_17_32_kernelILj26EdlldddEEvT2_20rocsparse_direction_NS_24const_host_device_scalarIT0_EES1_PKS1_PKT1_SA_S7_PKT3_PKT4_S5_PT5_21rocsparse_index_base_b,comdat
	.globl	_ZN9rocsparseL20bsrxmvn_17_32_kernelILj26EdlldddEEvT2_20rocsparse_direction_NS_24const_host_device_scalarIT0_EES1_PKS1_PKT1_SA_S7_PKT3_PKT4_S5_PT5_21rocsparse_index_base_b ; -- Begin function _ZN9rocsparseL20bsrxmvn_17_32_kernelILj26EdlldddEEvT2_20rocsparse_direction_NS_24const_host_device_scalarIT0_EES1_PKS1_PKT1_SA_S7_PKT3_PKT4_S5_PT5_21rocsparse_index_base_b
	.p2align	8
	.type	_ZN9rocsparseL20bsrxmvn_17_32_kernelILj26EdlldddEEvT2_20rocsparse_direction_NS_24const_host_device_scalarIT0_EES1_PKS1_PKT1_SA_S7_PKT3_PKT4_S5_PT5_21rocsparse_index_base_b,@function
_ZN9rocsparseL20bsrxmvn_17_32_kernelILj26EdlldddEEvT2_20rocsparse_direction_NS_24const_host_device_scalarIT0_EES1_PKS1_PKT1_SA_S7_PKT3_PKT4_S5_PT5_21rocsparse_index_base_b: ; @_ZN9rocsparseL20bsrxmvn_17_32_kernelILj26EdlldddEEvT2_20rocsparse_direction_NS_24const_host_device_scalarIT0_EES1_PKS1_PKT1_SA_S7_PKT3_PKT4_S5_PT5_21rocsparse_index_base_b
; %bb.0:
	s_load_dwordx2 s[14:15], s[4:5], 0x60
	s_load_dwordx2 s[8:9], s[4:5], 0x10
	;; [unrolled: 1-line block ×3, first 2 shown]
	s_waitcnt lgkmcnt(0)
	s_bitcmp1_b32 s15, 0
	s_cselect_b64 s[10:11], -1, 0
	v_mov_b32_e32 v3, s8
	s_xor_b64 s[2:3], s[10:11], -1
	s_and_b64 vcc, exec, s[10:11]
	v_mov_b32_e32 v4, s9
	s_cbranch_vccnz .LBB153_2
; %bb.1:
	v_mov_b32_e32 v1, s8
	v_mov_b32_e32 v2, s9
	flat_load_dwordx2 v[3:4], v[1:2]
.LBB153_2:
	v_mov_b32_e32 v2, s1
	s_andn2_b64 vcc, exec, s[2:3]
	v_mov_b32_e32 v1, s0
	s_cbranch_vccnz .LBB153_4
; %bb.3:
	v_mov_b32_e32 v2, s1
	v_mov_b32_e32 v1, s0
	flat_load_dwordx2 v[1:2], v[1:2]
.LBB153_4:
	s_waitcnt vmcnt(0) lgkmcnt(0)
	v_cmp_neq_f64_e32 vcc, 0, v[3:4]
	v_cmp_neq_f64_e64 s[0:1], 1.0, v[1:2]
	s_or_b64 s[0:1], vcc, s[0:1]
	s_and_saveexec_b64 s[2:3], s[0:1]
	s_cbranch_execz .LBB153_41
; %bb.5:
	s_load_dwordx4 s[0:3], s[4:5], 0x20
	s_load_dwordx2 s[8:9], s[4:5], 0x30
	s_mov_b32 s7, 0
	s_waitcnt lgkmcnt(0)
	s_cmp_eq_u64 s[0:1], 0
	s_cbranch_scc1 .LBB153_7
; %bb.6:
	s_lshl_b64 s[6:7], s[6:7], 3
	s_add_u32 s0, s0, s6
	s_addc_u32 s1, s1, s7
	s_load_dwordx2 s[0:1], s[0:1], 0x0
	s_waitcnt lgkmcnt(0)
	s_sub_u32 s6, s0, s14
	s_subb_u32 s7, s1, 0
.LBB153_7:
	s_load_dword s10, s[4:5], 0x8
	s_load_dwordx2 s[12:13], s[4:5], 0x58
	v_mul_u32_u24_e32 v8, 0x9d9, v0
	v_mov_b32_e32 v5, 26
	v_mul_lo_u16_sdwa v5, v8, v5 dst_sel:DWORD dst_unused:UNUSED_PAD src0_sel:WORD_1 src1_sel:DWORD
	s_waitcnt lgkmcnt(0)
	s_cmp_eq_u32 s10, 1
	s_cselect_b64 s[0:1], -1, 0
	s_cmp_lg_u32 s10, 1
	s_cselect_b64 s[16:17], -1, 0
	s_lshl_b64 s[10:11], s[6:7], 3
	s_add_u32 s20, s2, s10
	s_addc_u32 s21, s3, s11
	s_add_u32 s2, s20, 8
	s_addc_u32 s3, s21, 0
	;; [unrolled: 2-line block ×3, first 2 shown]
	s_cmp_eq_u64 s[8:9], 0
	s_cselect_b32 s9, s3, s11
	s_cselect_b32 s8, s2, s10
	s_load_dwordx2 s[2:3], s[8:9], 0x0
	s_load_dwordx2 s[18:19], s[20:21], 0x0
	v_sub_u16_e32 v16, v0, v5
	v_mov_b32_e32 v7, 0
	v_lshlrev_b32_e32 v15, 3, v0
	s_waitcnt lgkmcnt(0)
	v_mov_b32_e32 v6, s3
	v_mov_b32_e32 v5, s2
	v_cmp_ge_i64_e32 vcc, s[18:19], v[5:6]
	v_mov_b32_e32 v5, 0
	v_mov_b32_e32 v6, 0
	s_cbranch_vccnz .LBB153_12
; %bb.8:
	s_load_dwordx4 s[8:11], s[4:5], 0x38
	s_load_dwordx2 s[20:21], s[4:5], 0x48
	s_mov_b32 s4, 0xffff
	s_movk_i32 s5, 0x2a4
	v_and_b32_sdwa v5, s4, v8 dst_sel:DWORD dst_unused:UNUSED_PAD src0_sel:DWORD src1_sel:WORD_1
	s_sub_u32 s2, s2, s14
	v_subrev_u32_e32 v6, 26, v5
	v_cmp_gt_u32_e32 vcc, s5, v0
	s_subb_u32 s3, s3, 0
	v_cndmask_b32_e32 v5, v6, v5, vcc
	s_sub_u32 s4, s18, s14
	v_cndmask_b32_e64 v6, v16, v5, s[0:1]
	s_subb_u32 s5, s19, 0
	v_lshlrev_b64 v[5:6], 3, v[6:7]
	s_mul_i32 s0, s5, 0x1520
	s_mul_hi_u32 s1, s4, 0x1520
	s_add_i32 s1, s1, s0
	s_mul_i32 s0, s4, 0x1520
	s_waitcnt lgkmcnt(0)
	v_mov_b32_e32 v8, s21
	v_add_co_u32_e32 v7, vcc, s20, v5
	s_add_u32 s0, s10, s0
	v_addc_co_u32_e32 v8, vcc, v8, v6, vcc
	s_addc_u32 s1, s11, s1
	v_mov_b32_e32 v5, s1
	v_add_co_u32_e32 v9, vcc, s0, v15
	v_addc_co_u32_e32 v10, vcc, 0, v5, vcc
	s_movk_i32 s0, 0x2a3
	v_cmp_lt_u32_e32 vcc, s0, v0
	v_cndmask_b32_e64 v17, 0, 1, vcc
	v_mov_b32_e32 v5, s19
	v_add_co_u32_e32 v6, vcc, s18, v17
	v_addc_co_u32_e32 v11, vcc, 0, v5, vcc
	v_subrev_co_u32_e32 v5, vcc, s14, v6
	v_subbrev_co_u32_e32 v6, vcc, 0, v11, vcc
	v_lshlrev_b64 v[5:6], 3, v[5:6]
	v_mov_b32_e32 v12, s9
	v_add_co_u32_e32 v11, vcc, s8, v5
	v_addc_co_u32_e32 v12, vcc, v12, v6, vcc
	v_mov_b32_e32 v5, 0
	v_mov_b32_e32 v14, s3
	;; [unrolled: 1-line block ×3, first 2 shown]
	s_movk_i32 s8, 0xd0
	v_mov_b32_e32 v13, s2
	s_branch .LBB153_10
.LBB153_9:                              ;   in Loop: Header=BB153_10 Depth=1
	s_or_b64 exec, exec, s[0:1]
	s_add_u32 s4, s4, 1
	s_addc_u32 s5, s5, 0
	v_cmp_lt_i64_e32 vcc, s[4:5], v[13:14]
	v_add_co_u32_e64 v11, s[0:1], 8, v11
	v_addc_co_u32_e64 v12, s[0:1], 0, v12, s[0:1]
	s_cbranch_vccz .LBB153_12
.LBB153_10:                             ; =>This Inner Loop Header: Depth=1
	v_mov_b32_e32 v19, s5
	v_add_co_u32_e32 v18, vcc, s4, v17
	v_addc_co_u32_e32 v19, vcc, 0, v19, vcc
	v_cmp_gt_i64_e32 vcc, s[2:3], v[18:19]
	s_and_saveexec_b64 s[0:1], vcc
	s_cbranch_execz .LBB153_9
; %bb.11:                               ;   in Loop: Header=BB153_10 Depth=1
	global_load_dwordx2 v[18:19], v[11:12], off
	s_waitcnt vmcnt(0)
	v_subrev_co_u32_e32 v18, vcc, s14, v18
	v_subbrev_co_u32_e32 v20, vcc, 0, v19, vcc
	v_mad_u64_u32 v[18:19], s[10:11], v18, s8, v[7:8]
	v_mad_u64_u32 v[19:20], s[10:11], v20, s8, v[19:20]
	global_load_dwordx2 v[20:21], v[9:10], off
	s_nop 0
	global_load_dwordx2 v[18:19], v[18:19], off
	v_add_co_u32_e32 v9, vcc, 0x1520, v9
	v_addc_co_u32_e32 v10, vcc, 0, v10, vcc
	s_waitcnt vmcnt(0)
	v_fma_f64 v[5:6], v[20:21], v[18:19], v[5:6]
	s_branch .LBB153_9
.LBB153_12:
	s_and_b64 vcc, exec, s[16:17]
	ds_write_b64 v15, v[5:6]
	s_waitcnt lgkmcnt(0)
	s_barrier
	s_cbranch_vccz .LBB153_24
; %bb.13:
	v_cmp_gt_u16_e32 vcc, 10, v16
	s_and_saveexec_b64 s[0:1], vcc
	s_cbranch_execz .LBB153_15
; %bb.14:
	ds_read2_b64 v[7:10], v15 offset1:16
	s_waitcnt lgkmcnt(0)
	v_add_f64 v[7:8], v[9:10], v[7:8]
	ds_write_b64 v15, v[7:8]
.LBB153_15:
	s_or_b64 exec, exec, s[0:1]
	v_cmp_gt_u16_e32 vcc, 8, v16
	s_waitcnt lgkmcnt(0)
	s_barrier
	s_and_saveexec_b64 s[0:1], vcc
	s_cbranch_execz .LBB153_17
; %bb.16:
	ds_read2_b64 v[7:10], v15 offset1:8
	s_waitcnt lgkmcnt(0)
	v_add_f64 v[7:8], v[9:10], v[7:8]
	ds_write_b64 v15, v[7:8]
.LBB153_17:
	s_or_b64 exec, exec, s[0:1]
	v_cmp_gt_u16_e32 vcc, 4, v16
	s_waitcnt lgkmcnt(0)
	s_barrier
	;; [unrolled: 12-line block ×3, first 2 shown]
	s_and_saveexec_b64 s[0:1], vcc
	s_cbranch_execz .LBB153_21
; %bb.20:
	ds_read2_b64 v[7:10], v15 offset1:2
	s_waitcnt lgkmcnt(0)
	v_add_f64 v[7:8], v[9:10], v[7:8]
	ds_write_b64 v15, v[7:8]
.LBB153_21:
	s_or_b64 exec, exec, s[0:1]
	v_mov_b32_e32 v8, v6
	v_cmp_gt_u32_e32 vcc, 26, v0
	v_mov_b32_e32 v7, v5
	s_waitcnt lgkmcnt(0)
	s_barrier
	s_and_saveexec_b64 s[0:1], vcc
	s_cbranch_execz .LBB153_23
; %bb.22:
	s_movk_i32 s2, 0xc8
	v_mad_u32_u24 v7, v0, s2, v15
	ds_read_b128 v[7:10], v7
	s_waitcnt lgkmcnt(0)
	v_add_f64 v[7:8], v[7:8], v[9:10]
.LBB153_23:
	s_or_b64 exec, exec, s[0:1]
	s_branch .LBB153_36
.LBB153_24:
                                        ; implicit-def: $vgpr7_vgpr8
	s_cbranch_execz .LBB153_36
; %bb.25:
	s_movk_i32 s0, 0x104
	v_cmp_gt_u32_e32 vcc, s0, v0
	s_and_saveexec_b64 s[0:1], vcc
	s_cbranch_execz .LBB153_27
; %bb.26:
	ds_read_b64 v[7:8], v15 offset:3328
	ds_read_b64 v[9:10], v15
	s_waitcnt lgkmcnt(0)
	v_add_f64 v[7:8], v[7:8], v[9:10]
	ds_write_b64 v15, v[7:8]
.LBB153_27:
	s_or_b64 exec, exec, s[0:1]
	s_movk_i32 s0, 0xd0
	v_cmp_gt_u32_e32 vcc, s0, v0
	s_waitcnt lgkmcnt(0)
	s_barrier
	s_and_saveexec_b64 s[0:1], vcc
	s_cbranch_execz .LBB153_29
; %bb.28:
	ds_read2_b64 v[7:10], v15 offset1:208
	s_waitcnt lgkmcnt(0)
	v_add_f64 v[7:8], v[9:10], v[7:8]
	ds_write_b64 v15, v[7:8]
.LBB153_29:
	s_or_b64 exec, exec, s[0:1]
	s_movk_i32 s0, 0x68
	v_cmp_gt_u32_e32 vcc, s0, v0
	s_waitcnt lgkmcnt(0)
	s_barrier
	s_and_saveexec_b64 s[0:1], vcc
	s_cbranch_execz .LBB153_31
; %bb.30:
	ds_read2_b64 v[7:10], v15 offset1:104
	s_waitcnt lgkmcnt(0)
	v_add_f64 v[7:8], v[9:10], v[7:8]
	ds_write_b64 v15, v[7:8]
.LBB153_31:
	s_or_b64 exec, exec, s[0:1]
	v_cmp_gt_u32_e32 vcc, 52, v0
	s_waitcnt lgkmcnt(0)
	s_barrier
	s_and_saveexec_b64 s[0:1], vcc
	s_cbranch_execz .LBB153_33
; %bb.32:
	ds_read2_b64 v[7:10], v15 offset1:52
	s_waitcnt lgkmcnt(0)
	v_add_f64 v[7:8], v[9:10], v[7:8]
	ds_write_b64 v15, v[7:8]
.LBB153_33:
	s_or_b64 exec, exec, s[0:1]
	v_cmp_gt_u32_e32 vcc, 26, v0
	s_waitcnt lgkmcnt(0)
	s_and_saveexec_b64 s[0:1], vcc
	s_cbranch_execz .LBB153_35
; %bb.34:
	ds_read2_b64 v[5:8], v15 offset1:26
	s_waitcnt lgkmcnt(0)
	v_add_f64 v[5:6], v[5:6], v[7:8]
.LBB153_35:
	s_or_b64 exec, exec, s[0:1]
	v_mov_b32_e32 v8, v6
	v_mov_b32_e32 v7, v5
.LBB153_36:
	v_cmp_gt_u32_e32 vcc, 26, v0
	s_and_b64 exec, exec, vcc
	s_cbranch_execz .LBB153_41
; %bb.37:
	v_cmp_eq_f64_e32 vcc, 0, v[1:2]
	v_mul_f64 v[3:4], v[3:4], v[7:8]
	s_mul_i32 s2, s7, 0xd0
	s_mul_hi_u32 s3, s6, 0xd0
	s_mul_i32 s4, s6, 0xd0
	s_and_saveexec_b64 s[0:1], vcc
	s_xor_b64 s[0:1], exec, s[0:1]
	s_cbranch_execz .LBB153_39
; %bb.38:
	s_add_i32 s5, s3, s2
	s_add_u32 s6, s12, s4
	s_addc_u32 s7, s13, s5
	global_store_dwordx2 v15, v[3:4], s[6:7]
                                        ; implicit-def: $vgpr15
                                        ; implicit-def: $vgpr1_vgpr2
                                        ; implicit-def: $vgpr3_vgpr4
.LBB153_39:
	s_andn2_saveexec_b64 s[0:1], s[0:1]
	s_cbranch_execz .LBB153_41
; %bb.40:
	s_add_i32 s3, s3, s2
	s_add_u32 s0, s12, s4
	s_addc_u32 s1, s13, s3
	global_load_dwordx2 v[5:6], v15, s[0:1]
	s_waitcnt vmcnt(0)
	v_fma_f64 v[0:1], v[1:2], v[5:6], v[3:4]
	global_store_dwordx2 v15, v[0:1], s[0:1]
.LBB153_41:
	s_endpgm
	.section	.rodata,"a",@progbits
	.p2align	6, 0x0
	.amdhsa_kernel _ZN9rocsparseL20bsrxmvn_17_32_kernelILj26EdlldddEEvT2_20rocsparse_direction_NS_24const_host_device_scalarIT0_EES1_PKS1_PKT1_SA_S7_PKT3_PKT4_S5_PT5_21rocsparse_index_base_b
		.amdhsa_group_segment_fixed_size 5408
		.amdhsa_private_segment_fixed_size 0
		.amdhsa_kernarg_size 104
		.amdhsa_user_sgpr_count 6
		.amdhsa_user_sgpr_private_segment_buffer 1
		.amdhsa_user_sgpr_dispatch_ptr 0
		.amdhsa_user_sgpr_queue_ptr 0
		.amdhsa_user_sgpr_kernarg_segment_ptr 1
		.amdhsa_user_sgpr_dispatch_id 0
		.amdhsa_user_sgpr_flat_scratch_init 0
		.amdhsa_user_sgpr_private_segment_size 0
		.amdhsa_uses_dynamic_stack 0
		.amdhsa_system_sgpr_private_segment_wavefront_offset 0
		.amdhsa_system_sgpr_workgroup_id_x 1
		.amdhsa_system_sgpr_workgroup_id_y 0
		.amdhsa_system_sgpr_workgroup_id_z 0
		.amdhsa_system_sgpr_workgroup_info 0
		.amdhsa_system_vgpr_workitem_id 0
		.amdhsa_next_free_vgpr 25
		.amdhsa_next_free_sgpr 61
		.amdhsa_reserve_vcc 1
		.amdhsa_reserve_flat_scratch 0
		.amdhsa_float_round_mode_32 0
		.amdhsa_float_round_mode_16_64 0
		.amdhsa_float_denorm_mode_32 3
		.amdhsa_float_denorm_mode_16_64 3
		.amdhsa_dx10_clamp 1
		.amdhsa_ieee_mode 1
		.amdhsa_fp16_overflow 0
		.amdhsa_exception_fp_ieee_invalid_op 0
		.amdhsa_exception_fp_denorm_src 0
		.amdhsa_exception_fp_ieee_div_zero 0
		.amdhsa_exception_fp_ieee_overflow 0
		.amdhsa_exception_fp_ieee_underflow 0
		.amdhsa_exception_fp_ieee_inexact 0
		.amdhsa_exception_int_div_zero 0
	.end_amdhsa_kernel
	.section	.text._ZN9rocsparseL20bsrxmvn_17_32_kernelILj26EdlldddEEvT2_20rocsparse_direction_NS_24const_host_device_scalarIT0_EES1_PKS1_PKT1_SA_S7_PKT3_PKT4_S5_PT5_21rocsparse_index_base_b,"axG",@progbits,_ZN9rocsparseL20bsrxmvn_17_32_kernelILj26EdlldddEEvT2_20rocsparse_direction_NS_24const_host_device_scalarIT0_EES1_PKS1_PKT1_SA_S7_PKT3_PKT4_S5_PT5_21rocsparse_index_base_b,comdat
.Lfunc_end153:
	.size	_ZN9rocsparseL20bsrxmvn_17_32_kernelILj26EdlldddEEvT2_20rocsparse_direction_NS_24const_host_device_scalarIT0_EES1_PKS1_PKT1_SA_S7_PKT3_PKT4_S5_PT5_21rocsparse_index_base_b, .Lfunc_end153-_ZN9rocsparseL20bsrxmvn_17_32_kernelILj26EdlldddEEvT2_20rocsparse_direction_NS_24const_host_device_scalarIT0_EES1_PKS1_PKT1_SA_S7_PKT3_PKT4_S5_PT5_21rocsparse_index_base_b
                                        ; -- End function
	.set _ZN9rocsparseL20bsrxmvn_17_32_kernelILj26EdlldddEEvT2_20rocsparse_direction_NS_24const_host_device_scalarIT0_EES1_PKS1_PKT1_SA_S7_PKT3_PKT4_S5_PT5_21rocsparse_index_base_b.num_vgpr, 22
	.set _ZN9rocsparseL20bsrxmvn_17_32_kernelILj26EdlldddEEvT2_20rocsparse_direction_NS_24const_host_device_scalarIT0_EES1_PKS1_PKT1_SA_S7_PKT3_PKT4_S5_PT5_21rocsparse_index_base_b.num_agpr, 0
	.set _ZN9rocsparseL20bsrxmvn_17_32_kernelILj26EdlldddEEvT2_20rocsparse_direction_NS_24const_host_device_scalarIT0_EES1_PKS1_PKT1_SA_S7_PKT3_PKT4_S5_PT5_21rocsparse_index_base_b.numbered_sgpr, 22
	.set _ZN9rocsparseL20bsrxmvn_17_32_kernelILj26EdlldddEEvT2_20rocsparse_direction_NS_24const_host_device_scalarIT0_EES1_PKS1_PKT1_SA_S7_PKT3_PKT4_S5_PT5_21rocsparse_index_base_b.num_named_barrier, 0
	.set _ZN9rocsparseL20bsrxmvn_17_32_kernelILj26EdlldddEEvT2_20rocsparse_direction_NS_24const_host_device_scalarIT0_EES1_PKS1_PKT1_SA_S7_PKT3_PKT4_S5_PT5_21rocsparse_index_base_b.private_seg_size, 0
	.set _ZN9rocsparseL20bsrxmvn_17_32_kernelILj26EdlldddEEvT2_20rocsparse_direction_NS_24const_host_device_scalarIT0_EES1_PKS1_PKT1_SA_S7_PKT3_PKT4_S5_PT5_21rocsparse_index_base_b.uses_vcc, 1
	.set _ZN9rocsparseL20bsrxmvn_17_32_kernelILj26EdlldddEEvT2_20rocsparse_direction_NS_24const_host_device_scalarIT0_EES1_PKS1_PKT1_SA_S7_PKT3_PKT4_S5_PT5_21rocsparse_index_base_b.uses_flat_scratch, 0
	.set _ZN9rocsparseL20bsrxmvn_17_32_kernelILj26EdlldddEEvT2_20rocsparse_direction_NS_24const_host_device_scalarIT0_EES1_PKS1_PKT1_SA_S7_PKT3_PKT4_S5_PT5_21rocsparse_index_base_b.has_dyn_sized_stack, 0
	.set _ZN9rocsparseL20bsrxmvn_17_32_kernelILj26EdlldddEEvT2_20rocsparse_direction_NS_24const_host_device_scalarIT0_EES1_PKS1_PKT1_SA_S7_PKT3_PKT4_S5_PT5_21rocsparse_index_base_b.has_recursion, 0
	.set _ZN9rocsparseL20bsrxmvn_17_32_kernelILj26EdlldddEEvT2_20rocsparse_direction_NS_24const_host_device_scalarIT0_EES1_PKS1_PKT1_SA_S7_PKT3_PKT4_S5_PT5_21rocsparse_index_base_b.has_indirect_call, 0
	.section	.AMDGPU.csdata,"",@progbits
; Kernel info:
; codeLenInByte = 1412
; TotalNumSgprs: 26
; NumVgprs: 22
; ScratchSize: 0
; MemoryBound: 1
; FloatMode: 240
; IeeeMode: 1
; LDSByteSize: 5408 bytes/workgroup (compile time only)
; SGPRBlocks: 8
; VGPRBlocks: 6
; NumSGPRsForWavesPerEU: 65
; NumVGPRsForWavesPerEU: 25
; Occupancy: 9
; WaveLimiterHint : 1
; COMPUTE_PGM_RSRC2:SCRATCH_EN: 0
; COMPUTE_PGM_RSRC2:USER_SGPR: 6
; COMPUTE_PGM_RSRC2:TRAP_HANDLER: 0
; COMPUTE_PGM_RSRC2:TGID_X_EN: 1
; COMPUTE_PGM_RSRC2:TGID_Y_EN: 0
; COMPUTE_PGM_RSRC2:TGID_Z_EN: 0
; COMPUTE_PGM_RSRC2:TIDIG_COMP_CNT: 0
	.section	.text._ZN9rocsparseL20bsrxmvn_17_32_kernelILj27EdlldddEEvT2_20rocsparse_direction_NS_24const_host_device_scalarIT0_EES1_PKS1_PKT1_SA_S7_PKT3_PKT4_S5_PT5_21rocsparse_index_base_b,"axG",@progbits,_ZN9rocsparseL20bsrxmvn_17_32_kernelILj27EdlldddEEvT2_20rocsparse_direction_NS_24const_host_device_scalarIT0_EES1_PKS1_PKT1_SA_S7_PKT3_PKT4_S5_PT5_21rocsparse_index_base_b,comdat
	.globl	_ZN9rocsparseL20bsrxmvn_17_32_kernelILj27EdlldddEEvT2_20rocsparse_direction_NS_24const_host_device_scalarIT0_EES1_PKS1_PKT1_SA_S7_PKT3_PKT4_S5_PT5_21rocsparse_index_base_b ; -- Begin function _ZN9rocsparseL20bsrxmvn_17_32_kernelILj27EdlldddEEvT2_20rocsparse_direction_NS_24const_host_device_scalarIT0_EES1_PKS1_PKT1_SA_S7_PKT3_PKT4_S5_PT5_21rocsparse_index_base_b
	.p2align	8
	.type	_ZN9rocsparseL20bsrxmvn_17_32_kernelILj27EdlldddEEvT2_20rocsparse_direction_NS_24const_host_device_scalarIT0_EES1_PKS1_PKT1_SA_S7_PKT3_PKT4_S5_PT5_21rocsparse_index_base_b,@function
_ZN9rocsparseL20bsrxmvn_17_32_kernelILj27EdlldddEEvT2_20rocsparse_direction_NS_24const_host_device_scalarIT0_EES1_PKS1_PKT1_SA_S7_PKT3_PKT4_S5_PT5_21rocsparse_index_base_b: ; @_ZN9rocsparseL20bsrxmvn_17_32_kernelILj27EdlldddEEvT2_20rocsparse_direction_NS_24const_host_device_scalarIT0_EES1_PKS1_PKT1_SA_S7_PKT3_PKT4_S5_PT5_21rocsparse_index_base_b
; %bb.0:
	s_load_dwordx2 s[14:15], s[4:5], 0x60
	s_load_dwordx2 s[8:9], s[4:5], 0x10
	;; [unrolled: 1-line block ×3, first 2 shown]
	s_waitcnt lgkmcnt(0)
	s_bitcmp1_b32 s15, 0
	s_cselect_b64 s[10:11], -1, 0
	v_mov_b32_e32 v3, s8
	s_xor_b64 s[2:3], s[10:11], -1
	s_and_b64 vcc, exec, s[10:11]
	v_mov_b32_e32 v4, s9
	s_cbranch_vccnz .LBB154_2
; %bb.1:
	v_mov_b32_e32 v1, s8
	v_mov_b32_e32 v2, s9
	flat_load_dwordx2 v[3:4], v[1:2]
.LBB154_2:
	v_mov_b32_e32 v2, s1
	s_andn2_b64 vcc, exec, s[2:3]
	v_mov_b32_e32 v1, s0
	s_cbranch_vccnz .LBB154_4
; %bb.3:
	v_mov_b32_e32 v2, s1
	v_mov_b32_e32 v1, s0
	flat_load_dwordx2 v[1:2], v[1:2]
.LBB154_4:
	s_waitcnt vmcnt(0) lgkmcnt(0)
	v_cmp_neq_f64_e32 vcc, 0, v[3:4]
	v_cmp_neq_f64_e64 s[0:1], 1.0, v[1:2]
	s_or_b64 s[0:1], vcc, s[0:1]
	s_and_saveexec_b64 s[2:3], s[0:1]
	s_cbranch_execz .LBB154_41
; %bb.5:
	s_load_dwordx4 s[0:3], s[4:5], 0x20
	s_load_dwordx2 s[8:9], s[4:5], 0x30
	s_mov_b32 s7, 0
	s_waitcnt lgkmcnt(0)
	s_cmp_eq_u64 s[0:1], 0
	s_cbranch_scc1 .LBB154_7
; %bb.6:
	s_lshl_b64 s[6:7], s[6:7], 3
	s_add_u32 s0, s0, s6
	s_addc_u32 s1, s1, s7
	s_load_dwordx2 s[0:1], s[0:1], 0x0
	s_waitcnt lgkmcnt(0)
	s_sub_u32 s6, s0, s14
	s_subb_u32 s7, s1, 0
.LBB154_7:
	s_load_dword s10, s[4:5], 0x8
	s_load_dwordx2 s[12:13], s[4:5], 0x58
	v_mul_u32_u24_e32 v8, 0x97c, v0
	v_mov_b32_e32 v5, 27
	v_mul_lo_u16_sdwa v5, v8, v5 dst_sel:DWORD dst_unused:UNUSED_PAD src0_sel:WORD_1 src1_sel:DWORD
	s_waitcnt lgkmcnt(0)
	s_cmp_eq_u32 s10, 1
	s_cselect_b64 s[0:1], -1, 0
	s_cmp_lg_u32 s10, 1
	s_cselect_b64 s[16:17], -1, 0
	s_lshl_b64 s[10:11], s[6:7], 3
	s_add_u32 s20, s2, s10
	s_addc_u32 s21, s3, s11
	s_add_u32 s2, s20, 8
	s_addc_u32 s3, s21, 0
	;; [unrolled: 2-line block ×3, first 2 shown]
	s_cmp_eq_u64 s[8:9], 0
	s_cselect_b32 s9, s3, s11
	s_cselect_b32 s8, s2, s10
	s_load_dwordx2 s[2:3], s[8:9], 0x0
	s_load_dwordx2 s[18:19], s[20:21], 0x0
	v_sub_u16_e32 v16, v0, v5
	v_mov_b32_e32 v7, 0
	v_lshlrev_b32_e32 v15, 3, v0
	s_waitcnt lgkmcnt(0)
	v_mov_b32_e32 v6, s3
	v_mov_b32_e32 v5, s2
	v_cmp_ge_i64_e32 vcc, s[18:19], v[5:6]
	v_mov_b32_e32 v5, 0
	v_mov_b32_e32 v6, 0
	s_cbranch_vccnz .LBB154_12
; %bb.8:
	s_load_dwordx4 s[8:11], s[4:5], 0x38
	s_load_dwordx2 s[20:21], s[4:5], 0x48
	s_mov_b32 s4, 0xffff
	s_movk_i32 s5, 0x2d9
	v_and_b32_sdwa v5, s4, v8 dst_sel:DWORD dst_unused:UNUSED_PAD src0_sel:DWORD src1_sel:WORD_1
	s_sub_u32 s2, s2, s14
	v_subrev_u32_e32 v6, 27, v5
	v_cmp_gt_u32_e32 vcc, s5, v0
	s_subb_u32 s3, s3, 0
	v_cndmask_b32_e32 v5, v6, v5, vcc
	s_sub_u32 s4, s18, s14
	v_cndmask_b32_e64 v6, v16, v5, s[0:1]
	s_subb_u32 s5, s19, 0
	v_lshlrev_b64 v[5:6], 3, v[6:7]
	s_mul_i32 s0, s5, 0x16c8
	s_mul_hi_u32 s1, s4, 0x16c8
	s_add_i32 s1, s1, s0
	s_mul_i32 s0, s4, 0x16c8
	s_waitcnt lgkmcnt(0)
	v_mov_b32_e32 v8, s21
	v_add_co_u32_e32 v7, vcc, s20, v5
	s_add_u32 s0, s10, s0
	v_addc_co_u32_e32 v8, vcc, v8, v6, vcc
	s_addc_u32 s1, s11, s1
	v_mov_b32_e32 v5, s1
	v_add_co_u32_e32 v9, vcc, s0, v15
	v_addc_co_u32_e32 v10, vcc, 0, v5, vcc
	s_movk_i32 s0, 0x2d8
	v_cmp_lt_u32_e32 vcc, s0, v0
	v_cndmask_b32_e64 v17, 0, 1, vcc
	v_mov_b32_e32 v5, s19
	v_add_co_u32_e32 v6, vcc, s18, v17
	v_addc_co_u32_e32 v11, vcc, 0, v5, vcc
	v_subrev_co_u32_e32 v5, vcc, s14, v6
	v_subbrev_co_u32_e32 v6, vcc, 0, v11, vcc
	v_lshlrev_b64 v[5:6], 3, v[5:6]
	v_mov_b32_e32 v12, s9
	v_add_co_u32_e32 v11, vcc, s8, v5
	v_addc_co_u32_e32 v12, vcc, v12, v6, vcc
	v_mov_b32_e32 v5, 0
	v_mov_b32_e32 v14, s3
	;; [unrolled: 1-line block ×3, first 2 shown]
	s_movk_i32 s8, 0xd8
	v_mov_b32_e32 v13, s2
	s_branch .LBB154_10
.LBB154_9:                              ;   in Loop: Header=BB154_10 Depth=1
	s_or_b64 exec, exec, s[0:1]
	s_add_u32 s4, s4, 1
	s_addc_u32 s5, s5, 0
	v_cmp_lt_i64_e32 vcc, s[4:5], v[13:14]
	v_add_co_u32_e64 v11, s[0:1], 8, v11
	v_addc_co_u32_e64 v12, s[0:1], 0, v12, s[0:1]
	s_cbranch_vccz .LBB154_12
.LBB154_10:                             ; =>This Inner Loop Header: Depth=1
	v_mov_b32_e32 v19, s5
	v_add_co_u32_e32 v18, vcc, s4, v17
	v_addc_co_u32_e32 v19, vcc, 0, v19, vcc
	v_cmp_gt_i64_e32 vcc, s[2:3], v[18:19]
	s_and_saveexec_b64 s[0:1], vcc
	s_cbranch_execz .LBB154_9
; %bb.11:                               ;   in Loop: Header=BB154_10 Depth=1
	global_load_dwordx2 v[18:19], v[11:12], off
	s_waitcnt vmcnt(0)
	v_subrev_co_u32_e32 v18, vcc, s14, v18
	v_subbrev_co_u32_e32 v20, vcc, 0, v19, vcc
	v_mad_u64_u32 v[18:19], s[10:11], v18, s8, v[7:8]
	v_mad_u64_u32 v[19:20], s[10:11], v20, s8, v[19:20]
	global_load_dwordx2 v[20:21], v[9:10], off
	s_nop 0
	global_load_dwordx2 v[18:19], v[18:19], off
	v_add_co_u32_e32 v9, vcc, 0x16c8, v9
	v_addc_co_u32_e32 v10, vcc, 0, v10, vcc
	s_waitcnt vmcnt(0)
	v_fma_f64 v[5:6], v[20:21], v[18:19], v[5:6]
	s_branch .LBB154_9
.LBB154_12:
	s_and_b64 vcc, exec, s[16:17]
	ds_write_b64 v15, v[5:6]
	s_waitcnt lgkmcnt(0)
	s_barrier
	s_cbranch_vccz .LBB154_24
; %bb.13:
	v_cmp_gt_u16_e32 vcc, 11, v16
	s_and_saveexec_b64 s[0:1], vcc
	s_cbranch_execz .LBB154_15
; %bb.14:
	ds_read2_b64 v[7:10], v15 offset1:16
	s_waitcnt lgkmcnt(0)
	v_add_f64 v[7:8], v[9:10], v[7:8]
	ds_write_b64 v15, v[7:8]
.LBB154_15:
	s_or_b64 exec, exec, s[0:1]
	v_cmp_gt_u16_e32 vcc, 8, v16
	s_waitcnt lgkmcnt(0)
	s_barrier
	s_and_saveexec_b64 s[0:1], vcc
	s_cbranch_execz .LBB154_17
; %bb.16:
	ds_read2_b64 v[7:10], v15 offset1:8
	s_waitcnt lgkmcnt(0)
	v_add_f64 v[7:8], v[9:10], v[7:8]
	ds_write_b64 v15, v[7:8]
.LBB154_17:
	s_or_b64 exec, exec, s[0:1]
	v_cmp_gt_u16_e32 vcc, 4, v16
	s_waitcnt lgkmcnt(0)
	s_barrier
	;; [unrolled: 12-line block ×3, first 2 shown]
	s_and_saveexec_b64 s[0:1], vcc
	s_cbranch_execz .LBB154_21
; %bb.20:
	ds_read2_b64 v[7:10], v15 offset1:2
	s_waitcnt lgkmcnt(0)
	v_add_f64 v[7:8], v[9:10], v[7:8]
	ds_write_b64 v15, v[7:8]
.LBB154_21:
	s_or_b64 exec, exec, s[0:1]
	v_mov_b32_e32 v8, v6
	v_cmp_gt_u32_e32 vcc, 27, v0
	v_mov_b32_e32 v7, v5
	s_waitcnt lgkmcnt(0)
	s_barrier
	s_and_saveexec_b64 s[0:1], vcc
	s_cbranch_execz .LBB154_23
; %bb.22:
	s_movk_i32 s2, 0xd0
	v_mad_u32_u24 v7, v0, s2, v15
	ds_read2_b64 v[7:10], v7 offset1:1
	s_waitcnt lgkmcnt(0)
	v_add_f64 v[7:8], v[7:8], v[9:10]
.LBB154_23:
	s_or_b64 exec, exec, s[0:1]
	s_branch .LBB154_36
.LBB154_24:
                                        ; implicit-def: $vgpr7_vgpr8
	s_cbranch_execz .LBB154_36
; %bb.25:
	s_movk_i32 s0, 0x129
	v_cmp_gt_u32_e32 vcc, s0, v0
	s_and_saveexec_b64 s[0:1], vcc
	s_cbranch_execz .LBB154_27
; %bb.26:
	ds_read_b64 v[7:8], v15 offset:3456
	ds_read_b64 v[9:10], v15
	s_waitcnt lgkmcnt(0)
	v_add_f64 v[7:8], v[7:8], v[9:10]
	ds_write_b64 v15, v[7:8]
.LBB154_27:
	s_or_b64 exec, exec, s[0:1]
	s_movk_i32 s0, 0xd8
	v_cmp_gt_u32_e32 vcc, s0, v0
	s_waitcnt lgkmcnt(0)
	s_barrier
	s_and_saveexec_b64 s[0:1], vcc
	s_cbranch_execz .LBB154_29
; %bb.28:
	ds_read2_b64 v[7:10], v15 offset1:216
	s_waitcnt lgkmcnt(0)
	v_add_f64 v[7:8], v[9:10], v[7:8]
	ds_write_b64 v15, v[7:8]
.LBB154_29:
	s_or_b64 exec, exec, s[0:1]
	s_movk_i32 s0, 0x6c
	v_cmp_gt_u32_e32 vcc, s0, v0
	s_waitcnt lgkmcnt(0)
	s_barrier
	s_and_saveexec_b64 s[0:1], vcc
	s_cbranch_execz .LBB154_31
; %bb.30:
	ds_read2_b64 v[7:10], v15 offset1:108
	s_waitcnt lgkmcnt(0)
	v_add_f64 v[7:8], v[9:10], v[7:8]
	ds_write_b64 v15, v[7:8]
.LBB154_31:
	s_or_b64 exec, exec, s[0:1]
	v_cmp_gt_u32_e32 vcc, 54, v0
	s_waitcnt lgkmcnt(0)
	s_barrier
	s_and_saveexec_b64 s[0:1], vcc
	s_cbranch_execz .LBB154_33
; %bb.32:
	ds_read2_b64 v[7:10], v15 offset1:54
	s_waitcnt lgkmcnt(0)
	v_add_f64 v[7:8], v[9:10], v[7:8]
	ds_write_b64 v15, v[7:8]
.LBB154_33:
	s_or_b64 exec, exec, s[0:1]
	v_cmp_gt_u32_e32 vcc, 27, v0
	s_waitcnt lgkmcnt(0)
	s_and_saveexec_b64 s[0:1], vcc
	s_cbranch_execz .LBB154_35
; %bb.34:
	ds_read2_b64 v[5:8], v15 offset1:27
	s_waitcnt lgkmcnt(0)
	v_add_f64 v[5:6], v[5:6], v[7:8]
.LBB154_35:
	s_or_b64 exec, exec, s[0:1]
	v_mov_b32_e32 v8, v6
	v_mov_b32_e32 v7, v5
.LBB154_36:
	v_cmp_gt_u32_e32 vcc, 27, v0
	s_and_b64 exec, exec, vcc
	s_cbranch_execz .LBB154_41
; %bb.37:
	v_cmp_eq_f64_e32 vcc, 0, v[1:2]
	v_mul_f64 v[3:4], v[3:4], v[7:8]
	s_mul_i32 s2, s7, 0xd8
	s_mul_hi_u32 s3, s6, 0xd8
	s_mul_i32 s4, s6, 0xd8
	s_and_saveexec_b64 s[0:1], vcc
	s_xor_b64 s[0:1], exec, s[0:1]
	s_cbranch_execz .LBB154_39
; %bb.38:
	s_add_i32 s5, s3, s2
	s_add_u32 s6, s12, s4
	s_addc_u32 s7, s13, s5
	global_store_dwordx2 v15, v[3:4], s[6:7]
                                        ; implicit-def: $vgpr15
                                        ; implicit-def: $vgpr1_vgpr2
                                        ; implicit-def: $vgpr3_vgpr4
.LBB154_39:
	s_andn2_saveexec_b64 s[0:1], s[0:1]
	s_cbranch_execz .LBB154_41
; %bb.40:
	s_add_i32 s3, s3, s2
	s_add_u32 s0, s12, s4
	s_addc_u32 s1, s13, s3
	global_load_dwordx2 v[5:6], v15, s[0:1]
	s_waitcnt vmcnt(0)
	v_fma_f64 v[0:1], v[1:2], v[5:6], v[3:4]
	global_store_dwordx2 v15, v[0:1], s[0:1]
.LBB154_41:
	s_endpgm
	.section	.rodata,"a",@progbits
	.p2align	6, 0x0
	.amdhsa_kernel _ZN9rocsparseL20bsrxmvn_17_32_kernelILj27EdlldddEEvT2_20rocsparse_direction_NS_24const_host_device_scalarIT0_EES1_PKS1_PKT1_SA_S7_PKT3_PKT4_S5_PT5_21rocsparse_index_base_b
		.amdhsa_group_segment_fixed_size 5832
		.amdhsa_private_segment_fixed_size 0
		.amdhsa_kernarg_size 104
		.amdhsa_user_sgpr_count 6
		.amdhsa_user_sgpr_private_segment_buffer 1
		.amdhsa_user_sgpr_dispatch_ptr 0
		.amdhsa_user_sgpr_queue_ptr 0
		.amdhsa_user_sgpr_kernarg_segment_ptr 1
		.amdhsa_user_sgpr_dispatch_id 0
		.amdhsa_user_sgpr_flat_scratch_init 0
		.amdhsa_user_sgpr_private_segment_size 0
		.amdhsa_uses_dynamic_stack 0
		.amdhsa_system_sgpr_private_segment_wavefront_offset 0
		.amdhsa_system_sgpr_workgroup_id_x 1
		.amdhsa_system_sgpr_workgroup_id_y 0
		.amdhsa_system_sgpr_workgroup_id_z 0
		.amdhsa_system_sgpr_workgroup_info 0
		.amdhsa_system_vgpr_workitem_id 0
		.amdhsa_next_free_vgpr 25
		.amdhsa_next_free_sgpr 61
		.amdhsa_reserve_vcc 1
		.amdhsa_reserve_flat_scratch 0
		.amdhsa_float_round_mode_32 0
		.amdhsa_float_round_mode_16_64 0
		.amdhsa_float_denorm_mode_32 3
		.amdhsa_float_denorm_mode_16_64 3
		.amdhsa_dx10_clamp 1
		.amdhsa_ieee_mode 1
		.amdhsa_fp16_overflow 0
		.amdhsa_exception_fp_ieee_invalid_op 0
		.amdhsa_exception_fp_denorm_src 0
		.amdhsa_exception_fp_ieee_div_zero 0
		.amdhsa_exception_fp_ieee_overflow 0
		.amdhsa_exception_fp_ieee_underflow 0
		.amdhsa_exception_fp_ieee_inexact 0
		.amdhsa_exception_int_div_zero 0
	.end_amdhsa_kernel
	.section	.text._ZN9rocsparseL20bsrxmvn_17_32_kernelILj27EdlldddEEvT2_20rocsparse_direction_NS_24const_host_device_scalarIT0_EES1_PKS1_PKT1_SA_S7_PKT3_PKT4_S5_PT5_21rocsparse_index_base_b,"axG",@progbits,_ZN9rocsparseL20bsrxmvn_17_32_kernelILj27EdlldddEEvT2_20rocsparse_direction_NS_24const_host_device_scalarIT0_EES1_PKS1_PKT1_SA_S7_PKT3_PKT4_S5_PT5_21rocsparse_index_base_b,comdat
.Lfunc_end154:
	.size	_ZN9rocsparseL20bsrxmvn_17_32_kernelILj27EdlldddEEvT2_20rocsparse_direction_NS_24const_host_device_scalarIT0_EES1_PKS1_PKT1_SA_S7_PKT3_PKT4_S5_PT5_21rocsparse_index_base_b, .Lfunc_end154-_ZN9rocsparseL20bsrxmvn_17_32_kernelILj27EdlldddEEvT2_20rocsparse_direction_NS_24const_host_device_scalarIT0_EES1_PKS1_PKT1_SA_S7_PKT3_PKT4_S5_PT5_21rocsparse_index_base_b
                                        ; -- End function
	.set _ZN9rocsparseL20bsrxmvn_17_32_kernelILj27EdlldddEEvT2_20rocsparse_direction_NS_24const_host_device_scalarIT0_EES1_PKS1_PKT1_SA_S7_PKT3_PKT4_S5_PT5_21rocsparse_index_base_b.num_vgpr, 22
	.set _ZN9rocsparseL20bsrxmvn_17_32_kernelILj27EdlldddEEvT2_20rocsparse_direction_NS_24const_host_device_scalarIT0_EES1_PKS1_PKT1_SA_S7_PKT3_PKT4_S5_PT5_21rocsparse_index_base_b.num_agpr, 0
	.set _ZN9rocsparseL20bsrxmvn_17_32_kernelILj27EdlldddEEvT2_20rocsparse_direction_NS_24const_host_device_scalarIT0_EES1_PKS1_PKT1_SA_S7_PKT3_PKT4_S5_PT5_21rocsparse_index_base_b.numbered_sgpr, 22
	.set _ZN9rocsparseL20bsrxmvn_17_32_kernelILj27EdlldddEEvT2_20rocsparse_direction_NS_24const_host_device_scalarIT0_EES1_PKS1_PKT1_SA_S7_PKT3_PKT4_S5_PT5_21rocsparse_index_base_b.num_named_barrier, 0
	.set _ZN9rocsparseL20bsrxmvn_17_32_kernelILj27EdlldddEEvT2_20rocsparse_direction_NS_24const_host_device_scalarIT0_EES1_PKS1_PKT1_SA_S7_PKT3_PKT4_S5_PT5_21rocsparse_index_base_b.private_seg_size, 0
	.set _ZN9rocsparseL20bsrxmvn_17_32_kernelILj27EdlldddEEvT2_20rocsparse_direction_NS_24const_host_device_scalarIT0_EES1_PKS1_PKT1_SA_S7_PKT3_PKT4_S5_PT5_21rocsparse_index_base_b.uses_vcc, 1
	.set _ZN9rocsparseL20bsrxmvn_17_32_kernelILj27EdlldddEEvT2_20rocsparse_direction_NS_24const_host_device_scalarIT0_EES1_PKS1_PKT1_SA_S7_PKT3_PKT4_S5_PT5_21rocsparse_index_base_b.uses_flat_scratch, 0
	.set _ZN9rocsparseL20bsrxmvn_17_32_kernelILj27EdlldddEEvT2_20rocsparse_direction_NS_24const_host_device_scalarIT0_EES1_PKS1_PKT1_SA_S7_PKT3_PKT4_S5_PT5_21rocsparse_index_base_b.has_dyn_sized_stack, 0
	.set _ZN9rocsparseL20bsrxmvn_17_32_kernelILj27EdlldddEEvT2_20rocsparse_direction_NS_24const_host_device_scalarIT0_EES1_PKS1_PKT1_SA_S7_PKT3_PKT4_S5_PT5_21rocsparse_index_base_b.has_recursion, 0
	.set _ZN9rocsparseL20bsrxmvn_17_32_kernelILj27EdlldddEEvT2_20rocsparse_direction_NS_24const_host_device_scalarIT0_EES1_PKS1_PKT1_SA_S7_PKT3_PKT4_S5_PT5_21rocsparse_index_base_b.has_indirect_call, 0
	.section	.AMDGPU.csdata,"",@progbits
; Kernel info:
; codeLenInByte = 1412
; TotalNumSgprs: 26
; NumVgprs: 22
; ScratchSize: 0
; MemoryBound: 1
; FloatMode: 240
; IeeeMode: 1
; LDSByteSize: 5832 bytes/workgroup (compile time only)
; SGPRBlocks: 8
; VGPRBlocks: 6
; NumSGPRsForWavesPerEU: 65
; NumVGPRsForWavesPerEU: 25
; Occupancy: 9
; WaveLimiterHint : 1
; COMPUTE_PGM_RSRC2:SCRATCH_EN: 0
; COMPUTE_PGM_RSRC2:USER_SGPR: 6
; COMPUTE_PGM_RSRC2:TRAP_HANDLER: 0
; COMPUTE_PGM_RSRC2:TGID_X_EN: 1
; COMPUTE_PGM_RSRC2:TGID_Y_EN: 0
; COMPUTE_PGM_RSRC2:TGID_Z_EN: 0
; COMPUTE_PGM_RSRC2:TIDIG_COMP_CNT: 0
	.section	.text._ZN9rocsparseL20bsrxmvn_17_32_kernelILj28EdlldddEEvT2_20rocsparse_direction_NS_24const_host_device_scalarIT0_EES1_PKS1_PKT1_SA_S7_PKT3_PKT4_S5_PT5_21rocsparse_index_base_b,"axG",@progbits,_ZN9rocsparseL20bsrxmvn_17_32_kernelILj28EdlldddEEvT2_20rocsparse_direction_NS_24const_host_device_scalarIT0_EES1_PKS1_PKT1_SA_S7_PKT3_PKT4_S5_PT5_21rocsparse_index_base_b,comdat
	.globl	_ZN9rocsparseL20bsrxmvn_17_32_kernelILj28EdlldddEEvT2_20rocsparse_direction_NS_24const_host_device_scalarIT0_EES1_PKS1_PKT1_SA_S7_PKT3_PKT4_S5_PT5_21rocsparse_index_base_b ; -- Begin function _ZN9rocsparseL20bsrxmvn_17_32_kernelILj28EdlldddEEvT2_20rocsparse_direction_NS_24const_host_device_scalarIT0_EES1_PKS1_PKT1_SA_S7_PKT3_PKT4_S5_PT5_21rocsparse_index_base_b
	.p2align	8
	.type	_ZN9rocsparseL20bsrxmvn_17_32_kernelILj28EdlldddEEvT2_20rocsparse_direction_NS_24const_host_device_scalarIT0_EES1_PKS1_PKT1_SA_S7_PKT3_PKT4_S5_PT5_21rocsparse_index_base_b,@function
_ZN9rocsparseL20bsrxmvn_17_32_kernelILj28EdlldddEEvT2_20rocsparse_direction_NS_24const_host_device_scalarIT0_EES1_PKS1_PKT1_SA_S7_PKT3_PKT4_S5_PT5_21rocsparse_index_base_b: ; @_ZN9rocsparseL20bsrxmvn_17_32_kernelILj28EdlldddEEvT2_20rocsparse_direction_NS_24const_host_device_scalarIT0_EES1_PKS1_PKT1_SA_S7_PKT3_PKT4_S5_PT5_21rocsparse_index_base_b
; %bb.0:
	s_load_dwordx2 s[14:15], s[4:5], 0x60
	s_load_dwordx2 s[8:9], s[4:5], 0x10
	;; [unrolled: 1-line block ×3, first 2 shown]
	s_waitcnt lgkmcnt(0)
	s_bitcmp1_b32 s15, 0
	s_cselect_b64 s[10:11], -1, 0
	v_mov_b32_e32 v3, s8
	s_xor_b64 s[2:3], s[10:11], -1
	s_and_b64 vcc, exec, s[10:11]
	v_mov_b32_e32 v4, s9
	s_cbranch_vccnz .LBB155_2
; %bb.1:
	v_mov_b32_e32 v1, s8
	v_mov_b32_e32 v2, s9
	flat_load_dwordx2 v[3:4], v[1:2]
.LBB155_2:
	v_mov_b32_e32 v2, s1
	s_andn2_b64 vcc, exec, s[2:3]
	v_mov_b32_e32 v1, s0
	s_cbranch_vccnz .LBB155_4
; %bb.3:
	v_mov_b32_e32 v2, s1
	v_mov_b32_e32 v1, s0
	flat_load_dwordx2 v[1:2], v[1:2]
.LBB155_4:
	s_waitcnt vmcnt(0) lgkmcnt(0)
	v_cmp_neq_f64_e32 vcc, 0, v[3:4]
	v_cmp_neq_f64_e64 s[0:1], 1.0, v[1:2]
	s_or_b64 s[0:1], vcc, s[0:1]
	s_and_saveexec_b64 s[2:3], s[0:1]
	s_cbranch_execz .LBB155_41
; %bb.5:
	s_load_dwordx4 s[0:3], s[4:5], 0x20
	s_load_dwordx2 s[8:9], s[4:5], 0x30
	s_mov_b32 s7, 0
	s_waitcnt lgkmcnt(0)
	s_cmp_eq_u64 s[0:1], 0
	s_cbranch_scc1 .LBB155_7
; %bb.6:
	s_lshl_b64 s[6:7], s[6:7], 3
	s_add_u32 s0, s0, s6
	s_addc_u32 s1, s1, s7
	s_load_dwordx2 s[0:1], s[0:1], 0x0
	s_waitcnt lgkmcnt(0)
	s_sub_u32 s6, s0, s14
	s_subb_u32 s7, s1, 0
.LBB155_7:
	s_load_dword s10, s[4:5], 0x8
	s_load_dwordx2 s[12:13], s[4:5], 0x58
	v_mul_u32_u24_e32 v8, 0x925, v0
	v_mov_b32_e32 v5, 28
	v_mul_lo_u16_sdwa v5, v8, v5 dst_sel:DWORD dst_unused:UNUSED_PAD src0_sel:WORD_1 src1_sel:DWORD
	s_waitcnt lgkmcnt(0)
	s_cmp_eq_u32 s10, 1
	s_cselect_b64 s[0:1], -1, 0
	s_cmp_lg_u32 s10, 1
	s_cselect_b64 s[16:17], -1, 0
	s_lshl_b64 s[10:11], s[6:7], 3
	s_add_u32 s20, s2, s10
	s_addc_u32 s21, s3, s11
	s_add_u32 s2, s20, 8
	s_addc_u32 s3, s21, 0
	;; [unrolled: 2-line block ×3, first 2 shown]
	s_cmp_eq_u64 s[8:9], 0
	s_cselect_b32 s9, s3, s11
	s_cselect_b32 s8, s2, s10
	s_load_dwordx2 s[2:3], s[8:9], 0x0
	s_load_dwordx2 s[18:19], s[20:21], 0x0
	v_sub_u16_e32 v16, v0, v5
	v_mov_b32_e32 v7, 0
	v_lshlrev_b32_e32 v15, 3, v0
	s_waitcnt lgkmcnt(0)
	v_mov_b32_e32 v6, s3
	v_mov_b32_e32 v5, s2
	v_cmp_ge_i64_e32 vcc, s[18:19], v[5:6]
	v_mov_b32_e32 v5, 0
	v_mov_b32_e32 v6, 0
	s_cbranch_vccnz .LBB155_12
; %bb.8:
	s_load_dwordx4 s[8:11], s[4:5], 0x38
	s_load_dwordx2 s[20:21], s[4:5], 0x48
	s_mov_b32 s4, 0xffff
	s_movk_i32 s5, 0x310
	v_and_b32_sdwa v5, s4, v8 dst_sel:DWORD dst_unused:UNUSED_PAD src0_sel:DWORD src1_sel:WORD_1
	s_sub_u32 s2, s2, s14
	v_subrev_u32_e32 v6, 28, v5
	v_cmp_gt_u32_e32 vcc, s5, v0
	s_subb_u32 s3, s3, 0
	v_cndmask_b32_e32 v5, v6, v5, vcc
	s_sub_u32 s4, s18, s14
	v_cndmask_b32_e64 v6, v16, v5, s[0:1]
	s_subb_u32 s5, s19, 0
	v_lshlrev_b64 v[5:6], 3, v[6:7]
	s_mul_i32 s0, s5, 0x1880
	s_mul_hi_u32 s1, s4, 0x1880
	s_add_i32 s1, s1, s0
	s_mul_i32 s0, s4, 0x1880
	s_waitcnt lgkmcnt(0)
	v_mov_b32_e32 v8, s21
	v_add_co_u32_e32 v7, vcc, s20, v5
	s_add_u32 s0, s10, s0
	v_addc_co_u32_e32 v8, vcc, v8, v6, vcc
	s_addc_u32 s1, s11, s1
	v_mov_b32_e32 v5, s1
	v_add_co_u32_e32 v9, vcc, s0, v15
	v_addc_co_u32_e32 v10, vcc, 0, v5, vcc
	s_movk_i32 s0, 0x30f
	v_cmp_lt_u32_e32 vcc, s0, v0
	v_cndmask_b32_e64 v17, 0, 1, vcc
	v_mov_b32_e32 v5, s19
	v_add_co_u32_e32 v6, vcc, s18, v17
	v_addc_co_u32_e32 v11, vcc, 0, v5, vcc
	v_subrev_co_u32_e32 v5, vcc, s14, v6
	v_subbrev_co_u32_e32 v6, vcc, 0, v11, vcc
	v_lshlrev_b64 v[5:6], 3, v[5:6]
	v_mov_b32_e32 v12, s9
	v_add_co_u32_e32 v11, vcc, s8, v5
	v_addc_co_u32_e32 v12, vcc, v12, v6, vcc
	v_mov_b32_e32 v5, 0
	v_mov_b32_e32 v14, s3
	;; [unrolled: 1-line block ×3, first 2 shown]
	s_movk_i32 s8, 0xe0
	v_mov_b32_e32 v13, s2
	s_branch .LBB155_10
.LBB155_9:                              ;   in Loop: Header=BB155_10 Depth=1
	s_or_b64 exec, exec, s[0:1]
	s_add_u32 s4, s4, 1
	s_addc_u32 s5, s5, 0
	v_cmp_lt_i64_e32 vcc, s[4:5], v[13:14]
	v_add_co_u32_e64 v11, s[0:1], 8, v11
	v_addc_co_u32_e64 v12, s[0:1], 0, v12, s[0:1]
	s_cbranch_vccz .LBB155_12
.LBB155_10:                             ; =>This Inner Loop Header: Depth=1
	v_mov_b32_e32 v19, s5
	v_add_co_u32_e32 v18, vcc, s4, v17
	v_addc_co_u32_e32 v19, vcc, 0, v19, vcc
	v_cmp_gt_i64_e32 vcc, s[2:3], v[18:19]
	s_and_saveexec_b64 s[0:1], vcc
	s_cbranch_execz .LBB155_9
; %bb.11:                               ;   in Loop: Header=BB155_10 Depth=1
	global_load_dwordx2 v[18:19], v[11:12], off
	s_waitcnt vmcnt(0)
	v_subrev_co_u32_e32 v18, vcc, s14, v18
	v_subbrev_co_u32_e32 v20, vcc, 0, v19, vcc
	v_mad_u64_u32 v[18:19], s[10:11], v18, s8, v[7:8]
	v_mad_u64_u32 v[19:20], s[10:11], v20, s8, v[19:20]
	global_load_dwordx2 v[20:21], v[9:10], off
	s_nop 0
	global_load_dwordx2 v[18:19], v[18:19], off
	v_add_co_u32_e32 v9, vcc, 0x1880, v9
	v_addc_co_u32_e32 v10, vcc, 0, v10, vcc
	s_waitcnt vmcnt(0)
	v_fma_f64 v[5:6], v[20:21], v[18:19], v[5:6]
	s_branch .LBB155_9
.LBB155_12:
	s_and_b64 vcc, exec, s[16:17]
	ds_write_b64 v15, v[5:6]
	s_waitcnt lgkmcnt(0)
	s_barrier
	s_cbranch_vccz .LBB155_24
; %bb.13:
	v_cmp_gt_u16_e32 vcc, 12, v16
	s_and_saveexec_b64 s[0:1], vcc
	s_cbranch_execz .LBB155_15
; %bb.14:
	ds_read2_b64 v[7:10], v15 offset1:16
	s_waitcnt lgkmcnt(0)
	v_add_f64 v[7:8], v[9:10], v[7:8]
	ds_write_b64 v15, v[7:8]
.LBB155_15:
	s_or_b64 exec, exec, s[0:1]
	v_cmp_gt_u16_e32 vcc, 8, v16
	s_waitcnt lgkmcnt(0)
	s_barrier
	s_and_saveexec_b64 s[0:1], vcc
	s_cbranch_execz .LBB155_17
; %bb.16:
	ds_read2_b64 v[7:10], v15 offset1:8
	s_waitcnt lgkmcnt(0)
	v_add_f64 v[7:8], v[9:10], v[7:8]
	ds_write_b64 v15, v[7:8]
.LBB155_17:
	s_or_b64 exec, exec, s[0:1]
	v_cmp_gt_u16_e32 vcc, 4, v16
	s_waitcnt lgkmcnt(0)
	s_barrier
	;; [unrolled: 12-line block ×3, first 2 shown]
	s_and_saveexec_b64 s[0:1], vcc
	s_cbranch_execz .LBB155_21
; %bb.20:
	ds_read2_b64 v[7:10], v15 offset1:2
	s_waitcnt lgkmcnt(0)
	v_add_f64 v[7:8], v[9:10], v[7:8]
	ds_write_b64 v15, v[7:8]
.LBB155_21:
	s_or_b64 exec, exec, s[0:1]
	v_mov_b32_e32 v8, v6
	v_cmp_gt_u32_e32 vcc, 28, v0
	v_mov_b32_e32 v7, v5
	s_waitcnt lgkmcnt(0)
	s_barrier
	s_and_saveexec_b64 s[0:1], vcc
	s_cbranch_execz .LBB155_23
; %bb.22:
	s_movk_i32 s2, 0xd8
	v_mad_u32_u24 v7, v0, s2, v15
	ds_read_b128 v[7:10], v7
	s_waitcnt lgkmcnt(0)
	v_add_f64 v[7:8], v[7:8], v[9:10]
.LBB155_23:
	s_or_b64 exec, exec, s[0:1]
	s_branch .LBB155_36
.LBB155_24:
                                        ; implicit-def: $vgpr7_vgpr8
	s_cbranch_execz .LBB155_36
; %bb.25:
	s_movk_i32 s0, 0x150
	v_cmp_gt_u32_e32 vcc, s0, v0
	s_and_saveexec_b64 s[0:1], vcc
	s_cbranch_execz .LBB155_27
; %bb.26:
	ds_read2st64_b64 v[7:10], v15 offset1:7
	s_waitcnt lgkmcnt(0)
	v_add_f64 v[7:8], v[9:10], v[7:8]
	ds_write_b64 v15, v[7:8]
.LBB155_27:
	s_or_b64 exec, exec, s[0:1]
	s_movk_i32 s0, 0xe0
	v_cmp_gt_u32_e32 vcc, s0, v0
	s_waitcnt lgkmcnt(0)
	s_barrier
	s_and_saveexec_b64 s[0:1], vcc
	s_cbranch_execz .LBB155_29
; %bb.28:
	ds_read2_b64 v[7:10], v15 offset1:224
	s_waitcnt lgkmcnt(0)
	v_add_f64 v[7:8], v[9:10], v[7:8]
	ds_write_b64 v15, v[7:8]
.LBB155_29:
	s_or_b64 exec, exec, s[0:1]
	s_movk_i32 s0, 0x70
	v_cmp_gt_u32_e32 vcc, s0, v0
	s_waitcnt lgkmcnt(0)
	s_barrier
	s_and_saveexec_b64 s[0:1], vcc
	s_cbranch_execz .LBB155_31
; %bb.30:
	ds_read2_b64 v[7:10], v15 offset1:112
	s_waitcnt lgkmcnt(0)
	v_add_f64 v[7:8], v[9:10], v[7:8]
	ds_write_b64 v15, v[7:8]
.LBB155_31:
	s_or_b64 exec, exec, s[0:1]
	v_cmp_gt_u32_e32 vcc, 56, v0
	s_waitcnt lgkmcnt(0)
	s_barrier
	s_and_saveexec_b64 s[0:1], vcc
	s_cbranch_execz .LBB155_33
; %bb.32:
	ds_read2_b64 v[7:10], v15 offset1:56
	s_waitcnt lgkmcnt(0)
	v_add_f64 v[7:8], v[9:10], v[7:8]
	ds_write_b64 v15, v[7:8]
.LBB155_33:
	s_or_b64 exec, exec, s[0:1]
	v_cmp_gt_u32_e32 vcc, 28, v0
	s_waitcnt lgkmcnt(0)
	s_and_saveexec_b64 s[0:1], vcc
	s_cbranch_execz .LBB155_35
; %bb.34:
	ds_read2_b64 v[5:8], v15 offset1:28
	s_waitcnt lgkmcnt(0)
	v_add_f64 v[5:6], v[5:6], v[7:8]
.LBB155_35:
	s_or_b64 exec, exec, s[0:1]
	v_mov_b32_e32 v8, v6
	v_mov_b32_e32 v7, v5
.LBB155_36:
	v_cmp_gt_u32_e32 vcc, 28, v0
	s_and_b64 exec, exec, vcc
	s_cbranch_execz .LBB155_41
; %bb.37:
	v_cmp_eq_f64_e32 vcc, 0, v[1:2]
	v_mul_f64 v[3:4], v[3:4], v[7:8]
	s_mul_i32 s2, s7, 0xe0
	s_mul_hi_u32 s3, s6, 0xe0
	s_mul_i32 s4, s6, 0xe0
	s_and_saveexec_b64 s[0:1], vcc
	s_xor_b64 s[0:1], exec, s[0:1]
	s_cbranch_execz .LBB155_39
; %bb.38:
	s_add_i32 s5, s3, s2
	s_add_u32 s6, s12, s4
	s_addc_u32 s7, s13, s5
	global_store_dwordx2 v15, v[3:4], s[6:7]
                                        ; implicit-def: $vgpr15
                                        ; implicit-def: $vgpr1_vgpr2
                                        ; implicit-def: $vgpr3_vgpr4
.LBB155_39:
	s_andn2_saveexec_b64 s[0:1], s[0:1]
	s_cbranch_execz .LBB155_41
; %bb.40:
	s_add_i32 s3, s3, s2
	s_add_u32 s0, s12, s4
	s_addc_u32 s1, s13, s3
	global_load_dwordx2 v[5:6], v15, s[0:1]
	s_waitcnt vmcnt(0)
	v_fma_f64 v[0:1], v[1:2], v[5:6], v[3:4]
	global_store_dwordx2 v15, v[0:1], s[0:1]
.LBB155_41:
	s_endpgm
	.section	.rodata,"a",@progbits
	.p2align	6, 0x0
	.amdhsa_kernel _ZN9rocsparseL20bsrxmvn_17_32_kernelILj28EdlldddEEvT2_20rocsparse_direction_NS_24const_host_device_scalarIT0_EES1_PKS1_PKT1_SA_S7_PKT3_PKT4_S5_PT5_21rocsparse_index_base_b
		.amdhsa_group_segment_fixed_size 6272
		.amdhsa_private_segment_fixed_size 0
		.amdhsa_kernarg_size 104
		.amdhsa_user_sgpr_count 6
		.amdhsa_user_sgpr_private_segment_buffer 1
		.amdhsa_user_sgpr_dispatch_ptr 0
		.amdhsa_user_sgpr_queue_ptr 0
		.amdhsa_user_sgpr_kernarg_segment_ptr 1
		.amdhsa_user_sgpr_dispatch_id 0
		.amdhsa_user_sgpr_flat_scratch_init 0
		.amdhsa_user_sgpr_private_segment_size 0
		.amdhsa_uses_dynamic_stack 0
		.amdhsa_system_sgpr_private_segment_wavefront_offset 0
		.amdhsa_system_sgpr_workgroup_id_x 1
		.amdhsa_system_sgpr_workgroup_id_y 0
		.amdhsa_system_sgpr_workgroup_id_z 0
		.amdhsa_system_sgpr_workgroup_info 0
		.amdhsa_system_vgpr_workitem_id 0
		.amdhsa_next_free_vgpr 22
		.amdhsa_next_free_sgpr 22
		.amdhsa_reserve_vcc 1
		.amdhsa_reserve_flat_scratch 0
		.amdhsa_float_round_mode_32 0
		.amdhsa_float_round_mode_16_64 0
		.amdhsa_float_denorm_mode_32 3
		.amdhsa_float_denorm_mode_16_64 3
		.amdhsa_dx10_clamp 1
		.amdhsa_ieee_mode 1
		.amdhsa_fp16_overflow 0
		.amdhsa_exception_fp_ieee_invalid_op 0
		.amdhsa_exception_fp_denorm_src 0
		.amdhsa_exception_fp_ieee_div_zero 0
		.amdhsa_exception_fp_ieee_overflow 0
		.amdhsa_exception_fp_ieee_underflow 0
		.amdhsa_exception_fp_ieee_inexact 0
		.amdhsa_exception_int_div_zero 0
	.end_amdhsa_kernel
	.section	.text._ZN9rocsparseL20bsrxmvn_17_32_kernelILj28EdlldddEEvT2_20rocsparse_direction_NS_24const_host_device_scalarIT0_EES1_PKS1_PKT1_SA_S7_PKT3_PKT4_S5_PT5_21rocsparse_index_base_b,"axG",@progbits,_ZN9rocsparseL20bsrxmvn_17_32_kernelILj28EdlldddEEvT2_20rocsparse_direction_NS_24const_host_device_scalarIT0_EES1_PKS1_PKT1_SA_S7_PKT3_PKT4_S5_PT5_21rocsparse_index_base_b,comdat
.Lfunc_end155:
	.size	_ZN9rocsparseL20bsrxmvn_17_32_kernelILj28EdlldddEEvT2_20rocsparse_direction_NS_24const_host_device_scalarIT0_EES1_PKS1_PKT1_SA_S7_PKT3_PKT4_S5_PT5_21rocsparse_index_base_b, .Lfunc_end155-_ZN9rocsparseL20bsrxmvn_17_32_kernelILj28EdlldddEEvT2_20rocsparse_direction_NS_24const_host_device_scalarIT0_EES1_PKS1_PKT1_SA_S7_PKT3_PKT4_S5_PT5_21rocsparse_index_base_b
                                        ; -- End function
	.set _ZN9rocsparseL20bsrxmvn_17_32_kernelILj28EdlldddEEvT2_20rocsparse_direction_NS_24const_host_device_scalarIT0_EES1_PKS1_PKT1_SA_S7_PKT3_PKT4_S5_PT5_21rocsparse_index_base_b.num_vgpr, 22
	.set _ZN9rocsparseL20bsrxmvn_17_32_kernelILj28EdlldddEEvT2_20rocsparse_direction_NS_24const_host_device_scalarIT0_EES1_PKS1_PKT1_SA_S7_PKT3_PKT4_S5_PT5_21rocsparse_index_base_b.num_agpr, 0
	.set _ZN9rocsparseL20bsrxmvn_17_32_kernelILj28EdlldddEEvT2_20rocsparse_direction_NS_24const_host_device_scalarIT0_EES1_PKS1_PKT1_SA_S7_PKT3_PKT4_S5_PT5_21rocsparse_index_base_b.numbered_sgpr, 22
	.set _ZN9rocsparseL20bsrxmvn_17_32_kernelILj28EdlldddEEvT2_20rocsparse_direction_NS_24const_host_device_scalarIT0_EES1_PKS1_PKT1_SA_S7_PKT3_PKT4_S5_PT5_21rocsparse_index_base_b.num_named_barrier, 0
	.set _ZN9rocsparseL20bsrxmvn_17_32_kernelILj28EdlldddEEvT2_20rocsparse_direction_NS_24const_host_device_scalarIT0_EES1_PKS1_PKT1_SA_S7_PKT3_PKT4_S5_PT5_21rocsparse_index_base_b.private_seg_size, 0
	.set _ZN9rocsparseL20bsrxmvn_17_32_kernelILj28EdlldddEEvT2_20rocsparse_direction_NS_24const_host_device_scalarIT0_EES1_PKS1_PKT1_SA_S7_PKT3_PKT4_S5_PT5_21rocsparse_index_base_b.uses_vcc, 1
	.set _ZN9rocsparseL20bsrxmvn_17_32_kernelILj28EdlldddEEvT2_20rocsparse_direction_NS_24const_host_device_scalarIT0_EES1_PKS1_PKT1_SA_S7_PKT3_PKT4_S5_PT5_21rocsparse_index_base_b.uses_flat_scratch, 0
	.set _ZN9rocsparseL20bsrxmvn_17_32_kernelILj28EdlldddEEvT2_20rocsparse_direction_NS_24const_host_device_scalarIT0_EES1_PKS1_PKT1_SA_S7_PKT3_PKT4_S5_PT5_21rocsparse_index_base_b.has_dyn_sized_stack, 0
	.set _ZN9rocsparseL20bsrxmvn_17_32_kernelILj28EdlldddEEvT2_20rocsparse_direction_NS_24const_host_device_scalarIT0_EES1_PKS1_PKT1_SA_S7_PKT3_PKT4_S5_PT5_21rocsparse_index_base_b.has_recursion, 0
	.set _ZN9rocsparseL20bsrxmvn_17_32_kernelILj28EdlldddEEvT2_20rocsparse_direction_NS_24const_host_device_scalarIT0_EES1_PKS1_PKT1_SA_S7_PKT3_PKT4_S5_PT5_21rocsparse_index_base_b.has_indirect_call, 0
	.section	.AMDGPU.csdata,"",@progbits
; Kernel info:
; codeLenInByte = 1404
; TotalNumSgprs: 26
; NumVgprs: 22
; ScratchSize: 0
; MemoryBound: 1
; FloatMode: 240
; IeeeMode: 1
; LDSByteSize: 6272 bytes/workgroup (compile time only)
; SGPRBlocks: 3
; VGPRBlocks: 5
; NumSGPRsForWavesPerEU: 26
; NumVGPRsForWavesPerEU: 22
; Occupancy: 10
; WaveLimiterHint : 1
; COMPUTE_PGM_RSRC2:SCRATCH_EN: 0
; COMPUTE_PGM_RSRC2:USER_SGPR: 6
; COMPUTE_PGM_RSRC2:TRAP_HANDLER: 0
; COMPUTE_PGM_RSRC2:TGID_X_EN: 1
; COMPUTE_PGM_RSRC2:TGID_Y_EN: 0
; COMPUTE_PGM_RSRC2:TGID_Z_EN: 0
; COMPUTE_PGM_RSRC2:TIDIG_COMP_CNT: 0
	.section	.text._ZN9rocsparseL20bsrxmvn_17_32_kernelILj29EdlldddEEvT2_20rocsparse_direction_NS_24const_host_device_scalarIT0_EES1_PKS1_PKT1_SA_S7_PKT3_PKT4_S5_PT5_21rocsparse_index_base_b,"axG",@progbits,_ZN9rocsparseL20bsrxmvn_17_32_kernelILj29EdlldddEEvT2_20rocsparse_direction_NS_24const_host_device_scalarIT0_EES1_PKS1_PKT1_SA_S7_PKT3_PKT4_S5_PT5_21rocsparse_index_base_b,comdat
	.globl	_ZN9rocsparseL20bsrxmvn_17_32_kernelILj29EdlldddEEvT2_20rocsparse_direction_NS_24const_host_device_scalarIT0_EES1_PKS1_PKT1_SA_S7_PKT3_PKT4_S5_PT5_21rocsparse_index_base_b ; -- Begin function _ZN9rocsparseL20bsrxmvn_17_32_kernelILj29EdlldddEEvT2_20rocsparse_direction_NS_24const_host_device_scalarIT0_EES1_PKS1_PKT1_SA_S7_PKT3_PKT4_S5_PT5_21rocsparse_index_base_b
	.p2align	8
	.type	_ZN9rocsparseL20bsrxmvn_17_32_kernelILj29EdlldddEEvT2_20rocsparse_direction_NS_24const_host_device_scalarIT0_EES1_PKS1_PKT1_SA_S7_PKT3_PKT4_S5_PT5_21rocsparse_index_base_b,@function
_ZN9rocsparseL20bsrxmvn_17_32_kernelILj29EdlldddEEvT2_20rocsparse_direction_NS_24const_host_device_scalarIT0_EES1_PKS1_PKT1_SA_S7_PKT3_PKT4_S5_PT5_21rocsparse_index_base_b: ; @_ZN9rocsparseL20bsrxmvn_17_32_kernelILj29EdlldddEEvT2_20rocsparse_direction_NS_24const_host_device_scalarIT0_EES1_PKS1_PKT1_SA_S7_PKT3_PKT4_S5_PT5_21rocsparse_index_base_b
; %bb.0:
	s_load_dwordx2 s[14:15], s[4:5], 0x60
	s_load_dwordx2 s[8:9], s[4:5], 0x10
	;; [unrolled: 1-line block ×3, first 2 shown]
	s_waitcnt lgkmcnt(0)
	s_bitcmp1_b32 s15, 0
	s_cselect_b64 s[10:11], -1, 0
	v_mov_b32_e32 v3, s8
	s_xor_b64 s[2:3], s[10:11], -1
	s_and_b64 vcc, exec, s[10:11]
	v_mov_b32_e32 v4, s9
	s_cbranch_vccnz .LBB156_2
; %bb.1:
	v_mov_b32_e32 v1, s8
	v_mov_b32_e32 v2, s9
	flat_load_dwordx2 v[3:4], v[1:2]
.LBB156_2:
	v_mov_b32_e32 v2, s1
	s_andn2_b64 vcc, exec, s[2:3]
	v_mov_b32_e32 v1, s0
	s_cbranch_vccnz .LBB156_4
; %bb.3:
	v_mov_b32_e32 v2, s1
	v_mov_b32_e32 v1, s0
	flat_load_dwordx2 v[1:2], v[1:2]
.LBB156_4:
	s_waitcnt vmcnt(0) lgkmcnt(0)
	v_cmp_neq_f64_e32 vcc, 0, v[3:4]
	v_cmp_neq_f64_e64 s[0:1], 1.0, v[1:2]
	s_or_b64 s[0:1], vcc, s[0:1]
	s_and_saveexec_b64 s[2:3], s[0:1]
	s_cbranch_execz .LBB156_41
; %bb.5:
	s_load_dwordx4 s[0:3], s[4:5], 0x20
	s_load_dwordx2 s[8:9], s[4:5], 0x30
	s_mov_b32 s7, 0
	s_waitcnt lgkmcnt(0)
	s_cmp_eq_u64 s[0:1], 0
	s_cbranch_scc1 .LBB156_7
; %bb.6:
	s_lshl_b64 s[6:7], s[6:7], 3
	s_add_u32 s0, s0, s6
	s_addc_u32 s1, s1, s7
	s_load_dwordx2 s[0:1], s[0:1], 0x0
	s_waitcnt lgkmcnt(0)
	s_sub_u32 s6, s0, s14
	s_subb_u32 s7, s1, 0
.LBB156_7:
	s_load_dword s10, s[4:5], 0x8
	s_load_dwordx2 s[12:13], s[4:5], 0x58
	v_mul_u32_u24_e32 v8, 0x8d4, v0
	v_mov_b32_e32 v5, 29
	v_mul_lo_u16_sdwa v5, v8, v5 dst_sel:DWORD dst_unused:UNUSED_PAD src0_sel:WORD_1 src1_sel:DWORD
	s_waitcnt lgkmcnt(0)
	s_cmp_eq_u32 s10, 1
	s_cselect_b64 s[0:1], -1, 0
	s_cmp_lg_u32 s10, 1
	s_cselect_b64 s[16:17], -1, 0
	s_lshl_b64 s[10:11], s[6:7], 3
	s_add_u32 s20, s2, s10
	s_addc_u32 s21, s3, s11
	s_add_u32 s2, s20, 8
	s_addc_u32 s3, s21, 0
	;; [unrolled: 2-line block ×3, first 2 shown]
	s_cmp_eq_u64 s[8:9], 0
	s_cselect_b32 s9, s3, s11
	s_cselect_b32 s8, s2, s10
	s_load_dwordx2 s[2:3], s[8:9], 0x0
	s_load_dwordx2 s[18:19], s[20:21], 0x0
	v_sub_u16_e32 v16, v0, v5
	v_mov_b32_e32 v7, 0
	v_lshlrev_b32_e32 v15, 3, v0
	s_waitcnt lgkmcnt(0)
	v_mov_b32_e32 v6, s3
	v_mov_b32_e32 v5, s2
	v_cmp_ge_i64_e32 vcc, s[18:19], v[5:6]
	v_mov_b32_e32 v5, 0
	v_mov_b32_e32 v6, 0
	s_cbranch_vccnz .LBB156_12
; %bb.8:
	s_load_dwordx4 s[8:11], s[4:5], 0x38
	s_load_dwordx2 s[20:21], s[4:5], 0x48
	s_mov_b32 s4, 0xffff
	s_movk_i32 s5, 0x349
	v_and_b32_sdwa v5, s4, v8 dst_sel:DWORD dst_unused:UNUSED_PAD src0_sel:DWORD src1_sel:WORD_1
	s_sub_u32 s2, s2, s14
	v_subrev_u32_e32 v6, 29, v5
	v_cmp_gt_u32_e32 vcc, s5, v0
	s_subb_u32 s3, s3, 0
	v_cndmask_b32_e32 v5, v6, v5, vcc
	s_sub_u32 s4, s18, s14
	v_cndmask_b32_e64 v6, v16, v5, s[0:1]
	s_subb_u32 s5, s19, 0
	v_lshlrev_b64 v[5:6], 3, v[6:7]
	s_mul_i32 s0, s5, 0x1a48
	s_mul_hi_u32 s1, s4, 0x1a48
	s_add_i32 s1, s1, s0
	s_mul_i32 s0, s4, 0x1a48
	s_waitcnt lgkmcnt(0)
	v_mov_b32_e32 v8, s21
	v_add_co_u32_e32 v7, vcc, s20, v5
	s_add_u32 s0, s10, s0
	v_addc_co_u32_e32 v8, vcc, v8, v6, vcc
	s_addc_u32 s1, s11, s1
	v_mov_b32_e32 v5, s1
	v_add_co_u32_e32 v9, vcc, s0, v15
	v_addc_co_u32_e32 v10, vcc, 0, v5, vcc
	s_movk_i32 s0, 0x348
	v_cmp_lt_u32_e32 vcc, s0, v0
	v_cndmask_b32_e64 v17, 0, 1, vcc
	v_mov_b32_e32 v5, s19
	v_add_co_u32_e32 v6, vcc, s18, v17
	v_addc_co_u32_e32 v11, vcc, 0, v5, vcc
	v_subrev_co_u32_e32 v5, vcc, s14, v6
	v_subbrev_co_u32_e32 v6, vcc, 0, v11, vcc
	v_lshlrev_b64 v[5:6], 3, v[5:6]
	v_mov_b32_e32 v12, s9
	v_add_co_u32_e32 v11, vcc, s8, v5
	v_addc_co_u32_e32 v12, vcc, v12, v6, vcc
	v_mov_b32_e32 v5, 0
	v_mov_b32_e32 v14, s3
	;; [unrolled: 1-line block ×3, first 2 shown]
	s_movk_i32 s8, 0xe8
	v_mov_b32_e32 v13, s2
	s_branch .LBB156_10
.LBB156_9:                              ;   in Loop: Header=BB156_10 Depth=1
	s_or_b64 exec, exec, s[0:1]
	s_add_u32 s4, s4, 1
	s_addc_u32 s5, s5, 0
	v_cmp_lt_i64_e32 vcc, s[4:5], v[13:14]
	v_add_co_u32_e64 v11, s[0:1], 8, v11
	v_addc_co_u32_e64 v12, s[0:1], 0, v12, s[0:1]
	s_cbranch_vccz .LBB156_12
.LBB156_10:                             ; =>This Inner Loop Header: Depth=1
	v_mov_b32_e32 v19, s5
	v_add_co_u32_e32 v18, vcc, s4, v17
	v_addc_co_u32_e32 v19, vcc, 0, v19, vcc
	v_cmp_gt_i64_e32 vcc, s[2:3], v[18:19]
	s_and_saveexec_b64 s[0:1], vcc
	s_cbranch_execz .LBB156_9
; %bb.11:                               ;   in Loop: Header=BB156_10 Depth=1
	global_load_dwordx2 v[18:19], v[11:12], off
	s_waitcnt vmcnt(0)
	v_subrev_co_u32_e32 v18, vcc, s14, v18
	v_subbrev_co_u32_e32 v20, vcc, 0, v19, vcc
	v_mad_u64_u32 v[18:19], s[10:11], v18, s8, v[7:8]
	v_mad_u64_u32 v[19:20], s[10:11], v20, s8, v[19:20]
	global_load_dwordx2 v[20:21], v[9:10], off
	s_nop 0
	global_load_dwordx2 v[18:19], v[18:19], off
	v_add_co_u32_e32 v9, vcc, 0x1a48, v9
	v_addc_co_u32_e32 v10, vcc, 0, v10, vcc
	s_waitcnt vmcnt(0)
	v_fma_f64 v[5:6], v[20:21], v[18:19], v[5:6]
	s_branch .LBB156_9
.LBB156_12:
	s_and_b64 vcc, exec, s[16:17]
	ds_write_b64 v15, v[5:6]
	s_waitcnt lgkmcnt(0)
	s_barrier
	s_cbranch_vccz .LBB156_24
; %bb.13:
	v_cmp_gt_u16_e32 vcc, 13, v16
	s_and_saveexec_b64 s[0:1], vcc
	s_cbranch_execz .LBB156_15
; %bb.14:
	ds_read2_b64 v[7:10], v15 offset1:16
	s_waitcnt lgkmcnt(0)
	v_add_f64 v[7:8], v[9:10], v[7:8]
	ds_write_b64 v15, v[7:8]
.LBB156_15:
	s_or_b64 exec, exec, s[0:1]
	v_cmp_gt_u16_e32 vcc, 8, v16
	s_waitcnt lgkmcnt(0)
	s_barrier
	s_and_saveexec_b64 s[0:1], vcc
	s_cbranch_execz .LBB156_17
; %bb.16:
	ds_read2_b64 v[7:10], v15 offset1:8
	s_waitcnt lgkmcnt(0)
	v_add_f64 v[7:8], v[9:10], v[7:8]
	ds_write_b64 v15, v[7:8]
.LBB156_17:
	s_or_b64 exec, exec, s[0:1]
	v_cmp_gt_u16_e32 vcc, 4, v16
	s_waitcnt lgkmcnt(0)
	s_barrier
	;; [unrolled: 12-line block ×3, first 2 shown]
	s_and_saveexec_b64 s[0:1], vcc
	s_cbranch_execz .LBB156_21
; %bb.20:
	ds_read2_b64 v[7:10], v15 offset1:2
	s_waitcnt lgkmcnt(0)
	v_add_f64 v[7:8], v[9:10], v[7:8]
	ds_write_b64 v15, v[7:8]
.LBB156_21:
	s_or_b64 exec, exec, s[0:1]
	v_mov_b32_e32 v8, v6
	v_cmp_gt_u32_e32 vcc, 29, v0
	v_mov_b32_e32 v7, v5
	s_waitcnt lgkmcnt(0)
	s_barrier
	s_and_saveexec_b64 s[0:1], vcc
	s_cbranch_execz .LBB156_23
; %bb.22:
	s_movk_i32 s2, 0xe0
	v_mad_u32_u24 v7, v0, s2, v15
	ds_read2_b64 v[7:10], v7 offset1:1
	s_waitcnt lgkmcnt(0)
	v_add_f64 v[7:8], v[7:8], v[9:10]
.LBB156_23:
	s_or_b64 exec, exec, s[0:1]
	s_branch .LBB156_36
.LBB156_24:
                                        ; implicit-def: $vgpr7_vgpr8
	s_cbranch_execz .LBB156_36
; %bb.25:
	s_movk_i32 s0, 0x179
	v_cmp_gt_u32_e32 vcc, s0, v0
	s_and_saveexec_b64 s[0:1], vcc
	s_cbranch_execz .LBB156_27
; %bb.26:
	ds_read_b64 v[7:8], v15 offset:3712
	ds_read_b64 v[9:10], v15
	s_waitcnt lgkmcnt(0)
	v_add_f64 v[7:8], v[7:8], v[9:10]
	ds_write_b64 v15, v[7:8]
.LBB156_27:
	s_or_b64 exec, exec, s[0:1]
	s_movk_i32 s0, 0xe8
	v_cmp_gt_u32_e32 vcc, s0, v0
	s_waitcnt lgkmcnt(0)
	s_barrier
	s_and_saveexec_b64 s[0:1], vcc
	s_cbranch_execz .LBB156_29
; %bb.28:
	ds_read2_b64 v[7:10], v15 offset1:232
	s_waitcnt lgkmcnt(0)
	v_add_f64 v[7:8], v[9:10], v[7:8]
	ds_write_b64 v15, v[7:8]
.LBB156_29:
	s_or_b64 exec, exec, s[0:1]
	s_movk_i32 s0, 0x74
	v_cmp_gt_u32_e32 vcc, s0, v0
	s_waitcnt lgkmcnt(0)
	s_barrier
	s_and_saveexec_b64 s[0:1], vcc
	s_cbranch_execz .LBB156_31
; %bb.30:
	ds_read2_b64 v[7:10], v15 offset1:116
	s_waitcnt lgkmcnt(0)
	v_add_f64 v[7:8], v[9:10], v[7:8]
	ds_write_b64 v15, v[7:8]
.LBB156_31:
	s_or_b64 exec, exec, s[0:1]
	v_cmp_gt_u32_e32 vcc, 58, v0
	s_waitcnt lgkmcnt(0)
	s_barrier
	s_and_saveexec_b64 s[0:1], vcc
	s_cbranch_execz .LBB156_33
; %bb.32:
	ds_read2_b64 v[7:10], v15 offset1:58
	s_waitcnt lgkmcnt(0)
	v_add_f64 v[7:8], v[9:10], v[7:8]
	ds_write_b64 v15, v[7:8]
.LBB156_33:
	s_or_b64 exec, exec, s[0:1]
	v_cmp_gt_u32_e32 vcc, 29, v0
	s_waitcnt lgkmcnt(0)
	s_and_saveexec_b64 s[0:1], vcc
	s_cbranch_execz .LBB156_35
; %bb.34:
	ds_read2_b64 v[5:8], v15 offset1:29
	s_waitcnt lgkmcnt(0)
	v_add_f64 v[5:6], v[5:6], v[7:8]
.LBB156_35:
	s_or_b64 exec, exec, s[0:1]
	v_mov_b32_e32 v8, v6
	v_mov_b32_e32 v7, v5
.LBB156_36:
	v_cmp_gt_u32_e32 vcc, 29, v0
	s_and_b64 exec, exec, vcc
	s_cbranch_execz .LBB156_41
; %bb.37:
	v_cmp_eq_f64_e32 vcc, 0, v[1:2]
	v_mul_f64 v[3:4], v[3:4], v[7:8]
	s_mul_i32 s2, s7, 0xe8
	s_mul_hi_u32 s3, s6, 0xe8
	s_mul_i32 s4, s6, 0xe8
	s_and_saveexec_b64 s[0:1], vcc
	s_xor_b64 s[0:1], exec, s[0:1]
	s_cbranch_execz .LBB156_39
; %bb.38:
	s_add_i32 s5, s3, s2
	s_add_u32 s6, s12, s4
	s_addc_u32 s7, s13, s5
	global_store_dwordx2 v15, v[3:4], s[6:7]
                                        ; implicit-def: $vgpr15
                                        ; implicit-def: $vgpr1_vgpr2
                                        ; implicit-def: $vgpr3_vgpr4
.LBB156_39:
	s_andn2_saveexec_b64 s[0:1], s[0:1]
	s_cbranch_execz .LBB156_41
; %bb.40:
	s_add_i32 s3, s3, s2
	s_add_u32 s0, s12, s4
	s_addc_u32 s1, s13, s3
	global_load_dwordx2 v[5:6], v15, s[0:1]
	s_waitcnt vmcnt(0)
	v_fma_f64 v[0:1], v[1:2], v[5:6], v[3:4]
	global_store_dwordx2 v15, v[0:1], s[0:1]
.LBB156_41:
	s_endpgm
	.section	.rodata,"a",@progbits
	.p2align	6, 0x0
	.amdhsa_kernel _ZN9rocsparseL20bsrxmvn_17_32_kernelILj29EdlldddEEvT2_20rocsparse_direction_NS_24const_host_device_scalarIT0_EES1_PKS1_PKT1_SA_S7_PKT3_PKT4_S5_PT5_21rocsparse_index_base_b
		.amdhsa_group_segment_fixed_size 6728
		.amdhsa_private_segment_fixed_size 0
		.amdhsa_kernarg_size 104
		.amdhsa_user_sgpr_count 6
		.amdhsa_user_sgpr_private_segment_buffer 1
		.amdhsa_user_sgpr_dispatch_ptr 0
		.amdhsa_user_sgpr_queue_ptr 0
		.amdhsa_user_sgpr_kernarg_segment_ptr 1
		.amdhsa_user_sgpr_dispatch_id 0
		.amdhsa_user_sgpr_flat_scratch_init 0
		.amdhsa_user_sgpr_private_segment_size 0
		.amdhsa_uses_dynamic_stack 0
		.amdhsa_system_sgpr_private_segment_wavefront_offset 0
		.amdhsa_system_sgpr_workgroup_id_x 1
		.amdhsa_system_sgpr_workgroup_id_y 0
		.amdhsa_system_sgpr_workgroup_id_z 0
		.amdhsa_system_sgpr_workgroup_info 0
		.amdhsa_system_vgpr_workitem_id 0
		.amdhsa_next_free_vgpr 33
		.amdhsa_next_free_sgpr 77
		.amdhsa_reserve_vcc 1
		.amdhsa_reserve_flat_scratch 0
		.amdhsa_float_round_mode_32 0
		.amdhsa_float_round_mode_16_64 0
		.amdhsa_float_denorm_mode_32 3
		.amdhsa_float_denorm_mode_16_64 3
		.amdhsa_dx10_clamp 1
		.amdhsa_ieee_mode 1
		.amdhsa_fp16_overflow 0
		.amdhsa_exception_fp_ieee_invalid_op 0
		.amdhsa_exception_fp_denorm_src 0
		.amdhsa_exception_fp_ieee_div_zero 0
		.amdhsa_exception_fp_ieee_overflow 0
		.amdhsa_exception_fp_ieee_underflow 0
		.amdhsa_exception_fp_ieee_inexact 0
		.amdhsa_exception_int_div_zero 0
	.end_amdhsa_kernel
	.section	.text._ZN9rocsparseL20bsrxmvn_17_32_kernelILj29EdlldddEEvT2_20rocsparse_direction_NS_24const_host_device_scalarIT0_EES1_PKS1_PKT1_SA_S7_PKT3_PKT4_S5_PT5_21rocsparse_index_base_b,"axG",@progbits,_ZN9rocsparseL20bsrxmvn_17_32_kernelILj29EdlldddEEvT2_20rocsparse_direction_NS_24const_host_device_scalarIT0_EES1_PKS1_PKT1_SA_S7_PKT3_PKT4_S5_PT5_21rocsparse_index_base_b,comdat
.Lfunc_end156:
	.size	_ZN9rocsparseL20bsrxmvn_17_32_kernelILj29EdlldddEEvT2_20rocsparse_direction_NS_24const_host_device_scalarIT0_EES1_PKS1_PKT1_SA_S7_PKT3_PKT4_S5_PT5_21rocsparse_index_base_b, .Lfunc_end156-_ZN9rocsparseL20bsrxmvn_17_32_kernelILj29EdlldddEEvT2_20rocsparse_direction_NS_24const_host_device_scalarIT0_EES1_PKS1_PKT1_SA_S7_PKT3_PKT4_S5_PT5_21rocsparse_index_base_b
                                        ; -- End function
	.set _ZN9rocsparseL20bsrxmvn_17_32_kernelILj29EdlldddEEvT2_20rocsparse_direction_NS_24const_host_device_scalarIT0_EES1_PKS1_PKT1_SA_S7_PKT3_PKT4_S5_PT5_21rocsparse_index_base_b.num_vgpr, 22
	.set _ZN9rocsparseL20bsrxmvn_17_32_kernelILj29EdlldddEEvT2_20rocsparse_direction_NS_24const_host_device_scalarIT0_EES1_PKS1_PKT1_SA_S7_PKT3_PKT4_S5_PT5_21rocsparse_index_base_b.num_agpr, 0
	.set _ZN9rocsparseL20bsrxmvn_17_32_kernelILj29EdlldddEEvT2_20rocsparse_direction_NS_24const_host_device_scalarIT0_EES1_PKS1_PKT1_SA_S7_PKT3_PKT4_S5_PT5_21rocsparse_index_base_b.numbered_sgpr, 22
	.set _ZN9rocsparseL20bsrxmvn_17_32_kernelILj29EdlldddEEvT2_20rocsparse_direction_NS_24const_host_device_scalarIT0_EES1_PKS1_PKT1_SA_S7_PKT3_PKT4_S5_PT5_21rocsparse_index_base_b.num_named_barrier, 0
	.set _ZN9rocsparseL20bsrxmvn_17_32_kernelILj29EdlldddEEvT2_20rocsparse_direction_NS_24const_host_device_scalarIT0_EES1_PKS1_PKT1_SA_S7_PKT3_PKT4_S5_PT5_21rocsparse_index_base_b.private_seg_size, 0
	.set _ZN9rocsparseL20bsrxmvn_17_32_kernelILj29EdlldddEEvT2_20rocsparse_direction_NS_24const_host_device_scalarIT0_EES1_PKS1_PKT1_SA_S7_PKT3_PKT4_S5_PT5_21rocsparse_index_base_b.uses_vcc, 1
	.set _ZN9rocsparseL20bsrxmvn_17_32_kernelILj29EdlldddEEvT2_20rocsparse_direction_NS_24const_host_device_scalarIT0_EES1_PKS1_PKT1_SA_S7_PKT3_PKT4_S5_PT5_21rocsparse_index_base_b.uses_flat_scratch, 0
	.set _ZN9rocsparseL20bsrxmvn_17_32_kernelILj29EdlldddEEvT2_20rocsparse_direction_NS_24const_host_device_scalarIT0_EES1_PKS1_PKT1_SA_S7_PKT3_PKT4_S5_PT5_21rocsparse_index_base_b.has_dyn_sized_stack, 0
	.set _ZN9rocsparseL20bsrxmvn_17_32_kernelILj29EdlldddEEvT2_20rocsparse_direction_NS_24const_host_device_scalarIT0_EES1_PKS1_PKT1_SA_S7_PKT3_PKT4_S5_PT5_21rocsparse_index_base_b.has_recursion, 0
	.set _ZN9rocsparseL20bsrxmvn_17_32_kernelILj29EdlldddEEvT2_20rocsparse_direction_NS_24const_host_device_scalarIT0_EES1_PKS1_PKT1_SA_S7_PKT3_PKT4_S5_PT5_21rocsparse_index_base_b.has_indirect_call, 0
	.section	.AMDGPU.csdata,"",@progbits
; Kernel info:
; codeLenInByte = 1412
; TotalNumSgprs: 26
; NumVgprs: 22
; ScratchSize: 0
; MemoryBound: 1
; FloatMode: 240
; IeeeMode: 1
; LDSByteSize: 6728 bytes/workgroup (compile time only)
; SGPRBlocks: 10
; VGPRBlocks: 8
; NumSGPRsForWavesPerEU: 81
; NumVGPRsForWavesPerEU: 33
; Occupancy: 7
; WaveLimiterHint : 1
; COMPUTE_PGM_RSRC2:SCRATCH_EN: 0
; COMPUTE_PGM_RSRC2:USER_SGPR: 6
; COMPUTE_PGM_RSRC2:TRAP_HANDLER: 0
; COMPUTE_PGM_RSRC2:TGID_X_EN: 1
; COMPUTE_PGM_RSRC2:TGID_Y_EN: 0
; COMPUTE_PGM_RSRC2:TGID_Z_EN: 0
; COMPUTE_PGM_RSRC2:TIDIG_COMP_CNT: 0
	.section	.text._ZN9rocsparseL20bsrxmvn_17_32_kernelILj30EdlldddEEvT2_20rocsparse_direction_NS_24const_host_device_scalarIT0_EES1_PKS1_PKT1_SA_S7_PKT3_PKT4_S5_PT5_21rocsparse_index_base_b,"axG",@progbits,_ZN9rocsparseL20bsrxmvn_17_32_kernelILj30EdlldddEEvT2_20rocsparse_direction_NS_24const_host_device_scalarIT0_EES1_PKS1_PKT1_SA_S7_PKT3_PKT4_S5_PT5_21rocsparse_index_base_b,comdat
	.globl	_ZN9rocsparseL20bsrxmvn_17_32_kernelILj30EdlldddEEvT2_20rocsparse_direction_NS_24const_host_device_scalarIT0_EES1_PKS1_PKT1_SA_S7_PKT3_PKT4_S5_PT5_21rocsparse_index_base_b ; -- Begin function _ZN9rocsparseL20bsrxmvn_17_32_kernelILj30EdlldddEEvT2_20rocsparse_direction_NS_24const_host_device_scalarIT0_EES1_PKS1_PKT1_SA_S7_PKT3_PKT4_S5_PT5_21rocsparse_index_base_b
	.p2align	8
	.type	_ZN9rocsparseL20bsrxmvn_17_32_kernelILj30EdlldddEEvT2_20rocsparse_direction_NS_24const_host_device_scalarIT0_EES1_PKS1_PKT1_SA_S7_PKT3_PKT4_S5_PT5_21rocsparse_index_base_b,@function
_ZN9rocsparseL20bsrxmvn_17_32_kernelILj30EdlldddEEvT2_20rocsparse_direction_NS_24const_host_device_scalarIT0_EES1_PKS1_PKT1_SA_S7_PKT3_PKT4_S5_PT5_21rocsparse_index_base_b: ; @_ZN9rocsparseL20bsrxmvn_17_32_kernelILj30EdlldddEEvT2_20rocsparse_direction_NS_24const_host_device_scalarIT0_EES1_PKS1_PKT1_SA_S7_PKT3_PKT4_S5_PT5_21rocsparse_index_base_b
; %bb.0:
	s_load_dwordx2 s[14:15], s[4:5], 0x60
	s_load_dwordx2 s[8:9], s[4:5], 0x10
	;; [unrolled: 1-line block ×3, first 2 shown]
	s_waitcnt lgkmcnt(0)
	s_bitcmp1_b32 s15, 0
	s_cselect_b64 s[10:11], -1, 0
	v_mov_b32_e32 v3, s8
	s_xor_b64 s[2:3], s[10:11], -1
	s_and_b64 vcc, exec, s[10:11]
	v_mov_b32_e32 v4, s9
	s_cbranch_vccnz .LBB157_2
; %bb.1:
	v_mov_b32_e32 v1, s8
	v_mov_b32_e32 v2, s9
	flat_load_dwordx2 v[3:4], v[1:2]
.LBB157_2:
	v_mov_b32_e32 v2, s1
	s_andn2_b64 vcc, exec, s[2:3]
	v_mov_b32_e32 v1, s0
	s_cbranch_vccnz .LBB157_4
; %bb.3:
	v_mov_b32_e32 v2, s1
	v_mov_b32_e32 v1, s0
	flat_load_dwordx2 v[1:2], v[1:2]
.LBB157_4:
	s_waitcnt vmcnt(0) lgkmcnt(0)
	v_cmp_neq_f64_e32 vcc, 0, v[3:4]
	v_cmp_neq_f64_e64 s[0:1], 1.0, v[1:2]
	s_or_b64 s[0:1], vcc, s[0:1]
	s_and_saveexec_b64 s[2:3], s[0:1]
	s_cbranch_execz .LBB157_41
; %bb.5:
	s_load_dwordx4 s[0:3], s[4:5], 0x20
	s_load_dwordx2 s[8:9], s[4:5], 0x30
	s_mov_b32 s7, 0
	s_waitcnt lgkmcnt(0)
	s_cmp_eq_u64 s[0:1], 0
	s_cbranch_scc1 .LBB157_7
; %bb.6:
	s_lshl_b64 s[6:7], s[6:7], 3
	s_add_u32 s0, s0, s6
	s_addc_u32 s1, s1, s7
	s_load_dwordx2 s[0:1], s[0:1], 0x0
	s_waitcnt lgkmcnt(0)
	s_sub_u32 s6, s0, s14
	s_subb_u32 s7, s1, 0
.LBB157_7:
	s_load_dword s10, s[4:5], 0x8
	s_load_dwordx2 s[12:13], s[4:5], 0x58
	v_mul_u32_u24_e32 v8, 0x889, v0
	v_mov_b32_e32 v5, 30
	v_mul_lo_u16_sdwa v5, v8, v5 dst_sel:DWORD dst_unused:UNUSED_PAD src0_sel:WORD_1 src1_sel:DWORD
	s_waitcnt lgkmcnt(0)
	s_cmp_eq_u32 s10, 1
	s_cselect_b64 s[0:1], -1, 0
	s_cmp_lg_u32 s10, 1
	s_cselect_b64 s[16:17], -1, 0
	s_lshl_b64 s[10:11], s[6:7], 3
	s_add_u32 s20, s2, s10
	s_addc_u32 s21, s3, s11
	s_add_u32 s2, s20, 8
	s_addc_u32 s3, s21, 0
	;; [unrolled: 2-line block ×3, first 2 shown]
	s_cmp_eq_u64 s[8:9], 0
	s_cselect_b32 s9, s3, s11
	s_cselect_b32 s8, s2, s10
	s_load_dwordx2 s[2:3], s[8:9], 0x0
	s_load_dwordx2 s[18:19], s[20:21], 0x0
	v_sub_u16_e32 v16, v0, v5
	v_mov_b32_e32 v7, 0
	v_lshlrev_b32_e32 v15, 3, v0
	s_waitcnt lgkmcnt(0)
	v_mov_b32_e32 v6, s3
	v_mov_b32_e32 v5, s2
	v_cmp_ge_i64_e32 vcc, s[18:19], v[5:6]
	v_mov_b32_e32 v5, 0
	v_mov_b32_e32 v6, 0
	s_cbranch_vccnz .LBB157_12
; %bb.8:
	s_load_dwordx4 s[8:11], s[4:5], 0x38
	s_load_dwordx2 s[20:21], s[4:5], 0x48
	s_mov_b32 s4, 0xffff
	s_movk_i32 s5, 0x384
	v_and_b32_sdwa v5, s4, v8 dst_sel:DWORD dst_unused:UNUSED_PAD src0_sel:DWORD src1_sel:WORD_1
	s_sub_u32 s2, s2, s14
	v_subrev_u32_e32 v6, 30, v5
	v_cmp_gt_u32_e32 vcc, s5, v0
	s_subb_u32 s3, s3, 0
	v_cndmask_b32_e32 v5, v6, v5, vcc
	s_sub_u32 s4, s18, s14
	v_cndmask_b32_e64 v6, v16, v5, s[0:1]
	s_subb_u32 s5, s19, 0
	v_lshlrev_b64 v[5:6], 3, v[6:7]
	s_mul_i32 s0, s5, 0x1c20
	s_mul_hi_u32 s1, s4, 0x1c20
	s_add_i32 s1, s1, s0
	s_mul_i32 s0, s4, 0x1c20
	s_waitcnt lgkmcnt(0)
	v_mov_b32_e32 v8, s21
	v_add_co_u32_e32 v7, vcc, s20, v5
	s_add_u32 s0, s10, s0
	v_addc_co_u32_e32 v8, vcc, v8, v6, vcc
	s_addc_u32 s1, s11, s1
	v_mov_b32_e32 v5, s1
	v_add_co_u32_e32 v9, vcc, s0, v15
	v_addc_co_u32_e32 v10, vcc, 0, v5, vcc
	s_movk_i32 s0, 0x383
	v_cmp_lt_u32_e32 vcc, s0, v0
	v_cndmask_b32_e64 v17, 0, 1, vcc
	v_mov_b32_e32 v5, s19
	v_add_co_u32_e32 v6, vcc, s18, v17
	v_addc_co_u32_e32 v11, vcc, 0, v5, vcc
	v_subrev_co_u32_e32 v5, vcc, s14, v6
	v_subbrev_co_u32_e32 v6, vcc, 0, v11, vcc
	v_lshlrev_b64 v[5:6], 3, v[5:6]
	v_mov_b32_e32 v12, s9
	v_add_co_u32_e32 v11, vcc, s8, v5
	v_addc_co_u32_e32 v12, vcc, v12, v6, vcc
	v_mov_b32_e32 v5, 0
	v_mov_b32_e32 v14, s3
	;; [unrolled: 1-line block ×3, first 2 shown]
	s_movk_i32 s8, 0xf0
	v_mov_b32_e32 v13, s2
	s_branch .LBB157_10
.LBB157_9:                              ;   in Loop: Header=BB157_10 Depth=1
	s_or_b64 exec, exec, s[0:1]
	s_add_u32 s4, s4, 1
	s_addc_u32 s5, s5, 0
	v_cmp_lt_i64_e32 vcc, s[4:5], v[13:14]
	v_add_co_u32_e64 v11, s[0:1], 8, v11
	v_addc_co_u32_e64 v12, s[0:1], 0, v12, s[0:1]
	s_cbranch_vccz .LBB157_12
.LBB157_10:                             ; =>This Inner Loop Header: Depth=1
	v_mov_b32_e32 v19, s5
	v_add_co_u32_e32 v18, vcc, s4, v17
	v_addc_co_u32_e32 v19, vcc, 0, v19, vcc
	v_cmp_gt_i64_e32 vcc, s[2:3], v[18:19]
	s_and_saveexec_b64 s[0:1], vcc
	s_cbranch_execz .LBB157_9
; %bb.11:                               ;   in Loop: Header=BB157_10 Depth=1
	global_load_dwordx2 v[18:19], v[11:12], off
	s_waitcnt vmcnt(0)
	v_subrev_co_u32_e32 v18, vcc, s14, v18
	v_subbrev_co_u32_e32 v20, vcc, 0, v19, vcc
	v_mad_u64_u32 v[18:19], s[10:11], v18, s8, v[7:8]
	v_mad_u64_u32 v[19:20], s[10:11], v20, s8, v[19:20]
	global_load_dwordx2 v[20:21], v[9:10], off
	s_nop 0
	global_load_dwordx2 v[18:19], v[18:19], off
	v_add_co_u32_e32 v9, vcc, 0x1c20, v9
	v_addc_co_u32_e32 v10, vcc, 0, v10, vcc
	s_waitcnt vmcnt(0)
	v_fma_f64 v[5:6], v[20:21], v[18:19], v[5:6]
	s_branch .LBB157_9
.LBB157_12:
	s_and_b64 vcc, exec, s[16:17]
	ds_write_b64 v15, v[5:6]
	s_waitcnt lgkmcnt(0)
	s_barrier
	s_cbranch_vccz .LBB157_24
; %bb.13:
	v_cmp_gt_u16_e32 vcc, 14, v16
	s_and_saveexec_b64 s[0:1], vcc
	s_cbranch_execz .LBB157_15
; %bb.14:
	ds_read2_b64 v[7:10], v15 offset1:16
	s_waitcnt lgkmcnt(0)
	v_add_f64 v[7:8], v[9:10], v[7:8]
	ds_write_b64 v15, v[7:8]
.LBB157_15:
	s_or_b64 exec, exec, s[0:1]
	v_cmp_gt_u16_e32 vcc, 8, v16
	s_waitcnt lgkmcnt(0)
	s_barrier
	s_and_saveexec_b64 s[0:1], vcc
	s_cbranch_execz .LBB157_17
; %bb.16:
	ds_read2_b64 v[7:10], v15 offset1:8
	s_waitcnt lgkmcnt(0)
	v_add_f64 v[7:8], v[9:10], v[7:8]
	ds_write_b64 v15, v[7:8]
.LBB157_17:
	s_or_b64 exec, exec, s[0:1]
	v_cmp_gt_u16_e32 vcc, 4, v16
	s_waitcnt lgkmcnt(0)
	s_barrier
	;; [unrolled: 12-line block ×3, first 2 shown]
	s_and_saveexec_b64 s[0:1], vcc
	s_cbranch_execz .LBB157_21
; %bb.20:
	ds_read2_b64 v[7:10], v15 offset1:2
	s_waitcnt lgkmcnt(0)
	v_add_f64 v[7:8], v[9:10], v[7:8]
	ds_write_b64 v15, v[7:8]
.LBB157_21:
	s_or_b64 exec, exec, s[0:1]
	v_mov_b32_e32 v8, v6
	v_cmp_gt_u32_e32 vcc, 30, v0
	v_mov_b32_e32 v7, v5
	s_waitcnt lgkmcnt(0)
	s_barrier
	s_and_saveexec_b64 s[0:1], vcc
	s_cbranch_execz .LBB157_23
; %bb.22:
	s_movk_i32 s2, 0xe8
	v_mad_u32_u24 v7, v0, s2, v15
	ds_read_b128 v[7:10], v7
	s_waitcnt lgkmcnt(0)
	v_add_f64 v[7:8], v[7:8], v[9:10]
.LBB157_23:
	s_or_b64 exec, exec, s[0:1]
	s_branch .LBB157_36
.LBB157_24:
                                        ; implicit-def: $vgpr7_vgpr8
	s_cbranch_execz .LBB157_36
; %bb.25:
	s_movk_i32 s0, 0x1a4
	v_cmp_gt_u32_e32 vcc, s0, v0
	s_and_saveexec_b64 s[0:1], vcc
	s_cbranch_execz .LBB157_27
; %bb.26:
	ds_read_b64 v[7:8], v15 offset:3840
	ds_read_b64 v[9:10], v15
	s_waitcnt lgkmcnt(0)
	v_add_f64 v[7:8], v[7:8], v[9:10]
	ds_write_b64 v15, v[7:8]
.LBB157_27:
	s_or_b64 exec, exec, s[0:1]
	s_movk_i32 s0, 0xf0
	v_cmp_gt_u32_e32 vcc, s0, v0
	s_waitcnt lgkmcnt(0)
	s_barrier
	s_and_saveexec_b64 s[0:1], vcc
	s_cbranch_execz .LBB157_29
; %bb.28:
	ds_read2_b64 v[7:10], v15 offset1:240
	s_waitcnt lgkmcnt(0)
	v_add_f64 v[7:8], v[9:10], v[7:8]
	ds_write_b64 v15, v[7:8]
.LBB157_29:
	s_or_b64 exec, exec, s[0:1]
	s_movk_i32 s0, 0x78
	v_cmp_gt_u32_e32 vcc, s0, v0
	s_waitcnt lgkmcnt(0)
	s_barrier
	s_and_saveexec_b64 s[0:1], vcc
	s_cbranch_execz .LBB157_31
; %bb.30:
	ds_read2_b64 v[7:10], v15 offset1:120
	s_waitcnt lgkmcnt(0)
	v_add_f64 v[7:8], v[9:10], v[7:8]
	ds_write_b64 v15, v[7:8]
.LBB157_31:
	s_or_b64 exec, exec, s[0:1]
	v_cmp_gt_u32_e32 vcc, 60, v0
	s_waitcnt lgkmcnt(0)
	s_barrier
	s_and_saveexec_b64 s[0:1], vcc
	s_cbranch_execz .LBB157_33
; %bb.32:
	ds_read2_b64 v[7:10], v15 offset1:60
	s_waitcnt lgkmcnt(0)
	v_add_f64 v[7:8], v[9:10], v[7:8]
	ds_write_b64 v15, v[7:8]
.LBB157_33:
	s_or_b64 exec, exec, s[0:1]
	v_cmp_gt_u32_e32 vcc, 30, v0
	s_waitcnt lgkmcnt(0)
	s_and_saveexec_b64 s[0:1], vcc
	s_cbranch_execz .LBB157_35
; %bb.34:
	ds_read2_b64 v[5:8], v15 offset1:30
	s_waitcnt lgkmcnt(0)
	v_add_f64 v[5:6], v[5:6], v[7:8]
.LBB157_35:
	s_or_b64 exec, exec, s[0:1]
	v_mov_b32_e32 v8, v6
	v_mov_b32_e32 v7, v5
.LBB157_36:
	v_cmp_gt_u32_e32 vcc, 30, v0
	s_and_b64 exec, exec, vcc
	s_cbranch_execz .LBB157_41
; %bb.37:
	v_cmp_eq_f64_e32 vcc, 0, v[1:2]
	v_mul_f64 v[3:4], v[3:4], v[7:8]
	s_mul_i32 s2, s7, 0xf0
	s_mul_hi_u32 s3, s6, 0xf0
	s_mul_i32 s4, s6, 0xf0
	s_and_saveexec_b64 s[0:1], vcc
	s_xor_b64 s[0:1], exec, s[0:1]
	s_cbranch_execz .LBB157_39
; %bb.38:
	s_add_i32 s5, s3, s2
	s_add_u32 s6, s12, s4
	s_addc_u32 s7, s13, s5
	global_store_dwordx2 v15, v[3:4], s[6:7]
                                        ; implicit-def: $vgpr15
                                        ; implicit-def: $vgpr1_vgpr2
                                        ; implicit-def: $vgpr3_vgpr4
.LBB157_39:
	s_andn2_saveexec_b64 s[0:1], s[0:1]
	s_cbranch_execz .LBB157_41
; %bb.40:
	s_add_i32 s3, s3, s2
	s_add_u32 s0, s12, s4
	s_addc_u32 s1, s13, s3
	global_load_dwordx2 v[5:6], v15, s[0:1]
	s_waitcnt vmcnt(0)
	v_fma_f64 v[0:1], v[1:2], v[5:6], v[3:4]
	global_store_dwordx2 v15, v[0:1], s[0:1]
.LBB157_41:
	s_endpgm
	.section	.rodata,"a",@progbits
	.p2align	6, 0x0
	.amdhsa_kernel _ZN9rocsparseL20bsrxmvn_17_32_kernelILj30EdlldddEEvT2_20rocsparse_direction_NS_24const_host_device_scalarIT0_EES1_PKS1_PKT1_SA_S7_PKT3_PKT4_S5_PT5_21rocsparse_index_base_b
		.amdhsa_group_segment_fixed_size 7200
		.amdhsa_private_segment_fixed_size 0
		.amdhsa_kernarg_size 104
		.amdhsa_user_sgpr_count 6
		.amdhsa_user_sgpr_private_segment_buffer 1
		.amdhsa_user_sgpr_dispatch_ptr 0
		.amdhsa_user_sgpr_queue_ptr 0
		.amdhsa_user_sgpr_kernarg_segment_ptr 1
		.amdhsa_user_sgpr_dispatch_id 0
		.amdhsa_user_sgpr_flat_scratch_init 0
		.amdhsa_user_sgpr_private_segment_size 0
		.amdhsa_uses_dynamic_stack 0
		.amdhsa_system_sgpr_private_segment_wavefront_offset 0
		.amdhsa_system_sgpr_workgroup_id_x 1
		.amdhsa_system_sgpr_workgroup_id_y 0
		.amdhsa_system_sgpr_workgroup_id_z 0
		.amdhsa_system_sgpr_workgroup_info 0
		.amdhsa_system_vgpr_workitem_id 0
		.amdhsa_next_free_vgpr 29
		.amdhsa_next_free_sgpr 61
		.amdhsa_reserve_vcc 1
		.amdhsa_reserve_flat_scratch 0
		.amdhsa_float_round_mode_32 0
		.amdhsa_float_round_mode_16_64 0
		.amdhsa_float_denorm_mode_32 3
		.amdhsa_float_denorm_mode_16_64 3
		.amdhsa_dx10_clamp 1
		.amdhsa_ieee_mode 1
		.amdhsa_fp16_overflow 0
		.amdhsa_exception_fp_ieee_invalid_op 0
		.amdhsa_exception_fp_denorm_src 0
		.amdhsa_exception_fp_ieee_div_zero 0
		.amdhsa_exception_fp_ieee_overflow 0
		.amdhsa_exception_fp_ieee_underflow 0
		.amdhsa_exception_fp_ieee_inexact 0
		.amdhsa_exception_int_div_zero 0
	.end_amdhsa_kernel
	.section	.text._ZN9rocsparseL20bsrxmvn_17_32_kernelILj30EdlldddEEvT2_20rocsparse_direction_NS_24const_host_device_scalarIT0_EES1_PKS1_PKT1_SA_S7_PKT3_PKT4_S5_PT5_21rocsparse_index_base_b,"axG",@progbits,_ZN9rocsparseL20bsrxmvn_17_32_kernelILj30EdlldddEEvT2_20rocsparse_direction_NS_24const_host_device_scalarIT0_EES1_PKS1_PKT1_SA_S7_PKT3_PKT4_S5_PT5_21rocsparse_index_base_b,comdat
.Lfunc_end157:
	.size	_ZN9rocsparseL20bsrxmvn_17_32_kernelILj30EdlldddEEvT2_20rocsparse_direction_NS_24const_host_device_scalarIT0_EES1_PKS1_PKT1_SA_S7_PKT3_PKT4_S5_PT5_21rocsparse_index_base_b, .Lfunc_end157-_ZN9rocsparseL20bsrxmvn_17_32_kernelILj30EdlldddEEvT2_20rocsparse_direction_NS_24const_host_device_scalarIT0_EES1_PKS1_PKT1_SA_S7_PKT3_PKT4_S5_PT5_21rocsparse_index_base_b
                                        ; -- End function
	.set _ZN9rocsparseL20bsrxmvn_17_32_kernelILj30EdlldddEEvT2_20rocsparse_direction_NS_24const_host_device_scalarIT0_EES1_PKS1_PKT1_SA_S7_PKT3_PKT4_S5_PT5_21rocsparse_index_base_b.num_vgpr, 22
	.set _ZN9rocsparseL20bsrxmvn_17_32_kernelILj30EdlldddEEvT2_20rocsparse_direction_NS_24const_host_device_scalarIT0_EES1_PKS1_PKT1_SA_S7_PKT3_PKT4_S5_PT5_21rocsparse_index_base_b.num_agpr, 0
	.set _ZN9rocsparseL20bsrxmvn_17_32_kernelILj30EdlldddEEvT2_20rocsparse_direction_NS_24const_host_device_scalarIT0_EES1_PKS1_PKT1_SA_S7_PKT3_PKT4_S5_PT5_21rocsparse_index_base_b.numbered_sgpr, 22
	.set _ZN9rocsparseL20bsrxmvn_17_32_kernelILj30EdlldddEEvT2_20rocsparse_direction_NS_24const_host_device_scalarIT0_EES1_PKS1_PKT1_SA_S7_PKT3_PKT4_S5_PT5_21rocsparse_index_base_b.num_named_barrier, 0
	.set _ZN9rocsparseL20bsrxmvn_17_32_kernelILj30EdlldddEEvT2_20rocsparse_direction_NS_24const_host_device_scalarIT0_EES1_PKS1_PKT1_SA_S7_PKT3_PKT4_S5_PT5_21rocsparse_index_base_b.private_seg_size, 0
	.set _ZN9rocsparseL20bsrxmvn_17_32_kernelILj30EdlldddEEvT2_20rocsparse_direction_NS_24const_host_device_scalarIT0_EES1_PKS1_PKT1_SA_S7_PKT3_PKT4_S5_PT5_21rocsparse_index_base_b.uses_vcc, 1
	.set _ZN9rocsparseL20bsrxmvn_17_32_kernelILj30EdlldddEEvT2_20rocsparse_direction_NS_24const_host_device_scalarIT0_EES1_PKS1_PKT1_SA_S7_PKT3_PKT4_S5_PT5_21rocsparse_index_base_b.uses_flat_scratch, 0
	.set _ZN9rocsparseL20bsrxmvn_17_32_kernelILj30EdlldddEEvT2_20rocsparse_direction_NS_24const_host_device_scalarIT0_EES1_PKS1_PKT1_SA_S7_PKT3_PKT4_S5_PT5_21rocsparse_index_base_b.has_dyn_sized_stack, 0
	.set _ZN9rocsparseL20bsrxmvn_17_32_kernelILj30EdlldddEEvT2_20rocsparse_direction_NS_24const_host_device_scalarIT0_EES1_PKS1_PKT1_SA_S7_PKT3_PKT4_S5_PT5_21rocsparse_index_base_b.has_recursion, 0
	.set _ZN9rocsparseL20bsrxmvn_17_32_kernelILj30EdlldddEEvT2_20rocsparse_direction_NS_24const_host_device_scalarIT0_EES1_PKS1_PKT1_SA_S7_PKT3_PKT4_S5_PT5_21rocsparse_index_base_b.has_indirect_call, 0
	.section	.AMDGPU.csdata,"",@progbits
; Kernel info:
; codeLenInByte = 1412
; TotalNumSgprs: 26
; NumVgprs: 22
; ScratchSize: 0
; MemoryBound: 1
; FloatMode: 240
; IeeeMode: 1
; LDSByteSize: 7200 bytes/workgroup (compile time only)
; SGPRBlocks: 8
; VGPRBlocks: 7
; NumSGPRsForWavesPerEU: 65
; NumVGPRsForWavesPerEU: 29
; Occupancy: 8
; WaveLimiterHint : 1
; COMPUTE_PGM_RSRC2:SCRATCH_EN: 0
; COMPUTE_PGM_RSRC2:USER_SGPR: 6
; COMPUTE_PGM_RSRC2:TRAP_HANDLER: 0
; COMPUTE_PGM_RSRC2:TGID_X_EN: 1
; COMPUTE_PGM_RSRC2:TGID_Y_EN: 0
; COMPUTE_PGM_RSRC2:TGID_Z_EN: 0
; COMPUTE_PGM_RSRC2:TIDIG_COMP_CNT: 0
	.section	.text._ZN9rocsparseL20bsrxmvn_17_32_kernelILj31EdlldddEEvT2_20rocsparse_direction_NS_24const_host_device_scalarIT0_EES1_PKS1_PKT1_SA_S7_PKT3_PKT4_S5_PT5_21rocsparse_index_base_b,"axG",@progbits,_ZN9rocsparseL20bsrxmvn_17_32_kernelILj31EdlldddEEvT2_20rocsparse_direction_NS_24const_host_device_scalarIT0_EES1_PKS1_PKT1_SA_S7_PKT3_PKT4_S5_PT5_21rocsparse_index_base_b,comdat
	.globl	_ZN9rocsparseL20bsrxmvn_17_32_kernelILj31EdlldddEEvT2_20rocsparse_direction_NS_24const_host_device_scalarIT0_EES1_PKS1_PKT1_SA_S7_PKT3_PKT4_S5_PT5_21rocsparse_index_base_b ; -- Begin function _ZN9rocsparseL20bsrxmvn_17_32_kernelILj31EdlldddEEvT2_20rocsparse_direction_NS_24const_host_device_scalarIT0_EES1_PKS1_PKT1_SA_S7_PKT3_PKT4_S5_PT5_21rocsparse_index_base_b
	.p2align	8
	.type	_ZN9rocsparseL20bsrxmvn_17_32_kernelILj31EdlldddEEvT2_20rocsparse_direction_NS_24const_host_device_scalarIT0_EES1_PKS1_PKT1_SA_S7_PKT3_PKT4_S5_PT5_21rocsparse_index_base_b,@function
_ZN9rocsparseL20bsrxmvn_17_32_kernelILj31EdlldddEEvT2_20rocsparse_direction_NS_24const_host_device_scalarIT0_EES1_PKS1_PKT1_SA_S7_PKT3_PKT4_S5_PT5_21rocsparse_index_base_b: ; @_ZN9rocsparseL20bsrxmvn_17_32_kernelILj31EdlldddEEvT2_20rocsparse_direction_NS_24const_host_device_scalarIT0_EES1_PKS1_PKT1_SA_S7_PKT3_PKT4_S5_PT5_21rocsparse_index_base_b
; %bb.0:
	s_load_dwordx2 s[14:15], s[4:5], 0x60
	s_load_dwordx2 s[8:9], s[4:5], 0x10
	;; [unrolled: 1-line block ×3, first 2 shown]
	s_waitcnt lgkmcnt(0)
	s_bitcmp1_b32 s15, 0
	s_cselect_b64 s[10:11], -1, 0
	v_mov_b32_e32 v3, s8
	s_xor_b64 s[2:3], s[10:11], -1
	s_and_b64 vcc, exec, s[10:11]
	v_mov_b32_e32 v4, s9
	s_cbranch_vccnz .LBB158_2
; %bb.1:
	v_mov_b32_e32 v1, s8
	v_mov_b32_e32 v2, s9
	flat_load_dwordx2 v[3:4], v[1:2]
.LBB158_2:
	v_mov_b32_e32 v2, s1
	s_andn2_b64 vcc, exec, s[2:3]
	v_mov_b32_e32 v1, s0
	s_cbranch_vccnz .LBB158_4
; %bb.3:
	v_mov_b32_e32 v2, s1
	v_mov_b32_e32 v1, s0
	flat_load_dwordx2 v[1:2], v[1:2]
.LBB158_4:
	s_waitcnt vmcnt(0) lgkmcnt(0)
	v_cmp_neq_f64_e32 vcc, 0, v[3:4]
	v_cmp_neq_f64_e64 s[0:1], 1.0, v[1:2]
	s_or_b64 s[0:1], vcc, s[0:1]
	s_and_saveexec_b64 s[2:3], s[0:1]
	s_cbranch_execz .LBB158_41
; %bb.5:
	s_load_dwordx4 s[0:3], s[4:5], 0x20
	s_load_dwordx2 s[8:9], s[4:5], 0x30
	s_mov_b32 s7, 0
	s_waitcnt lgkmcnt(0)
	s_cmp_eq_u64 s[0:1], 0
	s_cbranch_scc1 .LBB158_7
; %bb.6:
	s_lshl_b64 s[6:7], s[6:7], 3
	s_add_u32 s0, s0, s6
	s_addc_u32 s1, s1, s7
	s_load_dwordx2 s[0:1], s[0:1], 0x0
	s_waitcnt lgkmcnt(0)
	s_sub_u32 s6, s0, s14
	s_subb_u32 s7, s1, 0
.LBB158_7:
	s_load_dword s10, s[4:5], 0x8
	s_load_dwordx2 s[12:13], s[4:5], 0x58
	v_mul_u32_u24_e32 v8, 0x843, v0
	v_mov_b32_e32 v5, 31
	v_mul_lo_u16_sdwa v5, v8, v5 dst_sel:DWORD dst_unused:UNUSED_PAD src0_sel:WORD_1 src1_sel:DWORD
	s_waitcnt lgkmcnt(0)
	s_cmp_eq_u32 s10, 1
	s_cselect_b64 s[0:1], -1, 0
	s_cmp_lg_u32 s10, 1
	s_cselect_b64 s[16:17], -1, 0
	s_lshl_b64 s[10:11], s[6:7], 3
	s_add_u32 s20, s2, s10
	s_addc_u32 s21, s3, s11
	s_add_u32 s2, s20, 8
	s_addc_u32 s3, s21, 0
	;; [unrolled: 2-line block ×3, first 2 shown]
	s_cmp_eq_u64 s[8:9], 0
	s_cselect_b32 s9, s3, s11
	s_cselect_b32 s8, s2, s10
	s_load_dwordx2 s[2:3], s[8:9], 0x0
	s_load_dwordx2 s[18:19], s[20:21], 0x0
	v_sub_u16_e32 v16, v0, v5
	v_mov_b32_e32 v7, 0
	v_lshlrev_b32_e32 v15, 3, v0
	s_waitcnt lgkmcnt(0)
	v_mov_b32_e32 v6, s3
	v_mov_b32_e32 v5, s2
	v_cmp_ge_i64_e32 vcc, s[18:19], v[5:6]
	v_mov_b32_e32 v5, 0
	v_mov_b32_e32 v6, 0
	s_cbranch_vccnz .LBB158_12
; %bb.8:
	s_load_dwordx4 s[8:11], s[4:5], 0x38
	s_load_dwordx2 s[20:21], s[4:5], 0x48
	s_mov_b32 s4, 0xffff
	s_movk_i32 s5, 0x3c1
	v_and_b32_sdwa v5, s4, v8 dst_sel:DWORD dst_unused:UNUSED_PAD src0_sel:DWORD src1_sel:WORD_1
	s_sub_u32 s2, s2, s14
	v_subrev_u32_e32 v6, 31, v5
	v_cmp_gt_u32_e32 vcc, s5, v0
	s_subb_u32 s3, s3, 0
	v_cndmask_b32_e32 v5, v6, v5, vcc
	s_sub_u32 s4, s18, s14
	v_cndmask_b32_e64 v6, v16, v5, s[0:1]
	s_subb_u32 s5, s19, 0
	v_lshlrev_b64 v[5:6], 3, v[6:7]
	s_mul_i32 s0, s5, 0x1e08
	s_mul_hi_u32 s1, s4, 0x1e08
	s_add_i32 s1, s1, s0
	s_mul_i32 s0, s4, 0x1e08
	s_waitcnt lgkmcnt(0)
	v_mov_b32_e32 v8, s21
	v_add_co_u32_e32 v7, vcc, s20, v5
	s_add_u32 s0, s10, s0
	v_addc_co_u32_e32 v8, vcc, v8, v6, vcc
	s_addc_u32 s1, s11, s1
	v_mov_b32_e32 v5, s1
	v_add_co_u32_e32 v9, vcc, s0, v15
	v_addc_co_u32_e32 v10, vcc, 0, v5, vcc
	s_movk_i32 s0, 0x3c0
	v_cmp_lt_u32_e32 vcc, s0, v0
	v_cndmask_b32_e64 v17, 0, 1, vcc
	v_mov_b32_e32 v5, s19
	v_add_co_u32_e32 v6, vcc, s18, v17
	v_addc_co_u32_e32 v11, vcc, 0, v5, vcc
	v_subrev_co_u32_e32 v5, vcc, s14, v6
	v_subbrev_co_u32_e32 v6, vcc, 0, v11, vcc
	v_lshlrev_b64 v[5:6], 3, v[5:6]
	v_mov_b32_e32 v12, s9
	v_add_co_u32_e32 v11, vcc, s8, v5
	v_addc_co_u32_e32 v12, vcc, v12, v6, vcc
	v_mov_b32_e32 v5, 0
	v_mov_b32_e32 v14, s3
	;; [unrolled: 1-line block ×3, first 2 shown]
	s_movk_i32 s8, 0xf8
	v_mov_b32_e32 v13, s2
	s_branch .LBB158_10
.LBB158_9:                              ;   in Loop: Header=BB158_10 Depth=1
	s_or_b64 exec, exec, s[0:1]
	s_add_u32 s4, s4, 1
	s_addc_u32 s5, s5, 0
	v_cmp_lt_i64_e32 vcc, s[4:5], v[13:14]
	v_add_co_u32_e64 v11, s[0:1], 8, v11
	v_addc_co_u32_e64 v12, s[0:1], 0, v12, s[0:1]
	s_cbranch_vccz .LBB158_12
.LBB158_10:                             ; =>This Inner Loop Header: Depth=1
	v_mov_b32_e32 v19, s5
	v_add_co_u32_e32 v18, vcc, s4, v17
	v_addc_co_u32_e32 v19, vcc, 0, v19, vcc
	v_cmp_gt_i64_e32 vcc, s[2:3], v[18:19]
	s_and_saveexec_b64 s[0:1], vcc
	s_cbranch_execz .LBB158_9
; %bb.11:                               ;   in Loop: Header=BB158_10 Depth=1
	global_load_dwordx2 v[18:19], v[11:12], off
	s_waitcnt vmcnt(0)
	v_subrev_co_u32_e32 v18, vcc, s14, v18
	v_subbrev_co_u32_e32 v20, vcc, 0, v19, vcc
	v_mad_u64_u32 v[18:19], s[10:11], v18, s8, v[7:8]
	v_mad_u64_u32 v[19:20], s[10:11], v20, s8, v[19:20]
	global_load_dwordx2 v[20:21], v[9:10], off
	s_nop 0
	global_load_dwordx2 v[18:19], v[18:19], off
	v_add_co_u32_e32 v9, vcc, 0x1e08, v9
	v_addc_co_u32_e32 v10, vcc, 0, v10, vcc
	s_waitcnt vmcnt(0)
	v_fma_f64 v[5:6], v[20:21], v[18:19], v[5:6]
	s_branch .LBB158_9
.LBB158_12:
	s_and_b64 vcc, exec, s[16:17]
	ds_write_b64 v15, v[5:6]
	s_waitcnt lgkmcnt(0)
	s_barrier
	s_cbranch_vccz .LBB158_24
; %bb.13:
	v_cmp_gt_u16_e32 vcc, 15, v16
	s_and_saveexec_b64 s[0:1], vcc
	s_cbranch_execz .LBB158_15
; %bb.14:
	ds_read2_b64 v[7:10], v15 offset1:16
	s_waitcnt lgkmcnt(0)
	v_add_f64 v[7:8], v[9:10], v[7:8]
	ds_write_b64 v15, v[7:8]
.LBB158_15:
	s_or_b64 exec, exec, s[0:1]
	v_cmp_gt_u16_e32 vcc, 8, v16
	s_waitcnt lgkmcnt(0)
	s_barrier
	s_and_saveexec_b64 s[0:1], vcc
	s_cbranch_execz .LBB158_17
; %bb.16:
	ds_read2_b64 v[7:10], v15 offset1:8
	s_waitcnt lgkmcnt(0)
	v_add_f64 v[7:8], v[9:10], v[7:8]
	ds_write_b64 v15, v[7:8]
.LBB158_17:
	s_or_b64 exec, exec, s[0:1]
	v_cmp_gt_u16_e32 vcc, 4, v16
	s_waitcnt lgkmcnt(0)
	s_barrier
	s_and_saveexec_b64 s[0:1], vcc
	s_cbranch_execz .LBB158_19
; %bb.18:
	ds_read2_b64 v[7:10], v15 offset1:4
	s_waitcnt lgkmcnt(0)
	v_add_f64 v[7:8], v[9:10], v[7:8]
	ds_write_b64 v15, v[7:8]
.LBB158_19:
	s_or_b64 exec, exec, s[0:1]
	v_cmp_gt_u16_e32 vcc, 2, v16
	s_waitcnt lgkmcnt(0)
	s_barrier
	s_and_saveexec_b64 s[0:1], vcc
	s_cbranch_execz .LBB158_21
; %bb.20:
	ds_read2_b64 v[7:10], v15 offset1:2
	s_waitcnt lgkmcnt(0)
	v_add_f64 v[7:8], v[9:10], v[7:8]
	ds_write_b64 v15, v[7:8]
.LBB158_21:
	s_or_b64 exec, exec, s[0:1]
	v_mov_b32_e32 v8, v6
	v_cmp_gt_u32_e32 vcc, 31, v0
	v_mov_b32_e32 v7, v5
	s_waitcnt lgkmcnt(0)
	s_barrier
	s_and_saveexec_b64 s[0:1], vcc
	s_cbranch_execz .LBB158_23
; %bb.22:
	s_movk_i32 s2, 0xf0
	v_mad_u32_u24 v7, v0, s2, v15
	ds_read2_b64 v[7:10], v7 offset1:1
	s_waitcnt lgkmcnt(0)
	v_add_f64 v[7:8], v[7:8], v[9:10]
.LBB158_23:
	s_or_b64 exec, exec, s[0:1]
	s_branch .LBB158_36
.LBB158_24:
                                        ; implicit-def: $vgpr7_vgpr8
	s_cbranch_execz .LBB158_36
; %bb.25:
	s_movk_i32 s0, 0x1d1
	v_cmp_gt_u32_e32 vcc, s0, v0
	s_and_saveexec_b64 s[0:1], vcc
	s_cbranch_execz .LBB158_27
; %bb.26:
	ds_read_b64 v[7:8], v15 offset:3968
	ds_read_b64 v[9:10], v15
	s_waitcnt lgkmcnt(0)
	v_add_f64 v[7:8], v[7:8], v[9:10]
	ds_write_b64 v15, v[7:8]
.LBB158_27:
	s_or_b64 exec, exec, s[0:1]
	s_movk_i32 s0, 0xf8
	v_cmp_gt_u32_e32 vcc, s0, v0
	s_waitcnt lgkmcnt(0)
	s_barrier
	s_and_saveexec_b64 s[0:1], vcc
	s_cbranch_execz .LBB158_29
; %bb.28:
	ds_read2_b64 v[7:10], v15 offset1:248
	s_waitcnt lgkmcnt(0)
	v_add_f64 v[7:8], v[9:10], v[7:8]
	ds_write_b64 v15, v[7:8]
.LBB158_29:
	s_or_b64 exec, exec, s[0:1]
	s_movk_i32 s0, 0x7c
	v_cmp_gt_u32_e32 vcc, s0, v0
	s_waitcnt lgkmcnt(0)
	s_barrier
	s_and_saveexec_b64 s[0:1], vcc
	s_cbranch_execz .LBB158_31
; %bb.30:
	ds_read2_b64 v[7:10], v15 offset1:124
	s_waitcnt lgkmcnt(0)
	v_add_f64 v[7:8], v[9:10], v[7:8]
	ds_write_b64 v15, v[7:8]
.LBB158_31:
	s_or_b64 exec, exec, s[0:1]
	v_cmp_gt_u32_e32 vcc, 62, v0
	s_waitcnt lgkmcnt(0)
	s_barrier
	s_and_saveexec_b64 s[0:1], vcc
	s_cbranch_execz .LBB158_33
; %bb.32:
	ds_read2_b64 v[7:10], v15 offset1:62
	s_waitcnt lgkmcnt(0)
	v_add_f64 v[7:8], v[9:10], v[7:8]
	ds_write_b64 v15, v[7:8]
.LBB158_33:
	s_or_b64 exec, exec, s[0:1]
	v_cmp_gt_u32_e32 vcc, 31, v0
	s_waitcnt lgkmcnt(0)
	s_and_saveexec_b64 s[0:1], vcc
	s_cbranch_execz .LBB158_35
; %bb.34:
	ds_read2_b64 v[5:8], v15 offset1:31
	s_waitcnt lgkmcnt(0)
	v_add_f64 v[5:6], v[5:6], v[7:8]
.LBB158_35:
	s_or_b64 exec, exec, s[0:1]
	v_mov_b32_e32 v8, v6
	v_mov_b32_e32 v7, v5
.LBB158_36:
	v_cmp_gt_u32_e32 vcc, 31, v0
	s_and_b64 exec, exec, vcc
	s_cbranch_execz .LBB158_41
; %bb.37:
	v_cmp_eq_f64_e32 vcc, 0, v[1:2]
	v_mul_f64 v[3:4], v[3:4], v[7:8]
	s_mul_i32 s2, s7, 0xf8
	s_mul_hi_u32 s3, s6, 0xf8
	s_mul_i32 s4, s6, 0xf8
	s_and_saveexec_b64 s[0:1], vcc
	s_xor_b64 s[0:1], exec, s[0:1]
	s_cbranch_execz .LBB158_39
; %bb.38:
	s_add_i32 s5, s3, s2
	s_add_u32 s6, s12, s4
	s_addc_u32 s7, s13, s5
	global_store_dwordx2 v15, v[3:4], s[6:7]
                                        ; implicit-def: $vgpr15
                                        ; implicit-def: $vgpr1_vgpr2
                                        ; implicit-def: $vgpr3_vgpr4
.LBB158_39:
	s_andn2_saveexec_b64 s[0:1], s[0:1]
	s_cbranch_execz .LBB158_41
; %bb.40:
	s_add_i32 s3, s3, s2
	s_add_u32 s0, s12, s4
	s_addc_u32 s1, s13, s3
	global_load_dwordx2 v[5:6], v15, s[0:1]
	s_waitcnt vmcnt(0)
	v_fma_f64 v[0:1], v[1:2], v[5:6], v[3:4]
	global_store_dwordx2 v15, v[0:1], s[0:1]
.LBB158_41:
	s_endpgm
	.section	.rodata,"a",@progbits
	.p2align	6, 0x0
	.amdhsa_kernel _ZN9rocsparseL20bsrxmvn_17_32_kernelILj31EdlldddEEvT2_20rocsparse_direction_NS_24const_host_device_scalarIT0_EES1_PKS1_PKT1_SA_S7_PKT3_PKT4_S5_PT5_21rocsparse_index_base_b
		.amdhsa_group_segment_fixed_size 7688
		.amdhsa_private_segment_fixed_size 0
		.amdhsa_kernarg_size 104
		.amdhsa_user_sgpr_count 6
		.amdhsa_user_sgpr_private_segment_buffer 1
		.amdhsa_user_sgpr_dispatch_ptr 0
		.amdhsa_user_sgpr_queue_ptr 0
		.amdhsa_user_sgpr_kernarg_segment_ptr 1
		.amdhsa_user_sgpr_dispatch_id 0
		.amdhsa_user_sgpr_flat_scratch_init 0
		.amdhsa_user_sgpr_private_segment_size 0
		.amdhsa_uses_dynamic_stack 0
		.amdhsa_system_sgpr_private_segment_wavefront_offset 0
		.amdhsa_system_sgpr_workgroup_id_x 1
		.amdhsa_system_sgpr_workgroup_id_y 0
		.amdhsa_system_sgpr_workgroup_id_z 0
		.amdhsa_system_sgpr_workgroup_info 0
		.amdhsa_system_vgpr_workitem_id 0
		.amdhsa_next_free_vgpr 29
		.amdhsa_next_free_sgpr 61
		.amdhsa_reserve_vcc 1
		.amdhsa_reserve_flat_scratch 0
		.amdhsa_float_round_mode_32 0
		.amdhsa_float_round_mode_16_64 0
		.amdhsa_float_denorm_mode_32 3
		.amdhsa_float_denorm_mode_16_64 3
		.amdhsa_dx10_clamp 1
		.amdhsa_ieee_mode 1
		.amdhsa_fp16_overflow 0
		.amdhsa_exception_fp_ieee_invalid_op 0
		.amdhsa_exception_fp_denorm_src 0
		.amdhsa_exception_fp_ieee_div_zero 0
		.amdhsa_exception_fp_ieee_overflow 0
		.amdhsa_exception_fp_ieee_underflow 0
		.amdhsa_exception_fp_ieee_inexact 0
		.amdhsa_exception_int_div_zero 0
	.end_amdhsa_kernel
	.section	.text._ZN9rocsparseL20bsrxmvn_17_32_kernelILj31EdlldddEEvT2_20rocsparse_direction_NS_24const_host_device_scalarIT0_EES1_PKS1_PKT1_SA_S7_PKT3_PKT4_S5_PT5_21rocsparse_index_base_b,"axG",@progbits,_ZN9rocsparseL20bsrxmvn_17_32_kernelILj31EdlldddEEvT2_20rocsparse_direction_NS_24const_host_device_scalarIT0_EES1_PKS1_PKT1_SA_S7_PKT3_PKT4_S5_PT5_21rocsparse_index_base_b,comdat
.Lfunc_end158:
	.size	_ZN9rocsparseL20bsrxmvn_17_32_kernelILj31EdlldddEEvT2_20rocsparse_direction_NS_24const_host_device_scalarIT0_EES1_PKS1_PKT1_SA_S7_PKT3_PKT4_S5_PT5_21rocsparse_index_base_b, .Lfunc_end158-_ZN9rocsparseL20bsrxmvn_17_32_kernelILj31EdlldddEEvT2_20rocsparse_direction_NS_24const_host_device_scalarIT0_EES1_PKS1_PKT1_SA_S7_PKT3_PKT4_S5_PT5_21rocsparse_index_base_b
                                        ; -- End function
	.set _ZN9rocsparseL20bsrxmvn_17_32_kernelILj31EdlldddEEvT2_20rocsparse_direction_NS_24const_host_device_scalarIT0_EES1_PKS1_PKT1_SA_S7_PKT3_PKT4_S5_PT5_21rocsparse_index_base_b.num_vgpr, 22
	.set _ZN9rocsparseL20bsrxmvn_17_32_kernelILj31EdlldddEEvT2_20rocsparse_direction_NS_24const_host_device_scalarIT0_EES1_PKS1_PKT1_SA_S7_PKT3_PKT4_S5_PT5_21rocsparse_index_base_b.num_agpr, 0
	.set _ZN9rocsparseL20bsrxmvn_17_32_kernelILj31EdlldddEEvT2_20rocsparse_direction_NS_24const_host_device_scalarIT0_EES1_PKS1_PKT1_SA_S7_PKT3_PKT4_S5_PT5_21rocsparse_index_base_b.numbered_sgpr, 22
	.set _ZN9rocsparseL20bsrxmvn_17_32_kernelILj31EdlldddEEvT2_20rocsparse_direction_NS_24const_host_device_scalarIT0_EES1_PKS1_PKT1_SA_S7_PKT3_PKT4_S5_PT5_21rocsparse_index_base_b.num_named_barrier, 0
	.set _ZN9rocsparseL20bsrxmvn_17_32_kernelILj31EdlldddEEvT2_20rocsparse_direction_NS_24const_host_device_scalarIT0_EES1_PKS1_PKT1_SA_S7_PKT3_PKT4_S5_PT5_21rocsparse_index_base_b.private_seg_size, 0
	.set _ZN9rocsparseL20bsrxmvn_17_32_kernelILj31EdlldddEEvT2_20rocsparse_direction_NS_24const_host_device_scalarIT0_EES1_PKS1_PKT1_SA_S7_PKT3_PKT4_S5_PT5_21rocsparse_index_base_b.uses_vcc, 1
	.set _ZN9rocsparseL20bsrxmvn_17_32_kernelILj31EdlldddEEvT2_20rocsparse_direction_NS_24const_host_device_scalarIT0_EES1_PKS1_PKT1_SA_S7_PKT3_PKT4_S5_PT5_21rocsparse_index_base_b.uses_flat_scratch, 0
	.set _ZN9rocsparseL20bsrxmvn_17_32_kernelILj31EdlldddEEvT2_20rocsparse_direction_NS_24const_host_device_scalarIT0_EES1_PKS1_PKT1_SA_S7_PKT3_PKT4_S5_PT5_21rocsparse_index_base_b.has_dyn_sized_stack, 0
	.set _ZN9rocsparseL20bsrxmvn_17_32_kernelILj31EdlldddEEvT2_20rocsparse_direction_NS_24const_host_device_scalarIT0_EES1_PKS1_PKT1_SA_S7_PKT3_PKT4_S5_PT5_21rocsparse_index_base_b.has_recursion, 0
	.set _ZN9rocsparseL20bsrxmvn_17_32_kernelILj31EdlldddEEvT2_20rocsparse_direction_NS_24const_host_device_scalarIT0_EES1_PKS1_PKT1_SA_S7_PKT3_PKT4_S5_PT5_21rocsparse_index_base_b.has_indirect_call, 0
	.section	.AMDGPU.csdata,"",@progbits
; Kernel info:
; codeLenInByte = 1412
; TotalNumSgprs: 26
; NumVgprs: 22
; ScratchSize: 0
; MemoryBound: 1
; FloatMode: 240
; IeeeMode: 1
; LDSByteSize: 7688 bytes/workgroup (compile time only)
; SGPRBlocks: 8
; VGPRBlocks: 7
; NumSGPRsForWavesPerEU: 65
; NumVGPRsForWavesPerEU: 29
; Occupancy: 8
; WaveLimiterHint : 1
; COMPUTE_PGM_RSRC2:SCRATCH_EN: 0
; COMPUTE_PGM_RSRC2:USER_SGPR: 6
; COMPUTE_PGM_RSRC2:TRAP_HANDLER: 0
; COMPUTE_PGM_RSRC2:TGID_X_EN: 1
; COMPUTE_PGM_RSRC2:TGID_Y_EN: 0
; COMPUTE_PGM_RSRC2:TGID_Z_EN: 0
; COMPUTE_PGM_RSRC2:TIDIG_COMP_CNT: 0
	.section	.text._ZN9rocsparseL20bsrxmvn_17_32_kernelILj32EdlldddEEvT2_20rocsparse_direction_NS_24const_host_device_scalarIT0_EES1_PKS1_PKT1_SA_S7_PKT3_PKT4_S5_PT5_21rocsparse_index_base_b,"axG",@progbits,_ZN9rocsparseL20bsrxmvn_17_32_kernelILj32EdlldddEEvT2_20rocsparse_direction_NS_24const_host_device_scalarIT0_EES1_PKS1_PKT1_SA_S7_PKT3_PKT4_S5_PT5_21rocsparse_index_base_b,comdat
	.globl	_ZN9rocsparseL20bsrxmvn_17_32_kernelILj32EdlldddEEvT2_20rocsparse_direction_NS_24const_host_device_scalarIT0_EES1_PKS1_PKT1_SA_S7_PKT3_PKT4_S5_PT5_21rocsparse_index_base_b ; -- Begin function _ZN9rocsparseL20bsrxmvn_17_32_kernelILj32EdlldddEEvT2_20rocsparse_direction_NS_24const_host_device_scalarIT0_EES1_PKS1_PKT1_SA_S7_PKT3_PKT4_S5_PT5_21rocsparse_index_base_b
	.p2align	8
	.type	_ZN9rocsparseL20bsrxmvn_17_32_kernelILj32EdlldddEEvT2_20rocsparse_direction_NS_24const_host_device_scalarIT0_EES1_PKS1_PKT1_SA_S7_PKT3_PKT4_S5_PT5_21rocsparse_index_base_b,@function
_ZN9rocsparseL20bsrxmvn_17_32_kernelILj32EdlldddEEvT2_20rocsparse_direction_NS_24const_host_device_scalarIT0_EES1_PKS1_PKT1_SA_S7_PKT3_PKT4_S5_PT5_21rocsparse_index_base_b: ; @_ZN9rocsparseL20bsrxmvn_17_32_kernelILj32EdlldddEEvT2_20rocsparse_direction_NS_24const_host_device_scalarIT0_EES1_PKS1_PKT1_SA_S7_PKT3_PKT4_S5_PT5_21rocsparse_index_base_b
; %bb.0:
	s_load_dwordx2 s[8:9], s[4:5], 0x60
	s_load_dwordx2 s[10:11], s[4:5], 0x10
	;; [unrolled: 1-line block ×3, first 2 shown]
	s_waitcnt lgkmcnt(0)
	s_bitcmp1_b32 s9, 0
	s_cselect_b64 s[12:13], -1, 0
	v_mov_b32_e32 v3, s10
	s_xor_b64 s[2:3], s[12:13], -1
	s_and_b64 vcc, exec, s[12:13]
	v_mov_b32_e32 v4, s11
	s_cbranch_vccnz .LBB159_2
; %bb.1:
	v_mov_b32_e32 v1, s10
	v_mov_b32_e32 v2, s11
	flat_load_dwordx2 v[3:4], v[1:2]
.LBB159_2:
	v_mov_b32_e32 v2, s1
	s_andn2_b64 vcc, exec, s[2:3]
	v_mov_b32_e32 v1, s0
	s_cbranch_vccnz .LBB159_4
; %bb.3:
	v_mov_b32_e32 v2, s1
	v_mov_b32_e32 v1, s0
	flat_load_dwordx2 v[1:2], v[1:2]
.LBB159_4:
	s_waitcnt vmcnt(0) lgkmcnt(0)
	v_cmp_neq_f64_e32 vcc, 0, v[3:4]
	v_cmp_neq_f64_e64 s[0:1], 1.0, v[1:2]
	s_or_b64 s[0:1], vcc, s[0:1]
	s_and_saveexec_b64 s[2:3], s[0:1]
	s_cbranch_execz .LBB159_39
; %bb.5:
	s_load_dwordx4 s[0:3], s[4:5], 0x20
	s_load_dwordx2 s[12:13], s[4:5], 0x30
	s_mov_b32 s7, 0
	s_mov_b32 s9, s7
	s_waitcnt lgkmcnt(0)
	s_cmp_eq_u64 s[0:1], 0
	s_cbranch_scc1 .LBB159_7
; %bb.6:
	s_lshl_b64 s[6:7], s[6:7], 3
	s_add_u32 s0, s0, s6
	s_addc_u32 s1, s1, s7
	s_load_dwordx2 s[0:1], s[0:1], 0x0
	s_waitcnt lgkmcnt(0)
	s_sub_u32 s6, s0, s8
	s_subb_u32 s7, s1, 0
.LBB159_7:
	s_load_dword s10, s[4:5], 0x8
	v_and_b32_e32 v12, 31, v0
	v_lshlrev_b32_e32 v11, 3, v0
	s_waitcnt lgkmcnt(0)
	s_cmp_eq_u32 s10, 1
	s_cselect_b64 s[0:1], -1, 0
	s_cmp_lg_u32 s10, 1
	s_cselect_b64 s[10:11], -1, 0
	s_lshl_b64 s[14:15], s[6:7], 3
	s_add_u32 s16, s2, s14
	s_addc_u32 s17, s3, s15
	s_add_u32 s2, s16, 8
	s_addc_u32 s3, s17, 0
	s_add_u32 s14, s12, s14
	s_addc_u32 s15, s13, s15
	s_cmp_eq_u64 s[12:13], 0
	s_cselect_b32 s19, s3, s15
	s_cselect_b32 s18, s2, s14
	s_load_dwordx2 s[14:15], s[18:19], 0x0
	s_load_dwordx2 s[12:13], s[16:17], 0x0
	;; [unrolled: 1-line block ×3, first 2 shown]
	s_waitcnt lgkmcnt(0)
	v_mov_b32_e32 v5, s14
	v_mov_b32_e32 v6, s15
	v_cmp_ge_i64_e32 vcc, s[12:13], v[5:6]
	v_mov_b32_e32 v5, 0
	v_mov_b32_e32 v6, 0
	s_cbranch_vccnz .LBB159_10
; %bb.8:
	s_load_dwordx4 s[16:19], s[4:5], 0x38
	s_load_dwordx2 s[20:21], s[4:5], 0x48
	s_sub_u32 s14, s14, s8
	v_lshrrev_b32_e32 v5, 5, v0
	s_subb_u32 s15, s15, 0
	v_cndmask_b32_e64 v5, v12, v5, s[0:1]
	s_sub_u32 s0, s12, s8
	s_subb_u32 s1, s13, 0
	v_lshlrev_b32_e32 v5, 3, v5
	s_lshl_b64 s[4:5], s[0:1], 13
	s_waitcnt lgkmcnt(0)
	v_mov_b32_e32 v6, s21
	v_add_co_u32_e32 v13, vcc, s20, v5
	s_add_u32 s4, s18, s4
	v_addc_co_u32_e32 v14, vcc, 0, v6, vcc
	s_addc_u32 s5, s19, s5
	v_mov_b32_e32 v5, s5
	v_add_co_u32_e32 v7, vcc, s4, v11
	s_lshl_b64 s[4:5], s[12:13], 3
	s_lshl_b64 s[12:13], s[8:9], 3
	s_sub_u32 s4, s4, s12
	s_subb_u32 s5, s5, s13
	v_addc_co_u32_e32 v8, vcc, 0, v5, vcc
	s_add_u32 s4, s16, s4
	v_mov_b32_e32 v5, 0
	v_mov_b32_e32 v9, s14
	s_addc_u32 s5, s17, s5
	v_mov_b32_e32 v6, 0
	v_mov_b32_e32 v10, s15
.LBB159_9:                              ; =>This Inner Loop Header: Depth=1
	s_load_dwordx2 s[12:13], s[4:5], 0x0
	global_load_dwordx2 v[15:16], v[7:8], off
	s_waitcnt lgkmcnt(0)
	s_sub_u32 s12, s12, s8
	s_subb_u32 s13, s13, 0
	s_lshl_b64 s[12:13], s[12:13], 8
	v_mov_b32_e32 v18, s13
	v_add_co_u32_e32 v17, vcc, s12, v13
	v_addc_co_u32_e32 v18, vcc, v14, v18, vcc
	global_load_dwordx2 v[17:18], v[17:18], off
	v_add_co_u32_e32 v7, vcc, 0x2000, v7
	s_add_u32 s0, s0, 1
	v_addc_co_u32_e32 v8, vcc, 0, v8, vcc
	s_addc_u32 s1, s1, 0
	v_cmp_lt_i64_e32 vcc, s[0:1], v[9:10]
	s_add_u32 s4, s4, 8
	s_addc_u32 s5, s5, 0
	s_waitcnt vmcnt(0)
	v_fma_f64 v[5:6], v[15:16], v[17:18], v[5:6]
	s_cbranch_vccnz .LBB159_9
.LBB159_10:
	s_and_b64 vcc, exec, s[10:11]
	ds_write_b64 v11, v[5:6]
	s_waitcnt lgkmcnt(0)
	s_barrier
	s_cbranch_vccz .LBB159_22
; %bb.11:
	v_cmp_gt_u32_e32 vcc, 16, v12
	s_and_saveexec_b64 s[0:1], vcc
	s_cbranch_execz .LBB159_13
; %bb.12:
	ds_read2_b64 v[7:10], v11 offset1:16
	s_waitcnt lgkmcnt(0)
	v_add_f64 v[7:8], v[9:10], v[7:8]
	ds_write_b64 v11, v[7:8]
.LBB159_13:
	s_or_b64 exec, exec, s[0:1]
	v_cmp_gt_u32_e32 vcc, 8, v12
	s_waitcnt lgkmcnt(0)
	s_barrier
	s_and_saveexec_b64 s[0:1], vcc
	s_cbranch_execz .LBB159_15
; %bb.14:
	ds_read2_b64 v[7:10], v11 offset1:8
	s_waitcnt lgkmcnt(0)
	v_add_f64 v[7:8], v[9:10], v[7:8]
	ds_write_b64 v11, v[7:8]
.LBB159_15:
	s_or_b64 exec, exec, s[0:1]
	v_cmp_gt_u32_e32 vcc, 4, v12
	s_waitcnt lgkmcnt(0)
	s_barrier
	;; [unrolled: 12-line block ×3, first 2 shown]
	s_and_saveexec_b64 s[0:1], vcc
	s_cbranch_execz .LBB159_19
; %bb.18:
	ds_read2_b64 v[7:10], v11 offset1:2
	s_waitcnt lgkmcnt(0)
	v_add_f64 v[7:8], v[9:10], v[7:8]
	ds_write_b64 v11, v[7:8]
.LBB159_19:
	s_or_b64 exec, exec, s[0:1]
	v_mov_b32_e32 v8, v6
	v_cmp_gt_u32_e32 vcc, 32, v0
	v_mov_b32_e32 v7, v5
	s_waitcnt lgkmcnt(0)
	s_barrier
	s_and_saveexec_b64 s[0:1], vcc
	s_cbranch_execz .LBB159_21
; %bb.20:
	s_movk_i32 s4, 0xf8
	v_mad_u32_u24 v7, v0, s4, v11
	ds_read_b128 v[7:10], v7
	s_waitcnt lgkmcnt(0)
	v_add_f64 v[7:8], v[7:8], v[9:10]
.LBB159_21:
	s_or_b64 exec, exec, s[0:1]
	s_branch .LBB159_34
.LBB159_22:
                                        ; implicit-def: $vgpr7_vgpr8
	s_cbranch_execz .LBB159_34
; %bb.23:
	s_movk_i32 s0, 0x200
	v_cmp_gt_u32_e32 vcc, s0, v0
	s_and_saveexec_b64 s[0:1], vcc
	s_cbranch_execz .LBB159_25
; %bb.24:
	ds_read2st64_b64 v[7:10], v11 offset1:8
	s_waitcnt lgkmcnt(0)
	v_add_f64 v[7:8], v[9:10], v[7:8]
	ds_write_b64 v11, v[7:8]
.LBB159_25:
	s_or_b64 exec, exec, s[0:1]
	s_movk_i32 s0, 0x100
	v_cmp_gt_u32_e32 vcc, s0, v0
	s_waitcnt lgkmcnt(0)
	s_barrier
	s_and_saveexec_b64 s[0:1], vcc
	s_cbranch_execz .LBB159_27
; %bb.26:
	ds_read2st64_b64 v[7:10], v11 offset1:4
	s_waitcnt lgkmcnt(0)
	v_add_f64 v[7:8], v[9:10], v[7:8]
	ds_write_b64 v11, v[7:8]
.LBB159_27:
	s_or_b64 exec, exec, s[0:1]
	s_movk_i32 s0, 0x80
	v_cmp_gt_u32_e32 vcc, s0, v0
	s_waitcnt lgkmcnt(0)
	s_barrier
	s_and_saveexec_b64 s[0:1], vcc
	s_cbranch_execz .LBB159_29
; %bb.28:
	ds_read2st64_b64 v[7:10], v11 offset1:2
	s_waitcnt lgkmcnt(0)
	v_add_f64 v[7:8], v[9:10], v[7:8]
	ds_write_b64 v11, v[7:8]
.LBB159_29:
	s_or_b64 exec, exec, s[0:1]
	v_cmp_gt_u32_e32 vcc, 64, v0
	s_waitcnt lgkmcnt(0)
	s_barrier
	s_and_saveexec_b64 s[0:1], vcc
	s_cbranch_execz .LBB159_31
; %bb.30:
	ds_read2st64_b64 v[7:10], v11 offset1:1
	s_waitcnt lgkmcnt(0)
	v_add_f64 v[7:8], v[9:10], v[7:8]
	ds_write_b64 v11, v[7:8]
.LBB159_31:
	s_or_b64 exec, exec, s[0:1]
	v_cmp_gt_u32_e32 vcc, 32, v0
	s_waitcnt lgkmcnt(0)
	s_and_saveexec_b64 s[0:1], vcc
	s_cbranch_execz .LBB159_33
; %bb.32:
	ds_read2_b64 v[5:8], v11 offset1:32
	s_waitcnt lgkmcnt(0)
	v_add_f64 v[5:6], v[5:6], v[7:8]
.LBB159_33:
	s_or_b64 exec, exec, s[0:1]
	v_mov_b32_e32 v8, v6
	v_mov_b32_e32 v7, v5
.LBB159_34:
	v_cmp_gt_u32_e32 vcc, 32, v0
	s_and_b64 exec, exec, vcc
	s_cbranch_execz .LBB159_39
; %bb.35:
	v_cmp_eq_f64_e32 vcc, 0, v[1:2]
	v_mul_f64 v[3:4], v[3:4], v[7:8]
	s_and_saveexec_b64 s[0:1], vcc
	s_xor_b64 s[0:1], exec, s[0:1]
	s_cbranch_execz .LBB159_37
; %bb.36:
	s_lshl_b64 s[4:5], s[6:7], 8
	s_add_u32 s4, s2, s4
	s_addc_u32 s5, s3, s5
	global_store_dwordx2 v11, v[3:4], s[4:5]
                                        ; implicit-def: $vgpr11
                                        ; implicit-def: $vgpr1_vgpr2
                                        ; implicit-def: $vgpr3_vgpr4
.LBB159_37:
	s_andn2_saveexec_b64 s[0:1], s[0:1]
	s_cbranch_execz .LBB159_39
; %bb.38:
	s_lshl_b64 s[0:1], s[6:7], 8
	s_add_u32 s0, s2, s0
	s_addc_u32 s1, s3, s1
	global_load_dwordx2 v[5:6], v11, s[0:1]
	s_waitcnt vmcnt(0)
	v_fma_f64 v[0:1], v[1:2], v[5:6], v[3:4]
	global_store_dwordx2 v11, v[0:1], s[0:1]
.LBB159_39:
	s_endpgm
	.section	.rodata,"a",@progbits
	.p2align	6, 0x0
	.amdhsa_kernel _ZN9rocsparseL20bsrxmvn_17_32_kernelILj32EdlldddEEvT2_20rocsparse_direction_NS_24const_host_device_scalarIT0_EES1_PKS1_PKT1_SA_S7_PKT3_PKT4_S5_PT5_21rocsparse_index_base_b
		.amdhsa_group_segment_fixed_size 8192
		.amdhsa_private_segment_fixed_size 0
		.amdhsa_kernarg_size 104
		.amdhsa_user_sgpr_count 6
		.amdhsa_user_sgpr_private_segment_buffer 1
		.amdhsa_user_sgpr_dispatch_ptr 0
		.amdhsa_user_sgpr_queue_ptr 0
		.amdhsa_user_sgpr_kernarg_segment_ptr 1
		.amdhsa_user_sgpr_dispatch_id 0
		.amdhsa_user_sgpr_flat_scratch_init 0
		.amdhsa_user_sgpr_private_segment_size 0
		.amdhsa_uses_dynamic_stack 0
		.amdhsa_system_sgpr_private_segment_wavefront_offset 0
		.amdhsa_system_sgpr_workgroup_id_x 1
		.amdhsa_system_sgpr_workgroup_id_y 0
		.amdhsa_system_sgpr_workgroup_id_z 0
		.amdhsa_system_sgpr_workgroup_info 0
		.amdhsa_system_vgpr_workitem_id 0
		.amdhsa_next_free_vgpr 29
		.amdhsa_next_free_sgpr 61
		.amdhsa_reserve_vcc 1
		.amdhsa_reserve_flat_scratch 0
		.amdhsa_float_round_mode_32 0
		.amdhsa_float_round_mode_16_64 0
		.amdhsa_float_denorm_mode_32 3
		.amdhsa_float_denorm_mode_16_64 3
		.amdhsa_dx10_clamp 1
		.amdhsa_ieee_mode 1
		.amdhsa_fp16_overflow 0
		.amdhsa_exception_fp_ieee_invalid_op 0
		.amdhsa_exception_fp_denorm_src 0
		.amdhsa_exception_fp_ieee_div_zero 0
		.amdhsa_exception_fp_ieee_overflow 0
		.amdhsa_exception_fp_ieee_underflow 0
		.amdhsa_exception_fp_ieee_inexact 0
		.amdhsa_exception_int_div_zero 0
	.end_amdhsa_kernel
	.section	.text._ZN9rocsparseL20bsrxmvn_17_32_kernelILj32EdlldddEEvT2_20rocsparse_direction_NS_24const_host_device_scalarIT0_EES1_PKS1_PKT1_SA_S7_PKT3_PKT4_S5_PT5_21rocsparse_index_base_b,"axG",@progbits,_ZN9rocsparseL20bsrxmvn_17_32_kernelILj32EdlldddEEvT2_20rocsparse_direction_NS_24const_host_device_scalarIT0_EES1_PKS1_PKT1_SA_S7_PKT3_PKT4_S5_PT5_21rocsparse_index_base_b,comdat
.Lfunc_end159:
	.size	_ZN9rocsparseL20bsrxmvn_17_32_kernelILj32EdlldddEEvT2_20rocsparse_direction_NS_24const_host_device_scalarIT0_EES1_PKS1_PKT1_SA_S7_PKT3_PKT4_S5_PT5_21rocsparse_index_base_b, .Lfunc_end159-_ZN9rocsparseL20bsrxmvn_17_32_kernelILj32EdlldddEEvT2_20rocsparse_direction_NS_24const_host_device_scalarIT0_EES1_PKS1_PKT1_SA_S7_PKT3_PKT4_S5_PT5_21rocsparse_index_base_b
                                        ; -- End function
	.set _ZN9rocsparseL20bsrxmvn_17_32_kernelILj32EdlldddEEvT2_20rocsparse_direction_NS_24const_host_device_scalarIT0_EES1_PKS1_PKT1_SA_S7_PKT3_PKT4_S5_PT5_21rocsparse_index_base_b.num_vgpr, 19
	.set _ZN9rocsparseL20bsrxmvn_17_32_kernelILj32EdlldddEEvT2_20rocsparse_direction_NS_24const_host_device_scalarIT0_EES1_PKS1_PKT1_SA_S7_PKT3_PKT4_S5_PT5_21rocsparse_index_base_b.num_agpr, 0
	.set _ZN9rocsparseL20bsrxmvn_17_32_kernelILj32EdlldddEEvT2_20rocsparse_direction_NS_24const_host_device_scalarIT0_EES1_PKS1_PKT1_SA_S7_PKT3_PKT4_S5_PT5_21rocsparse_index_base_b.numbered_sgpr, 22
	.set _ZN9rocsparseL20bsrxmvn_17_32_kernelILj32EdlldddEEvT2_20rocsparse_direction_NS_24const_host_device_scalarIT0_EES1_PKS1_PKT1_SA_S7_PKT3_PKT4_S5_PT5_21rocsparse_index_base_b.num_named_barrier, 0
	.set _ZN9rocsparseL20bsrxmvn_17_32_kernelILj32EdlldddEEvT2_20rocsparse_direction_NS_24const_host_device_scalarIT0_EES1_PKS1_PKT1_SA_S7_PKT3_PKT4_S5_PT5_21rocsparse_index_base_b.private_seg_size, 0
	.set _ZN9rocsparseL20bsrxmvn_17_32_kernelILj32EdlldddEEvT2_20rocsparse_direction_NS_24const_host_device_scalarIT0_EES1_PKS1_PKT1_SA_S7_PKT3_PKT4_S5_PT5_21rocsparse_index_base_b.uses_vcc, 1
	.set _ZN9rocsparseL20bsrxmvn_17_32_kernelILj32EdlldddEEvT2_20rocsparse_direction_NS_24const_host_device_scalarIT0_EES1_PKS1_PKT1_SA_S7_PKT3_PKT4_S5_PT5_21rocsparse_index_base_b.uses_flat_scratch, 0
	.set _ZN9rocsparseL20bsrxmvn_17_32_kernelILj32EdlldddEEvT2_20rocsparse_direction_NS_24const_host_device_scalarIT0_EES1_PKS1_PKT1_SA_S7_PKT3_PKT4_S5_PT5_21rocsparse_index_base_b.has_dyn_sized_stack, 0
	.set _ZN9rocsparseL20bsrxmvn_17_32_kernelILj32EdlldddEEvT2_20rocsparse_direction_NS_24const_host_device_scalarIT0_EES1_PKS1_PKT1_SA_S7_PKT3_PKT4_S5_PT5_21rocsparse_index_base_b.has_recursion, 0
	.set _ZN9rocsparseL20bsrxmvn_17_32_kernelILj32EdlldddEEvT2_20rocsparse_direction_NS_24const_host_device_scalarIT0_EES1_PKS1_PKT1_SA_S7_PKT3_PKT4_S5_PT5_21rocsparse_index_base_b.has_indirect_call, 0
	.section	.AMDGPU.csdata,"",@progbits
; Kernel info:
; codeLenInByte = 1220
; TotalNumSgprs: 26
; NumVgprs: 19
; ScratchSize: 0
; MemoryBound: 0
; FloatMode: 240
; IeeeMode: 1
; LDSByteSize: 8192 bytes/workgroup (compile time only)
; SGPRBlocks: 8
; VGPRBlocks: 7
; NumSGPRsForWavesPerEU: 65
; NumVGPRsForWavesPerEU: 29
; Occupancy: 8
; WaveLimiterHint : 1
; COMPUTE_PGM_RSRC2:SCRATCH_EN: 0
; COMPUTE_PGM_RSRC2:USER_SGPR: 6
; COMPUTE_PGM_RSRC2:TRAP_HANDLER: 0
; COMPUTE_PGM_RSRC2:TGID_X_EN: 1
; COMPUTE_PGM_RSRC2:TGID_Y_EN: 0
; COMPUTE_PGM_RSRC2:TGID_Z_EN: 0
; COMPUTE_PGM_RSRC2:TIDIG_COMP_CNT: 0
	.section	.text._ZN9rocsparseL20bsrxmvn_17_32_kernelILj17E21rocsparse_complex_numIfEllS2_S2_S2_EEvT2_20rocsparse_direction_NS_24const_host_device_scalarIT0_EES3_PKS3_PKT1_SC_S9_PKT3_PKT4_S7_PT5_21rocsparse_index_base_b,"axG",@progbits,_ZN9rocsparseL20bsrxmvn_17_32_kernelILj17E21rocsparse_complex_numIfEllS2_S2_S2_EEvT2_20rocsparse_direction_NS_24const_host_device_scalarIT0_EES3_PKS3_PKT1_SC_S9_PKT3_PKT4_S7_PT5_21rocsparse_index_base_b,comdat
	.globl	_ZN9rocsparseL20bsrxmvn_17_32_kernelILj17E21rocsparse_complex_numIfEllS2_S2_S2_EEvT2_20rocsparse_direction_NS_24const_host_device_scalarIT0_EES3_PKS3_PKT1_SC_S9_PKT3_PKT4_S7_PT5_21rocsparse_index_base_b ; -- Begin function _ZN9rocsparseL20bsrxmvn_17_32_kernelILj17E21rocsparse_complex_numIfEllS2_S2_S2_EEvT2_20rocsparse_direction_NS_24const_host_device_scalarIT0_EES3_PKS3_PKT1_SC_S9_PKT3_PKT4_S7_PT5_21rocsparse_index_base_b
	.p2align	8
	.type	_ZN9rocsparseL20bsrxmvn_17_32_kernelILj17E21rocsparse_complex_numIfEllS2_S2_S2_EEvT2_20rocsparse_direction_NS_24const_host_device_scalarIT0_EES3_PKS3_PKT1_SC_S9_PKT3_PKT4_S7_PT5_21rocsparse_index_base_b,@function
_ZN9rocsparseL20bsrxmvn_17_32_kernelILj17E21rocsparse_complex_numIfEllS2_S2_S2_EEvT2_20rocsparse_direction_NS_24const_host_device_scalarIT0_EES3_PKS3_PKT1_SC_S9_PKT3_PKT4_S7_PT5_21rocsparse_index_base_b: ; @_ZN9rocsparseL20bsrxmvn_17_32_kernelILj17E21rocsparse_complex_numIfEllS2_S2_S2_EEvT2_20rocsparse_direction_NS_24const_host_device_scalarIT0_EES3_PKS3_PKT1_SC_S9_PKT3_PKT4_S7_PT5_21rocsparse_index_base_b
; %bb.0:
	s_load_dwordx2 s[0:1], s[4:5], 0x10
	s_load_dwordx2 s[14:15], s[4:5], 0x60
	s_add_u32 s7, s4, 16
	s_addc_u32 s8, s5, 0
	s_add_u32 s9, s4, 0x50
	s_load_dwordx2 s[2:3], s[4:5], 0x50
	s_addc_u32 s10, s5, 0
	s_waitcnt lgkmcnt(0)
	s_bitcmp1_b32 s15, 0
	s_cselect_b32 s1, s8, s1
	s_cselect_b32 s0, s7, s0
	v_mov_b32_e32 v1, s0
	v_mov_b32_e32 v2, s1
	flat_load_dwordx2 v[3:4], v[1:2]
	s_cselect_b32 s0, s10, s3
	s_cselect_b32 s1, s9, s2
	v_mov_b32_e32 v1, s1
	v_mov_b32_e32 v2, s0
	flat_load_dwordx2 v[1:2], v[1:2]
	s_waitcnt vmcnt(0) lgkmcnt(0)
	v_cmp_eq_f32_e32 vcc, 0, v3
	v_cmp_eq_f32_e64 s[0:1], 0, v4
	s_and_b64 s[8:9], vcc, s[0:1]
	s_mov_b64 s[0:1], -1
	s_and_saveexec_b64 s[2:3], s[8:9]
; %bb.1:
	v_cmp_neq_f32_e32 vcc, 1.0, v1
	v_cmp_neq_f32_e64 s[0:1], 0, v2
	s_or_b64 s[0:1], vcc, s[0:1]
	s_orn2_b64 s[0:1], s[0:1], exec
; %bb.2:
	s_or_b64 exec, exec, s[2:3]
	s_and_saveexec_b64 s[2:3], s[0:1]
	s_cbranch_execz .LBB160_39
; %bb.3:
	s_load_dwordx4 s[0:3], s[4:5], 0x20
	s_load_dwordx2 s[8:9], s[4:5], 0x30
	s_mov_b32 s7, 0
	s_waitcnt lgkmcnt(0)
	s_cmp_eq_u64 s[0:1], 0
	s_cbranch_scc1 .LBB160_5
; %bb.4:
	s_lshl_b64 s[6:7], s[6:7], 3
	s_add_u32 s0, s0, s6
	s_addc_u32 s1, s1, s7
	s_load_dwordx2 s[0:1], s[0:1], 0x0
	s_waitcnt lgkmcnt(0)
	s_sub_u32 s6, s0, s14
	s_subb_u32 s7, s1, 0
.LBB160_5:
	s_load_dword s10, s[4:5], 0x8
	s_load_dwordx2 s[12:13], s[4:5], 0x58
	v_mul_u32_u24_e32 v7, 0xf10, v0
	v_mov_b32_e32 v5, 17
	v_mul_lo_u16_sdwa v5, v7, v5 dst_sel:DWORD dst_unused:UNUSED_PAD src0_sel:WORD_1 src1_sel:DWORD
	s_waitcnt lgkmcnt(0)
	s_cmp_eq_u32 s10, 1
	s_cselect_b64 s[0:1], -1, 0
	s_cmp_lg_u32 s10, 1
	s_cselect_b64 s[16:17], -1, 0
	s_lshl_b64 s[10:11], s[6:7], 3
	s_add_u32 s20, s2, s10
	s_addc_u32 s21, s3, s11
	s_add_u32 s2, s20, 8
	s_addc_u32 s3, s21, 0
	;; [unrolled: 2-line block ×3, first 2 shown]
	s_cmp_eq_u64 s[8:9], 0
	s_cselect_b32 s9, s3, s11
	s_cselect_b32 s8, s2, s10
	s_load_dwordx2 s[2:3], s[8:9], 0x0
	s_load_dwordx2 s[18:19], s[20:21], 0x0
	v_sub_u16_e32 v14, v0, v5
	v_lshlrev_b32_e32 v13, 3, v0
	s_waitcnt lgkmcnt(0)
	v_mov_b32_e32 v6, s3
	v_mov_b32_e32 v5, s2
	v_cmp_ge_i64_e32 vcc, s[18:19], v[5:6]
	v_mov_b32_e32 v6, 0
	v_mov_b32_e32 v5, 0
	s_cbranch_vccnz .LBB160_10
; %bb.6:
	v_mov_b32_e32 v5, 31
	v_mul_lo_u16_sdwa v5, v7, v5 dst_sel:DWORD dst_unused:UNUSED_PAD src0_sel:WORD_1 src1_sel:DWORD
	v_lshrrev_b16_e32 v5, 9, v5
	s_sub_u32 s2, s2, s14
	s_load_dwordx4 s[8:11], s[4:5], 0x38
	s_load_dwordx2 s[20:21], s[4:5], 0x48
	v_mul_lo_u16_e32 v5, 17, v5
	s_subb_u32 s3, s3, 0
	v_sub_u16_sdwa v5, v7, v5 dst_sel:DWORD dst_unused:UNUSED_PAD src0_sel:WORD_1 src1_sel:DWORD
	s_sub_u32 s4, s18, s14
	v_and_b32_e32 v5, 0xff, v5
	s_subb_u32 s5, s19, 0
	v_cndmask_b32_e64 v5, v14, v5, s[0:1]
	s_mul_i32 s0, s5, 0x908
	s_mul_hi_u32 s1, s4, 0x908
	v_lshlrev_b32_e32 v5, 3, v5
	s_add_i32 s1, s1, s0
	s_mul_i32 s0, s4, 0x908
	s_waitcnt lgkmcnt(0)
	v_mov_b32_e32 v8, s21
	v_add_co_u32_e32 v7, vcc, s20, v5
	s_add_u32 s0, s10, s0
	v_addc_co_u32_e32 v8, vcc, 0, v8, vcc
	s_addc_u32 s1, s11, s1
	v_mov_b32_e32 v5, s1
	v_add_co_u32_e32 v9, vcc, s0, v13
	s_movk_i32 s0, 0xe3
	v_addc_co_u32_e32 v10, vcc, 0, v5, vcc
	v_mul_u32_u24_sdwa v5, v0, s0 dst_sel:DWORD dst_unused:UNUSED_PAD src0_sel:WORD_0 src1_sel:DWORD
	v_lshrrev_b32_e32 v15, 16, v5
	v_mov_b32_e32 v5, s19
	v_add_co_u32_e32 v11, vcc, s18, v15
	v_addc_co_u32_e32 v5, vcc, 0, v5, vcc
	v_subrev_co_u32_e32 v11, vcc, s14, v11
	v_subbrev_co_u32_e32 v12, vcc, 0, v5, vcc
	v_lshlrev_b64 v[11:12], 3, v[11:12]
	v_mov_b32_e32 v6, 0
	v_mov_b32_e32 v5, s9
	v_add_co_u32_e32 v11, vcc, s8, v11
	v_addc_co_u32_e32 v12, vcc, v5, v12, vcc
	s_movk_i32 s8, 0x88
	v_mov_b32_e32 v5, v6
	s_branch .LBB160_8
.LBB160_7:                              ;   in Loop: Header=BB160_8 Depth=1
	s_or_b64 exec, exec, s[0:1]
	s_add_u32 s4, s4, 1
	v_mov_b32_e32 v17, s3
	s_addc_u32 s5, s5, 0
	v_mov_b32_e32 v16, s2
	v_cmp_lt_i64_e32 vcc, s[4:5], v[16:17]
	v_add_co_u32_e64 v11, s[0:1], 8, v11
	v_addc_co_u32_e64 v12, s[0:1], 0, v12, s[0:1]
	s_cbranch_vccz .LBB160_10
.LBB160_8:                              ; =>This Inner Loop Header: Depth=1
	v_mov_b32_e32 v17, s5
	v_add_co_u32_e32 v16, vcc, s4, v15
	v_addc_co_u32_e32 v17, vcc, 0, v17, vcc
	v_cmp_gt_i64_e32 vcc, s[2:3], v[16:17]
	s_and_saveexec_b64 s[0:1], vcc
	s_cbranch_execz .LBB160_7
; %bb.9:                                ;   in Loop: Header=BB160_8 Depth=1
	global_load_dwordx2 v[16:17], v[11:12], off
	s_waitcnt vmcnt(0)
	v_subrev_co_u32_e32 v16, vcc, s14, v16
	v_subbrev_co_u32_e32 v18, vcc, 0, v17, vcc
	v_mad_u64_u32 v[16:17], s[10:11], v16, s8, v[7:8]
	v_mad_u64_u32 v[17:18], s[10:11], v18, s8, v[17:18]
	global_load_dwordx2 v[18:19], v[9:10], off
	s_nop 0
	global_load_dwordx2 v[16:17], v[16:17], off
	v_add_co_u32_e32 v9, vcc, 0x908, v9
	v_addc_co_u32_e32 v10, vcc, 0, v10, vcc
	s_waitcnt vmcnt(0)
	v_fmac_f32_e32 v5, v18, v16
	v_fmac_f32_e32 v6, v19, v16
	v_fma_f32 v5, -v19, v17, v5
	v_fmac_f32_e32 v6, v18, v17
	s_branch .LBB160_7
.LBB160_10:
	s_and_b64 vcc, exec, s[16:17]
	ds_write_b64 v13, v[5:6]
	s_waitcnt lgkmcnt(0)
	s_barrier
	s_cbranch_vccz .LBB160_22
; %bb.11:
	v_cmp_eq_u16_e32 vcc, 0, v14
	s_and_saveexec_b64 s[0:1], vcc
	s_cbranch_execz .LBB160_13
; %bb.12:
	ds_read2_b64 v[7:10], v13 offset1:16
	s_waitcnt lgkmcnt(0)
	v_add_f32_e32 v7, v9, v7
	v_add_f32_e32 v8, v10, v8
	ds_write_b64 v13, v[7:8]
.LBB160_13:
	s_or_b64 exec, exec, s[0:1]
	v_cmp_gt_u16_e32 vcc, 8, v14
	s_waitcnt lgkmcnt(0)
	s_barrier
	s_and_saveexec_b64 s[0:1], vcc
	s_cbranch_execz .LBB160_15
; %bb.14:
	ds_read2_b64 v[7:10], v13 offset1:8
	s_waitcnt lgkmcnt(0)
	v_add_f32_e32 v7, v9, v7
	v_add_f32_e32 v8, v10, v8
	ds_write_b64 v13, v[7:8]
.LBB160_15:
	s_or_b64 exec, exec, s[0:1]
	v_cmp_gt_u16_e32 vcc, 4, v14
	s_waitcnt lgkmcnt(0)
	s_barrier
	;; [unrolled: 13-line block ×3, first 2 shown]
	s_and_saveexec_b64 s[0:1], vcc
	s_cbranch_execz .LBB160_19
; %bb.18:
	ds_read2_b64 v[7:10], v13 offset1:2
	s_waitcnt lgkmcnt(0)
	v_add_f32_e32 v7, v9, v7
	v_add_f32_e32 v8, v10, v8
	ds_write_b64 v13, v[7:8]
.LBB160_19:
	s_or_b64 exec, exec, s[0:1]
	v_cmp_gt_u32_e32 vcc, 17, v0
	v_mov_b32_e32 v8, v6
	v_mov_b32_e32 v7, v5
	s_waitcnt lgkmcnt(0)
	s_barrier
	s_and_saveexec_b64 s[0:1], vcc
	s_cbranch_execz .LBB160_21
; %bb.20:
	v_lshl_add_u32 v7, v0, 7, v13
	ds_read2_b64 v[7:10], v7 offset1:1
	s_waitcnt lgkmcnt(0)
	v_add_f32_e32 v7, v9, v7
	v_add_f32_e32 v8, v10, v8
.LBB160_21:
	s_or_b64 exec, exec, s[0:1]
	v_cmp_gt_u32_e64 s[0:1], 17, v0
	s_branch .LBB160_34
.LBB160_22:
                                        ; implicit-def: $vgpr8
                                        ; implicit-def: $vgpr7
	v_cmp_gt_u32_e64 s[0:1], 17, v0
	s_cbranch_execz .LBB160_34
; %bb.23:
	s_and_saveexec_b64 s[2:3], s[0:1]
	s_cbranch_execz .LBB160_25
; %bb.24:
	ds_read_b64 v[7:8], v13 offset:2176
	ds_read_b64 v[9:10], v13
	s_waitcnt lgkmcnt(0)
	v_add_f32_e32 v7, v7, v9
	v_add_f32_e32 v8, v8, v10
	ds_write_b64 v13, v[7:8]
.LBB160_25:
	s_or_b64 exec, exec, s[2:3]
	s_movk_i32 s2, 0x88
	v_cmp_gt_u32_e32 vcc, s2, v0
	s_waitcnt lgkmcnt(0)
	s_barrier
	s_and_saveexec_b64 s[2:3], vcc
	s_cbranch_execz .LBB160_27
; %bb.26:
	ds_read2_b64 v[7:10], v13 offset1:136
	s_waitcnt lgkmcnt(0)
	v_add_f32_e32 v7, v9, v7
	v_add_f32_e32 v8, v10, v8
	ds_write_b64 v13, v[7:8]
.LBB160_27:
	s_or_b64 exec, exec, s[2:3]
	s_movk_i32 s2, 0x44
	v_cmp_gt_u32_e32 vcc, s2, v0
	s_waitcnt lgkmcnt(0)
	s_barrier
	s_and_saveexec_b64 s[2:3], vcc
	s_cbranch_execz .LBB160_29
; %bb.28:
	ds_read2_b64 v[7:10], v13 offset1:68
	s_waitcnt lgkmcnt(0)
	v_add_f32_e32 v7, v9, v7
	v_add_f32_e32 v8, v10, v8
	ds_write_b64 v13, v[7:8]
.LBB160_29:
	s_or_b64 exec, exec, s[2:3]
	v_cmp_gt_u32_e32 vcc, 34, v0
	s_waitcnt lgkmcnt(0)
	s_barrier
	s_and_saveexec_b64 s[2:3], vcc
	s_cbranch_execz .LBB160_31
; %bb.30:
	ds_read2_b64 v[7:10], v13 offset1:34
	s_waitcnt lgkmcnt(0)
	v_add_f32_e32 v7, v9, v7
	v_add_f32_e32 v8, v10, v8
	ds_write_b64 v13, v[7:8]
.LBB160_31:
	s_or_b64 exec, exec, s[2:3]
	s_waitcnt lgkmcnt(0)
	s_and_saveexec_b64 s[2:3], s[0:1]
	s_cbranch_execz .LBB160_33
; %bb.32:
	ds_read2_b64 v[5:8], v13 offset1:17
	s_waitcnt lgkmcnt(0)
	v_add_f32_e32 v5, v7, v5
	v_add_f32_e32 v6, v8, v6
.LBB160_33:
	s_or_b64 exec, exec, s[2:3]
	v_mov_b32_e32 v8, v6
	v_mov_b32_e32 v7, v5
.LBB160_34:
	v_cmp_gt_u32_e32 vcc, 17, v0
	s_and_b64 exec, exec, vcc
	s_cbranch_execz .LBB160_39
; %bb.35:
	v_cmp_eq_f32_e32 vcc, 0, v1
	v_cmp_eq_f32_e64 s[0:1], 0, v2
	v_mul_f32_e64 v5, v8, -v4
	v_mul_f32_e32 v6, v3, v8
	s_and_b64 s[0:1], vcc, s[0:1]
	v_fmac_f32_e32 v5, v3, v7
	v_fmac_f32_e32 v6, v4, v7
	s_mul_i32 s2, s7, 0x88
	s_mul_hi_u32 s3, s6, 0x88
	s_mul_i32 s4, s6, 0x88
	s_and_saveexec_b64 s[6:7], s[0:1]
	s_xor_b64 s[0:1], exec, s[6:7]
	s_cbranch_execz .LBB160_37
; %bb.36:
	s_add_i32 s5, s3, s2
	s_add_u32 s6, s12, s4
	s_addc_u32 s7, s13, s5
	global_store_dwordx2 v13, v[5:6], s[6:7]
                                        ; implicit-def: $vgpr13
                                        ; implicit-def: $vgpr1_vgpr2
                                        ; implicit-def: $vgpr5
.LBB160_37:
	s_andn2_saveexec_b64 s[0:1], s[0:1]
	s_cbranch_execz .LBB160_39
; %bb.38:
	s_add_i32 s3, s3, s2
	s_add_u32 s0, s12, s4
	s_addc_u32 s1, s13, s3
	global_load_dwordx2 v[3:4], v13, s[0:1]
	s_waitcnt vmcnt(0)
	v_fmac_f32_e32 v5, v1, v3
	v_fmac_f32_e32 v6, v2, v3
	v_fma_f32 v5, -v2, v4, v5
	v_fmac_f32_e32 v6, v1, v4
	global_store_dwordx2 v13, v[5:6], s[0:1]
.LBB160_39:
	s_endpgm
	.section	.rodata,"a",@progbits
	.p2align	6, 0x0
	.amdhsa_kernel _ZN9rocsparseL20bsrxmvn_17_32_kernelILj17E21rocsparse_complex_numIfEllS2_S2_S2_EEvT2_20rocsparse_direction_NS_24const_host_device_scalarIT0_EES3_PKS3_PKT1_SC_S9_PKT3_PKT4_S7_PT5_21rocsparse_index_base_b
		.amdhsa_group_segment_fixed_size 2312
		.amdhsa_private_segment_fixed_size 0
		.amdhsa_kernarg_size 104
		.amdhsa_user_sgpr_count 6
		.amdhsa_user_sgpr_private_segment_buffer 1
		.amdhsa_user_sgpr_dispatch_ptr 0
		.amdhsa_user_sgpr_queue_ptr 0
		.amdhsa_user_sgpr_kernarg_segment_ptr 1
		.amdhsa_user_sgpr_dispatch_id 0
		.amdhsa_user_sgpr_flat_scratch_init 0
		.amdhsa_user_sgpr_private_segment_size 0
		.amdhsa_uses_dynamic_stack 0
		.amdhsa_system_sgpr_private_segment_wavefront_offset 0
		.amdhsa_system_sgpr_workgroup_id_x 1
		.amdhsa_system_sgpr_workgroup_id_y 0
		.amdhsa_system_sgpr_workgroup_id_z 0
		.amdhsa_system_sgpr_workgroup_info 0
		.amdhsa_system_vgpr_workitem_id 0
		.amdhsa_next_free_vgpr 20
		.amdhsa_next_free_sgpr 22
		.amdhsa_reserve_vcc 1
		.amdhsa_reserve_flat_scratch 0
		.amdhsa_float_round_mode_32 0
		.amdhsa_float_round_mode_16_64 0
		.amdhsa_float_denorm_mode_32 3
		.amdhsa_float_denorm_mode_16_64 3
		.amdhsa_dx10_clamp 1
		.amdhsa_ieee_mode 1
		.amdhsa_fp16_overflow 0
		.amdhsa_exception_fp_ieee_invalid_op 0
		.amdhsa_exception_fp_denorm_src 0
		.amdhsa_exception_fp_ieee_div_zero 0
		.amdhsa_exception_fp_ieee_overflow 0
		.amdhsa_exception_fp_ieee_underflow 0
		.amdhsa_exception_fp_ieee_inexact 0
		.amdhsa_exception_int_div_zero 0
	.end_amdhsa_kernel
	.section	.text._ZN9rocsparseL20bsrxmvn_17_32_kernelILj17E21rocsparse_complex_numIfEllS2_S2_S2_EEvT2_20rocsparse_direction_NS_24const_host_device_scalarIT0_EES3_PKS3_PKT1_SC_S9_PKT3_PKT4_S7_PT5_21rocsparse_index_base_b,"axG",@progbits,_ZN9rocsparseL20bsrxmvn_17_32_kernelILj17E21rocsparse_complex_numIfEllS2_S2_S2_EEvT2_20rocsparse_direction_NS_24const_host_device_scalarIT0_EES3_PKS3_PKT1_SC_S9_PKT3_PKT4_S7_PT5_21rocsparse_index_base_b,comdat
.Lfunc_end160:
	.size	_ZN9rocsparseL20bsrxmvn_17_32_kernelILj17E21rocsparse_complex_numIfEllS2_S2_S2_EEvT2_20rocsparse_direction_NS_24const_host_device_scalarIT0_EES3_PKS3_PKT1_SC_S9_PKT3_PKT4_S7_PT5_21rocsparse_index_base_b, .Lfunc_end160-_ZN9rocsparseL20bsrxmvn_17_32_kernelILj17E21rocsparse_complex_numIfEllS2_S2_S2_EEvT2_20rocsparse_direction_NS_24const_host_device_scalarIT0_EES3_PKS3_PKT1_SC_S9_PKT3_PKT4_S7_PT5_21rocsparse_index_base_b
                                        ; -- End function
	.set _ZN9rocsparseL20bsrxmvn_17_32_kernelILj17E21rocsparse_complex_numIfEllS2_S2_S2_EEvT2_20rocsparse_direction_NS_24const_host_device_scalarIT0_EES3_PKS3_PKT1_SC_S9_PKT3_PKT4_S7_PT5_21rocsparse_index_base_b.num_vgpr, 20
	.set _ZN9rocsparseL20bsrxmvn_17_32_kernelILj17E21rocsparse_complex_numIfEllS2_S2_S2_EEvT2_20rocsparse_direction_NS_24const_host_device_scalarIT0_EES3_PKS3_PKT1_SC_S9_PKT3_PKT4_S7_PT5_21rocsparse_index_base_b.num_agpr, 0
	.set _ZN9rocsparseL20bsrxmvn_17_32_kernelILj17E21rocsparse_complex_numIfEllS2_S2_S2_EEvT2_20rocsparse_direction_NS_24const_host_device_scalarIT0_EES3_PKS3_PKT1_SC_S9_PKT3_PKT4_S7_PT5_21rocsparse_index_base_b.numbered_sgpr, 22
	.set _ZN9rocsparseL20bsrxmvn_17_32_kernelILj17E21rocsparse_complex_numIfEllS2_S2_S2_EEvT2_20rocsparse_direction_NS_24const_host_device_scalarIT0_EES3_PKS3_PKT1_SC_S9_PKT3_PKT4_S7_PT5_21rocsparse_index_base_b.num_named_barrier, 0
	.set _ZN9rocsparseL20bsrxmvn_17_32_kernelILj17E21rocsparse_complex_numIfEllS2_S2_S2_EEvT2_20rocsparse_direction_NS_24const_host_device_scalarIT0_EES3_PKS3_PKT1_SC_S9_PKT3_PKT4_S7_PT5_21rocsparse_index_base_b.private_seg_size, 0
	.set _ZN9rocsparseL20bsrxmvn_17_32_kernelILj17E21rocsparse_complex_numIfEllS2_S2_S2_EEvT2_20rocsparse_direction_NS_24const_host_device_scalarIT0_EES3_PKS3_PKT1_SC_S9_PKT3_PKT4_S7_PT5_21rocsparse_index_base_b.uses_vcc, 1
	.set _ZN9rocsparseL20bsrxmvn_17_32_kernelILj17E21rocsparse_complex_numIfEllS2_S2_S2_EEvT2_20rocsparse_direction_NS_24const_host_device_scalarIT0_EES3_PKS3_PKT1_SC_S9_PKT3_PKT4_S7_PT5_21rocsparse_index_base_b.uses_flat_scratch, 0
	.set _ZN9rocsparseL20bsrxmvn_17_32_kernelILj17E21rocsparse_complex_numIfEllS2_S2_S2_EEvT2_20rocsparse_direction_NS_24const_host_device_scalarIT0_EES3_PKS3_PKT1_SC_S9_PKT3_PKT4_S7_PT5_21rocsparse_index_base_b.has_dyn_sized_stack, 0
	.set _ZN9rocsparseL20bsrxmvn_17_32_kernelILj17E21rocsparse_complex_numIfEllS2_S2_S2_EEvT2_20rocsparse_direction_NS_24const_host_device_scalarIT0_EES3_PKS3_PKT1_SC_S9_PKT3_PKT4_S7_PT5_21rocsparse_index_base_b.has_recursion, 0
	.set _ZN9rocsparseL20bsrxmvn_17_32_kernelILj17E21rocsparse_complex_numIfEllS2_S2_S2_EEvT2_20rocsparse_direction_NS_24const_host_device_scalarIT0_EES3_PKS3_PKT1_SC_S9_PKT3_PKT4_S7_PT5_21rocsparse_index_base_b.has_indirect_call, 0
	.section	.AMDGPU.csdata,"",@progbits
; Kernel info:
; codeLenInByte = 1484
; TotalNumSgprs: 26
; NumVgprs: 20
; ScratchSize: 0
; MemoryBound: 0
; FloatMode: 240
; IeeeMode: 1
; LDSByteSize: 2312 bytes/workgroup (compile time only)
; SGPRBlocks: 3
; VGPRBlocks: 4
; NumSGPRsForWavesPerEU: 26
; NumVGPRsForWavesPerEU: 20
; Occupancy: 10
; WaveLimiterHint : 1
; COMPUTE_PGM_RSRC2:SCRATCH_EN: 0
; COMPUTE_PGM_RSRC2:USER_SGPR: 6
; COMPUTE_PGM_RSRC2:TRAP_HANDLER: 0
; COMPUTE_PGM_RSRC2:TGID_X_EN: 1
; COMPUTE_PGM_RSRC2:TGID_Y_EN: 0
; COMPUTE_PGM_RSRC2:TGID_Z_EN: 0
; COMPUTE_PGM_RSRC2:TIDIG_COMP_CNT: 0
	.section	.text._ZN9rocsparseL20bsrxmvn_17_32_kernelILj18E21rocsparse_complex_numIfEllS2_S2_S2_EEvT2_20rocsparse_direction_NS_24const_host_device_scalarIT0_EES3_PKS3_PKT1_SC_S9_PKT3_PKT4_S7_PT5_21rocsparse_index_base_b,"axG",@progbits,_ZN9rocsparseL20bsrxmvn_17_32_kernelILj18E21rocsparse_complex_numIfEllS2_S2_S2_EEvT2_20rocsparse_direction_NS_24const_host_device_scalarIT0_EES3_PKS3_PKT1_SC_S9_PKT3_PKT4_S7_PT5_21rocsparse_index_base_b,comdat
	.globl	_ZN9rocsparseL20bsrxmvn_17_32_kernelILj18E21rocsparse_complex_numIfEllS2_S2_S2_EEvT2_20rocsparse_direction_NS_24const_host_device_scalarIT0_EES3_PKS3_PKT1_SC_S9_PKT3_PKT4_S7_PT5_21rocsparse_index_base_b ; -- Begin function _ZN9rocsparseL20bsrxmvn_17_32_kernelILj18E21rocsparse_complex_numIfEllS2_S2_S2_EEvT2_20rocsparse_direction_NS_24const_host_device_scalarIT0_EES3_PKS3_PKT1_SC_S9_PKT3_PKT4_S7_PT5_21rocsparse_index_base_b
	.p2align	8
	.type	_ZN9rocsparseL20bsrxmvn_17_32_kernelILj18E21rocsparse_complex_numIfEllS2_S2_S2_EEvT2_20rocsparse_direction_NS_24const_host_device_scalarIT0_EES3_PKS3_PKT1_SC_S9_PKT3_PKT4_S7_PT5_21rocsparse_index_base_b,@function
_ZN9rocsparseL20bsrxmvn_17_32_kernelILj18E21rocsparse_complex_numIfEllS2_S2_S2_EEvT2_20rocsparse_direction_NS_24const_host_device_scalarIT0_EES3_PKS3_PKT1_SC_S9_PKT3_PKT4_S7_PT5_21rocsparse_index_base_b: ; @_ZN9rocsparseL20bsrxmvn_17_32_kernelILj18E21rocsparse_complex_numIfEllS2_S2_S2_EEvT2_20rocsparse_direction_NS_24const_host_device_scalarIT0_EES3_PKS3_PKT1_SC_S9_PKT3_PKT4_S7_PT5_21rocsparse_index_base_b
; %bb.0:
	s_load_dwordx2 s[0:1], s[4:5], 0x10
	s_load_dwordx2 s[14:15], s[4:5], 0x60
	s_add_u32 s7, s4, 16
	s_addc_u32 s8, s5, 0
	s_add_u32 s9, s4, 0x50
	s_load_dwordx2 s[2:3], s[4:5], 0x50
	s_addc_u32 s10, s5, 0
	s_waitcnt lgkmcnt(0)
	s_bitcmp1_b32 s15, 0
	s_cselect_b32 s1, s8, s1
	s_cselect_b32 s0, s7, s0
	v_mov_b32_e32 v1, s0
	v_mov_b32_e32 v2, s1
	flat_load_dwordx2 v[3:4], v[1:2]
	s_cselect_b32 s0, s10, s3
	s_cselect_b32 s1, s9, s2
	v_mov_b32_e32 v1, s1
	v_mov_b32_e32 v2, s0
	flat_load_dwordx2 v[1:2], v[1:2]
	s_waitcnt vmcnt(0) lgkmcnt(0)
	v_cmp_eq_f32_e32 vcc, 0, v3
	v_cmp_eq_f32_e64 s[0:1], 0, v4
	s_and_b64 s[8:9], vcc, s[0:1]
	s_mov_b64 s[0:1], -1
	s_and_saveexec_b64 s[2:3], s[8:9]
; %bb.1:
	v_cmp_neq_f32_e32 vcc, 1.0, v1
	v_cmp_neq_f32_e64 s[0:1], 0, v2
	s_or_b64 s[0:1], vcc, s[0:1]
	s_orn2_b64 s[0:1], s[0:1], exec
; %bb.2:
	s_or_b64 exec, exec, s[2:3]
	s_and_saveexec_b64 s[2:3], s[0:1]
	s_cbranch_execz .LBB161_39
; %bb.3:
	s_load_dwordx4 s[0:3], s[4:5], 0x20
	s_load_dwordx2 s[8:9], s[4:5], 0x30
	s_mov_b32 s7, 0
	s_waitcnt lgkmcnt(0)
	s_cmp_eq_u64 s[0:1], 0
	s_cbranch_scc1 .LBB161_5
; %bb.4:
	s_lshl_b64 s[6:7], s[6:7], 3
	s_add_u32 s0, s0, s6
	s_addc_u32 s1, s1, s7
	s_load_dwordx2 s[0:1], s[0:1], 0x0
	s_waitcnt lgkmcnt(0)
	s_sub_u32 s6, s0, s14
	s_subb_u32 s7, s1, 0
.LBB161_5:
	s_load_dword s10, s[4:5], 0x8
	s_load_dwordx2 s[12:13], s[4:5], 0x58
	v_mul_u32_u24_e32 v7, 0xe39, v0
	v_mov_b32_e32 v8, 18
	v_mul_lo_u16_sdwa v5, v7, v8 dst_sel:DWORD dst_unused:UNUSED_PAD src0_sel:WORD_1 src1_sel:DWORD
	s_waitcnt lgkmcnt(0)
	s_cmp_eq_u32 s10, 1
	s_cselect_b64 s[0:1], -1, 0
	s_cmp_lg_u32 s10, 1
	s_cselect_b64 s[16:17], -1, 0
	s_lshl_b64 s[10:11], s[6:7], 3
	s_add_u32 s20, s2, s10
	s_addc_u32 s21, s3, s11
	s_add_u32 s2, s20, 8
	s_addc_u32 s3, s21, 0
	;; [unrolled: 2-line block ×3, first 2 shown]
	s_cmp_eq_u64 s[8:9], 0
	s_cselect_b32 s9, s3, s11
	s_cselect_b32 s8, s2, s10
	s_load_dwordx2 s[2:3], s[8:9], 0x0
	s_load_dwordx2 s[18:19], s[20:21], 0x0
	v_sub_u16_e32 v14, v0, v5
	v_lshlrev_b32_e32 v13, 3, v0
	s_waitcnt lgkmcnt(0)
	v_mov_b32_e32 v6, s3
	v_mov_b32_e32 v5, s2
	v_cmp_ge_i64_e32 vcc, s[18:19], v[5:6]
	v_mov_b32_e32 v6, 0
	v_mov_b32_e32 v5, 0
	s_cbranch_vccnz .LBB161_10
; %bb.6:
	v_mov_b32_e32 v5, 15
	v_mul_lo_u16_sdwa v5, v7, v5 dst_sel:DWORD dst_unused:UNUSED_PAD src0_sel:WORD_1 src1_sel:DWORD
	s_sub_u32 s2, s2, s14
	s_load_dwordx4 s[8:11], s[4:5], 0x38
	s_load_dwordx2 s[20:21], s[4:5], 0x48
	v_mul_lo_u16_sdwa v5, v5, v8 dst_sel:DWORD dst_unused:UNUSED_PAD src0_sel:BYTE_1 src1_sel:DWORD
	s_subb_u32 s3, s3, 0
	v_sub_u16_sdwa v5, v7, v5 dst_sel:DWORD dst_unused:UNUSED_PAD src0_sel:WORD_1 src1_sel:DWORD
	s_sub_u32 s4, s18, s14
	v_and_b32_e32 v5, 0xff, v5
	s_subb_u32 s5, s19, 0
	v_cndmask_b32_e64 v5, v14, v5, s[0:1]
	s_mul_i32 s0, s5, 0xa20
	s_mul_hi_u32 s1, s4, 0xa20
	v_lshlrev_b32_e32 v5, 3, v5
	s_add_i32 s1, s1, s0
	s_mul_i32 s0, s4, 0xa20
	s_waitcnt lgkmcnt(0)
	v_mov_b32_e32 v8, s21
	v_add_co_u32_e32 v7, vcc, s20, v5
	s_add_u32 s0, s10, s0
	v_addc_co_u32_e32 v8, vcc, 0, v8, vcc
	s_addc_u32 s1, s11, s1
	v_mov_b32_e32 v5, s1
	v_add_co_u32_e32 v9, vcc, s0, v13
	s_movk_i32 s0, 0x195
	v_addc_co_u32_e32 v10, vcc, 0, v5, vcc
	v_mul_u32_u24_sdwa v5, v0, s0 dst_sel:DWORD dst_unused:UNUSED_PAD src0_sel:WORD_0 src1_sel:DWORD
	v_lshrrev_b32_e32 v15, 17, v5
	v_mov_b32_e32 v5, s19
	v_add_co_u32_e32 v11, vcc, s18, v15
	v_addc_co_u32_e32 v5, vcc, 0, v5, vcc
	v_subrev_co_u32_e32 v11, vcc, s14, v11
	v_subbrev_co_u32_e32 v12, vcc, 0, v5, vcc
	v_lshlrev_b64 v[11:12], 3, v[11:12]
	v_mov_b32_e32 v6, 0
	v_mov_b32_e32 v5, s9
	v_add_co_u32_e32 v11, vcc, s8, v11
	v_addc_co_u32_e32 v12, vcc, v5, v12, vcc
	s_movk_i32 s8, 0x90
	v_mov_b32_e32 v5, v6
	s_branch .LBB161_8
.LBB161_7:                              ;   in Loop: Header=BB161_8 Depth=1
	s_or_b64 exec, exec, s[0:1]
	s_add_u32 s4, s4, 1
	v_mov_b32_e32 v17, s3
	s_addc_u32 s5, s5, 0
	v_mov_b32_e32 v16, s2
	v_cmp_lt_i64_e32 vcc, s[4:5], v[16:17]
	v_add_co_u32_e64 v11, s[0:1], 8, v11
	v_addc_co_u32_e64 v12, s[0:1], 0, v12, s[0:1]
	s_cbranch_vccz .LBB161_10
.LBB161_8:                              ; =>This Inner Loop Header: Depth=1
	v_mov_b32_e32 v17, s5
	v_add_co_u32_e32 v16, vcc, s4, v15
	v_addc_co_u32_e32 v17, vcc, 0, v17, vcc
	v_cmp_gt_i64_e32 vcc, s[2:3], v[16:17]
	s_and_saveexec_b64 s[0:1], vcc
	s_cbranch_execz .LBB161_7
; %bb.9:                                ;   in Loop: Header=BB161_8 Depth=1
	global_load_dwordx2 v[16:17], v[11:12], off
	s_waitcnt vmcnt(0)
	v_subrev_co_u32_e32 v16, vcc, s14, v16
	v_subbrev_co_u32_e32 v18, vcc, 0, v17, vcc
	v_mad_u64_u32 v[16:17], s[10:11], v16, s8, v[7:8]
	v_mad_u64_u32 v[17:18], s[10:11], v18, s8, v[17:18]
	global_load_dwordx2 v[18:19], v[9:10], off
	s_nop 0
	global_load_dwordx2 v[16:17], v[16:17], off
	v_add_co_u32_e32 v9, vcc, 0xa20, v9
	v_addc_co_u32_e32 v10, vcc, 0, v10, vcc
	s_waitcnt vmcnt(0)
	v_fmac_f32_e32 v5, v18, v16
	v_fmac_f32_e32 v6, v19, v16
	v_fma_f32 v5, -v19, v17, v5
	v_fmac_f32_e32 v6, v18, v17
	s_branch .LBB161_7
.LBB161_10:
	s_and_b64 vcc, exec, s[16:17]
	ds_write_b64 v13, v[5:6]
	s_waitcnt lgkmcnt(0)
	s_barrier
	s_cbranch_vccz .LBB161_22
; %bb.11:
	v_cmp_gt_u16_e32 vcc, 2, v14
	s_and_saveexec_b64 s[0:1], vcc
	s_cbranch_execz .LBB161_13
; %bb.12:
	ds_read2_b64 v[7:10], v13 offset1:16
	s_waitcnt lgkmcnt(0)
	v_add_f32_e32 v7, v9, v7
	v_add_f32_e32 v8, v10, v8
	ds_write_b64 v13, v[7:8]
.LBB161_13:
	s_or_b64 exec, exec, s[0:1]
	v_cmp_gt_u16_e64 s[0:1], 8, v14
	s_waitcnt lgkmcnt(0)
	s_barrier
	s_and_saveexec_b64 s[2:3], s[0:1]
	s_cbranch_execz .LBB161_15
; %bb.14:
	ds_read2_b64 v[7:10], v13 offset1:8
	s_waitcnt lgkmcnt(0)
	v_add_f32_e32 v7, v9, v7
	v_add_f32_e32 v8, v10, v8
	ds_write_b64 v13, v[7:8]
.LBB161_15:
	s_or_b64 exec, exec, s[2:3]
	v_cmp_gt_u16_e64 s[0:1], 4, v14
	s_waitcnt lgkmcnt(0)
	s_barrier
	s_and_saveexec_b64 s[2:3], s[0:1]
	s_cbranch_execz .LBB161_17
; %bb.16:
	ds_read2_b64 v[7:10], v13 offset1:4
	s_waitcnt lgkmcnt(0)
	v_add_f32_e32 v7, v9, v7
	v_add_f32_e32 v8, v10, v8
	ds_write_b64 v13, v[7:8]
.LBB161_17:
	s_or_b64 exec, exec, s[2:3]
	s_waitcnt lgkmcnt(0)
	s_barrier
	s_and_saveexec_b64 s[0:1], vcc
	s_cbranch_execz .LBB161_19
; %bb.18:
	ds_read2_b64 v[7:10], v13 offset1:2
	s_waitcnt lgkmcnt(0)
	v_add_f32_e32 v7, v9, v7
	v_add_f32_e32 v8, v10, v8
	ds_write_b64 v13, v[7:8]
.LBB161_19:
	s_or_b64 exec, exec, s[0:1]
	v_cmp_gt_u32_e32 vcc, 18, v0
	v_mov_b32_e32 v8, v6
	v_mov_b32_e32 v7, v5
	s_waitcnt lgkmcnt(0)
	s_barrier
	s_and_saveexec_b64 s[0:1], vcc
	s_cbranch_execz .LBB161_21
; %bb.20:
	s_movk_i32 s2, 0x88
	v_mad_u32_u24 v7, v0, s2, v13
	ds_read2_b64 v[7:10], v7 offset1:1
	s_waitcnt lgkmcnt(0)
	v_add_f32_e32 v7, v9, v7
	v_add_f32_e32 v8, v10, v8
.LBB161_21:
	s_or_b64 exec, exec, s[0:1]
	s_branch .LBB161_34
.LBB161_22:
                                        ; implicit-def: $vgpr8
                                        ; implicit-def: $vgpr7
	s_cbranch_execz .LBB161_34
; %bb.23:
	v_cmp_gt_u32_e32 vcc, 36, v0
	s_and_saveexec_b64 s[0:1], vcc
	s_cbranch_execz .LBB161_25
; %bb.24:
	ds_read_b64 v[7:8], v13 offset:2304
	ds_read_b64 v[9:10], v13
	s_waitcnt lgkmcnt(0)
	v_add_f32_e32 v7, v7, v9
	v_add_f32_e32 v8, v8, v10
	ds_write_b64 v13, v[7:8]
.LBB161_25:
	s_or_b64 exec, exec, s[0:1]
	s_movk_i32 s0, 0x90
	v_cmp_gt_u32_e64 s[0:1], s0, v0
	s_waitcnt lgkmcnt(0)
	s_barrier
	s_and_saveexec_b64 s[2:3], s[0:1]
	s_cbranch_execz .LBB161_27
; %bb.26:
	ds_read2_b64 v[7:10], v13 offset1:144
	s_waitcnt lgkmcnt(0)
	v_add_f32_e32 v7, v9, v7
	v_add_f32_e32 v8, v10, v8
	ds_write_b64 v13, v[7:8]
.LBB161_27:
	s_or_b64 exec, exec, s[2:3]
	s_movk_i32 s0, 0x48
	v_cmp_gt_u32_e64 s[0:1], s0, v0
	s_waitcnt lgkmcnt(0)
	s_barrier
	s_and_saveexec_b64 s[2:3], s[0:1]
	s_cbranch_execz .LBB161_29
; %bb.28:
	ds_read2_b64 v[7:10], v13 offset1:72
	s_waitcnt lgkmcnt(0)
	v_add_f32_e32 v7, v9, v7
	v_add_f32_e32 v8, v10, v8
	ds_write_b64 v13, v[7:8]
.LBB161_29:
	s_or_b64 exec, exec, s[2:3]
	s_waitcnt lgkmcnt(0)
	s_barrier
	s_and_saveexec_b64 s[0:1], vcc
	s_cbranch_execz .LBB161_31
; %bb.30:
	ds_read2_b64 v[7:10], v13 offset1:36
	s_waitcnt lgkmcnt(0)
	v_add_f32_e32 v7, v9, v7
	v_add_f32_e32 v8, v10, v8
	ds_write_b64 v13, v[7:8]
.LBB161_31:
	s_or_b64 exec, exec, s[0:1]
	v_cmp_gt_u32_e32 vcc, 18, v0
	s_waitcnt lgkmcnt(0)
	s_and_saveexec_b64 s[0:1], vcc
	s_cbranch_execz .LBB161_33
; %bb.32:
	ds_read2_b64 v[5:8], v13 offset1:18
	s_waitcnt lgkmcnt(0)
	v_add_f32_e32 v5, v7, v5
	v_add_f32_e32 v6, v8, v6
.LBB161_33:
	s_or_b64 exec, exec, s[0:1]
	v_mov_b32_e32 v8, v6
	v_mov_b32_e32 v7, v5
.LBB161_34:
	v_cmp_gt_u32_e32 vcc, 18, v0
	s_and_b64 exec, exec, vcc
	s_cbranch_execz .LBB161_39
; %bb.35:
	v_cmp_eq_f32_e32 vcc, 0, v1
	v_cmp_eq_f32_e64 s[0:1], 0, v2
	v_mul_f32_e64 v5, v8, -v4
	v_mul_f32_e32 v6, v3, v8
	s_and_b64 s[0:1], vcc, s[0:1]
	v_fmac_f32_e32 v5, v3, v7
	v_fmac_f32_e32 v6, v4, v7
	s_mul_i32 s2, s7, 0x90
	s_mul_hi_u32 s3, s6, 0x90
	s_mul_i32 s4, s6, 0x90
	s_and_saveexec_b64 s[6:7], s[0:1]
	s_xor_b64 s[0:1], exec, s[6:7]
	s_cbranch_execz .LBB161_37
; %bb.36:
	s_add_i32 s5, s3, s2
	s_add_u32 s6, s12, s4
	s_addc_u32 s7, s13, s5
	global_store_dwordx2 v13, v[5:6], s[6:7]
                                        ; implicit-def: $vgpr13
                                        ; implicit-def: $vgpr1_vgpr2
                                        ; implicit-def: $vgpr5
.LBB161_37:
	s_andn2_saveexec_b64 s[0:1], s[0:1]
	s_cbranch_execz .LBB161_39
; %bb.38:
	s_add_i32 s3, s3, s2
	s_add_u32 s0, s12, s4
	s_addc_u32 s1, s13, s3
	global_load_dwordx2 v[3:4], v13, s[0:1]
	s_waitcnt vmcnt(0)
	v_fmac_f32_e32 v5, v1, v3
	v_fmac_f32_e32 v6, v2, v3
	v_fma_f32 v5, -v2, v4, v5
	v_fmac_f32_e32 v6, v1, v4
	global_store_dwordx2 v13, v[5:6], s[0:1]
.LBB161_39:
	s_endpgm
	.section	.rodata,"a",@progbits
	.p2align	6, 0x0
	.amdhsa_kernel _ZN9rocsparseL20bsrxmvn_17_32_kernelILj18E21rocsparse_complex_numIfEllS2_S2_S2_EEvT2_20rocsparse_direction_NS_24const_host_device_scalarIT0_EES3_PKS3_PKT1_SC_S9_PKT3_PKT4_S7_PT5_21rocsparse_index_base_b
		.amdhsa_group_segment_fixed_size 2592
		.amdhsa_private_segment_fixed_size 0
		.amdhsa_kernarg_size 104
		.amdhsa_user_sgpr_count 6
		.amdhsa_user_sgpr_private_segment_buffer 1
		.amdhsa_user_sgpr_dispatch_ptr 0
		.amdhsa_user_sgpr_queue_ptr 0
		.amdhsa_user_sgpr_kernarg_segment_ptr 1
		.amdhsa_user_sgpr_dispatch_id 0
		.amdhsa_user_sgpr_flat_scratch_init 0
		.amdhsa_user_sgpr_private_segment_size 0
		.amdhsa_uses_dynamic_stack 0
		.amdhsa_system_sgpr_private_segment_wavefront_offset 0
		.amdhsa_system_sgpr_workgroup_id_x 1
		.amdhsa_system_sgpr_workgroup_id_y 0
		.amdhsa_system_sgpr_workgroup_id_z 0
		.amdhsa_system_sgpr_workgroup_info 0
		.amdhsa_system_vgpr_workitem_id 0
		.amdhsa_next_free_vgpr 25
		.amdhsa_next_free_sgpr 61
		.amdhsa_reserve_vcc 1
		.amdhsa_reserve_flat_scratch 0
		.amdhsa_float_round_mode_32 0
		.amdhsa_float_round_mode_16_64 0
		.amdhsa_float_denorm_mode_32 3
		.amdhsa_float_denorm_mode_16_64 3
		.amdhsa_dx10_clamp 1
		.amdhsa_ieee_mode 1
		.amdhsa_fp16_overflow 0
		.amdhsa_exception_fp_ieee_invalid_op 0
		.amdhsa_exception_fp_denorm_src 0
		.amdhsa_exception_fp_ieee_div_zero 0
		.amdhsa_exception_fp_ieee_overflow 0
		.amdhsa_exception_fp_ieee_underflow 0
		.amdhsa_exception_fp_ieee_inexact 0
		.amdhsa_exception_int_div_zero 0
	.end_amdhsa_kernel
	.section	.text._ZN9rocsparseL20bsrxmvn_17_32_kernelILj18E21rocsparse_complex_numIfEllS2_S2_S2_EEvT2_20rocsparse_direction_NS_24const_host_device_scalarIT0_EES3_PKS3_PKT1_SC_S9_PKT3_PKT4_S7_PT5_21rocsparse_index_base_b,"axG",@progbits,_ZN9rocsparseL20bsrxmvn_17_32_kernelILj18E21rocsparse_complex_numIfEllS2_S2_S2_EEvT2_20rocsparse_direction_NS_24const_host_device_scalarIT0_EES3_PKS3_PKT1_SC_S9_PKT3_PKT4_S7_PT5_21rocsparse_index_base_b,comdat
.Lfunc_end161:
	.size	_ZN9rocsparseL20bsrxmvn_17_32_kernelILj18E21rocsparse_complex_numIfEllS2_S2_S2_EEvT2_20rocsparse_direction_NS_24const_host_device_scalarIT0_EES3_PKS3_PKT1_SC_S9_PKT3_PKT4_S7_PT5_21rocsparse_index_base_b, .Lfunc_end161-_ZN9rocsparseL20bsrxmvn_17_32_kernelILj18E21rocsparse_complex_numIfEllS2_S2_S2_EEvT2_20rocsparse_direction_NS_24const_host_device_scalarIT0_EES3_PKS3_PKT1_SC_S9_PKT3_PKT4_S7_PT5_21rocsparse_index_base_b
                                        ; -- End function
	.set _ZN9rocsparseL20bsrxmvn_17_32_kernelILj18E21rocsparse_complex_numIfEllS2_S2_S2_EEvT2_20rocsparse_direction_NS_24const_host_device_scalarIT0_EES3_PKS3_PKT1_SC_S9_PKT3_PKT4_S7_PT5_21rocsparse_index_base_b.num_vgpr, 20
	.set _ZN9rocsparseL20bsrxmvn_17_32_kernelILj18E21rocsparse_complex_numIfEllS2_S2_S2_EEvT2_20rocsparse_direction_NS_24const_host_device_scalarIT0_EES3_PKS3_PKT1_SC_S9_PKT3_PKT4_S7_PT5_21rocsparse_index_base_b.num_agpr, 0
	.set _ZN9rocsparseL20bsrxmvn_17_32_kernelILj18E21rocsparse_complex_numIfEllS2_S2_S2_EEvT2_20rocsparse_direction_NS_24const_host_device_scalarIT0_EES3_PKS3_PKT1_SC_S9_PKT3_PKT4_S7_PT5_21rocsparse_index_base_b.numbered_sgpr, 22
	.set _ZN9rocsparseL20bsrxmvn_17_32_kernelILj18E21rocsparse_complex_numIfEllS2_S2_S2_EEvT2_20rocsparse_direction_NS_24const_host_device_scalarIT0_EES3_PKS3_PKT1_SC_S9_PKT3_PKT4_S7_PT5_21rocsparse_index_base_b.num_named_barrier, 0
	.set _ZN9rocsparseL20bsrxmvn_17_32_kernelILj18E21rocsparse_complex_numIfEllS2_S2_S2_EEvT2_20rocsparse_direction_NS_24const_host_device_scalarIT0_EES3_PKS3_PKT1_SC_S9_PKT3_PKT4_S7_PT5_21rocsparse_index_base_b.private_seg_size, 0
	.set _ZN9rocsparseL20bsrxmvn_17_32_kernelILj18E21rocsparse_complex_numIfEllS2_S2_S2_EEvT2_20rocsparse_direction_NS_24const_host_device_scalarIT0_EES3_PKS3_PKT1_SC_S9_PKT3_PKT4_S7_PT5_21rocsparse_index_base_b.uses_vcc, 1
	.set _ZN9rocsparseL20bsrxmvn_17_32_kernelILj18E21rocsparse_complex_numIfEllS2_S2_S2_EEvT2_20rocsparse_direction_NS_24const_host_device_scalarIT0_EES3_PKS3_PKT1_SC_S9_PKT3_PKT4_S7_PT5_21rocsparse_index_base_b.uses_flat_scratch, 0
	.set _ZN9rocsparseL20bsrxmvn_17_32_kernelILj18E21rocsparse_complex_numIfEllS2_S2_S2_EEvT2_20rocsparse_direction_NS_24const_host_device_scalarIT0_EES3_PKS3_PKT1_SC_S9_PKT3_PKT4_S7_PT5_21rocsparse_index_base_b.has_dyn_sized_stack, 0
	.set _ZN9rocsparseL20bsrxmvn_17_32_kernelILj18E21rocsparse_complex_numIfEllS2_S2_S2_EEvT2_20rocsparse_direction_NS_24const_host_device_scalarIT0_EES3_PKS3_PKT1_SC_S9_PKT3_PKT4_S7_PT5_21rocsparse_index_base_b.has_recursion, 0
	.set _ZN9rocsparseL20bsrxmvn_17_32_kernelILj18E21rocsparse_complex_numIfEllS2_S2_S2_EEvT2_20rocsparse_direction_NS_24const_host_device_scalarIT0_EES3_PKS3_PKT1_SC_S9_PKT3_PKT4_S7_PT5_21rocsparse_index_base_b.has_indirect_call, 0
	.section	.AMDGPU.csdata,"",@progbits
; Kernel info:
; codeLenInByte = 1488
; TotalNumSgprs: 26
; NumVgprs: 20
; ScratchSize: 0
; MemoryBound: 0
; FloatMode: 240
; IeeeMode: 1
; LDSByteSize: 2592 bytes/workgroup (compile time only)
; SGPRBlocks: 8
; VGPRBlocks: 6
; NumSGPRsForWavesPerEU: 65
; NumVGPRsForWavesPerEU: 25
; Occupancy: 9
; WaveLimiterHint : 1
; COMPUTE_PGM_RSRC2:SCRATCH_EN: 0
; COMPUTE_PGM_RSRC2:USER_SGPR: 6
; COMPUTE_PGM_RSRC2:TRAP_HANDLER: 0
; COMPUTE_PGM_RSRC2:TGID_X_EN: 1
; COMPUTE_PGM_RSRC2:TGID_Y_EN: 0
; COMPUTE_PGM_RSRC2:TGID_Z_EN: 0
; COMPUTE_PGM_RSRC2:TIDIG_COMP_CNT: 0
	.section	.text._ZN9rocsparseL20bsrxmvn_17_32_kernelILj19E21rocsparse_complex_numIfEllS2_S2_S2_EEvT2_20rocsparse_direction_NS_24const_host_device_scalarIT0_EES3_PKS3_PKT1_SC_S9_PKT3_PKT4_S7_PT5_21rocsparse_index_base_b,"axG",@progbits,_ZN9rocsparseL20bsrxmvn_17_32_kernelILj19E21rocsparse_complex_numIfEllS2_S2_S2_EEvT2_20rocsparse_direction_NS_24const_host_device_scalarIT0_EES3_PKS3_PKT1_SC_S9_PKT3_PKT4_S7_PT5_21rocsparse_index_base_b,comdat
	.globl	_ZN9rocsparseL20bsrxmvn_17_32_kernelILj19E21rocsparse_complex_numIfEllS2_S2_S2_EEvT2_20rocsparse_direction_NS_24const_host_device_scalarIT0_EES3_PKS3_PKT1_SC_S9_PKT3_PKT4_S7_PT5_21rocsparse_index_base_b ; -- Begin function _ZN9rocsparseL20bsrxmvn_17_32_kernelILj19E21rocsparse_complex_numIfEllS2_S2_S2_EEvT2_20rocsparse_direction_NS_24const_host_device_scalarIT0_EES3_PKS3_PKT1_SC_S9_PKT3_PKT4_S7_PT5_21rocsparse_index_base_b
	.p2align	8
	.type	_ZN9rocsparseL20bsrxmvn_17_32_kernelILj19E21rocsparse_complex_numIfEllS2_S2_S2_EEvT2_20rocsparse_direction_NS_24const_host_device_scalarIT0_EES3_PKS3_PKT1_SC_S9_PKT3_PKT4_S7_PT5_21rocsparse_index_base_b,@function
_ZN9rocsparseL20bsrxmvn_17_32_kernelILj19E21rocsparse_complex_numIfEllS2_S2_S2_EEvT2_20rocsparse_direction_NS_24const_host_device_scalarIT0_EES3_PKS3_PKT1_SC_S9_PKT3_PKT4_S7_PT5_21rocsparse_index_base_b: ; @_ZN9rocsparseL20bsrxmvn_17_32_kernelILj19E21rocsparse_complex_numIfEllS2_S2_S2_EEvT2_20rocsparse_direction_NS_24const_host_device_scalarIT0_EES3_PKS3_PKT1_SC_S9_PKT3_PKT4_S7_PT5_21rocsparse_index_base_b
; %bb.0:
	s_load_dwordx2 s[0:1], s[4:5], 0x10
	s_load_dwordx2 s[14:15], s[4:5], 0x60
	s_add_u32 s7, s4, 16
	s_addc_u32 s8, s5, 0
	s_add_u32 s9, s4, 0x50
	s_load_dwordx2 s[2:3], s[4:5], 0x50
	s_addc_u32 s10, s5, 0
	s_waitcnt lgkmcnt(0)
	s_bitcmp1_b32 s15, 0
	s_cselect_b32 s1, s8, s1
	s_cselect_b32 s0, s7, s0
	v_mov_b32_e32 v1, s0
	v_mov_b32_e32 v2, s1
	flat_load_dwordx2 v[3:4], v[1:2]
	s_cselect_b32 s0, s10, s3
	s_cselect_b32 s1, s9, s2
	v_mov_b32_e32 v1, s1
	v_mov_b32_e32 v2, s0
	flat_load_dwordx2 v[1:2], v[1:2]
	s_waitcnt vmcnt(0) lgkmcnt(0)
	v_cmp_eq_f32_e32 vcc, 0, v3
	v_cmp_eq_f32_e64 s[0:1], 0, v4
	s_and_b64 s[8:9], vcc, s[0:1]
	s_mov_b64 s[0:1], -1
	s_and_saveexec_b64 s[2:3], s[8:9]
; %bb.1:
	v_cmp_neq_f32_e32 vcc, 1.0, v1
	v_cmp_neq_f32_e64 s[0:1], 0, v2
	s_or_b64 s[0:1], vcc, s[0:1]
	s_orn2_b64 s[0:1], s[0:1], exec
; %bb.2:
	s_or_b64 exec, exec, s[2:3]
	s_and_saveexec_b64 s[2:3], s[0:1]
	s_cbranch_execz .LBB162_39
; %bb.3:
	s_load_dwordx4 s[0:3], s[4:5], 0x20
	s_load_dwordx2 s[8:9], s[4:5], 0x30
	s_mov_b32 s7, 0
	s_waitcnt lgkmcnt(0)
	s_cmp_eq_u64 s[0:1], 0
	s_cbranch_scc1 .LBB162_5
; %bb.4:
	s_lshl_b64 s[6:7], s[6:7], 3
	s_add_u32 s0, s0, s6
	s_addc_u32 s1, s1, s7
	s_load_dwordx2 s[0:1], s[0:1], 0x0
	s_waitcnt lgkmcnt(0)
	s_sub_u32 s6, s0, s14
	s_subb_u32 s7, s1, 0
.LBB162_5:
	s_load_dword s10, s[4:5], 0x8
	s_load_dwordx2 s[12:13], s[4:5], 0x58
	v_mul_u32_u24_e32 v7, 0xd7a, v0
	v_mov_b32_e32 v8, 19
	v_mul_lo_u16_sdwa v5, v7, v8 dst_sel:DWORD dst_unused:UNUSED_PAD src0_sel:WORD_1 src1_sel:DWORD
	s_waitcnt lgkmcnt(0)
	s_cmp_eq_u32 s10, 1
	s_cselect_b64 s[0:1], -1, 0
	s_cmp_lg_u32 s10, 1
	s_cselect_b64 s[16:17], -1, 0
	s_lshl_b64 s[10:11], s[6:7], 3
	s_add_u32 s20, s2, s10
	s_addc_u32 s21, s3, s11
	s_add_u32 s2, s20, 8
	s_addc_u32 s3, s21, 0
	;; [unrolled: 2-line block ×3, first 2 shown]
	s_cmp_eq_u64 s[8:9], 0
	s_cselect_b32 s9, s3, s11
	s_cselect_b32 s8, s2, s10
	s_load_dwordx2 s[2:3], s[8:9], 0x0
	s_load_dwordx2 s[18:19], s[20:21], 0x0
	v_sub_u16_e32 v16, v0, v5
	v_lshlrev_b32_e32 v15, 3, v0
	s_waitcnt lgkmcnt(0)
	v_mov_b32_e32 v6, s3
	v_mov_b32_e32 v5, s2
	v_cmp_ge_i64_e32 vcc, s[18:19], v[5:6]
	v_mov_b32_e32 v6, 0
	v_mov_b32_e32 v5, 0
	s_cbranch_vccnz .LBB162_10
; %bb.6:
	v_mov_b32_e32 v5, 14
	v_mul_lo_u16_sdwa v5, v7, v5 dst_sel:DWORD dst_unused:UNUSED_PAD src0_sel:WORD_1 src1_sel:DWORD
	s_sub_u32 s2, s2, s14
	s_load_dwordx4 s[8:11], s[4:5], 0x38
	s_load_dwordx2 s[20:21], s[4:5], 0x48
	v_mul_lo_u16_sdwa v5, v5, v8 dst_sel:DWORD dst_unused:UNUSED_PAD src0_sel:BYTE_1 src1_sel:DWORD
	s_subb_u32 s3, s3, 0
	v_sub_u16_sdwa v5, v7, v5 dst_sel:DWORD dst_unused:UNUSED_PAD src0_sel:WORD_1 src1_sel:DWORD
	s_sub_u32 s4, s18, s14
	v_and_b32_e32 v5, 0xff, v5
	s_subb_u32 s5, s19, 0
	v_cndmask_b32_e64 v5, v16, v5, s[0:1]
	s_mul_i32 s0, s5, 0xb48
	s_mul_hi_u32 s1, s4, 0xb48
	v_lshlrev_b32_e32 v5, 3, v5
	s_add_i32 s1, s1, s0
	s_mul_i32 s0, s4, 0xb48
	s_waitcnt lgkmcnt(0)
	v_mov_b32_e32 v8, s21
	v_add_co_u32_e32 v7, vcc, s20, v5
	s_add_u32 s0, s10, s0
	v_addc_co_u32_e32 v8, vcc, 0, v8, vcc
	s_addc_u32 s1, s11, s1
	v_mov_b32_e32 v5, s1
	v_add_co_u32_e32 v9, vcc, s0, v15
	s_movk_i32 s0, 0xb6
	v_addc_co_u32_e32 v10, vcc, 0, v5, vcc
	v_mul_u32_u24_sdwa v5, v0, s0 dst_sel:DWORD dst_unused:UNUSED_PAD src0_sel:WORD_0 src1_sel:DWORD
	v_lshrrev_b32_e32 v17, 16, v5
	v_mov_b32_e32 v5, s19
	v_add_co_u32_e32 v11, vcc, s18, v17
	v_addc_co_u32_e32 v5, vcc, 0, v5, vcc
	v_subrev_co_u32_e32 v11, vcc, s14, v11
	v_subbrev_co_u32_e32 v12, vcc, 0, v5, vcc
	v_lshlrev_b64 v[11:12], 3, v[11:12]
	v_mov_b32_e32 v6, 0
	v_mov_b32_e32 v5, s9
	v_add_co_u32_e32 v11, vcc, s8, v11
	v_mov_b32_e32 v14, s3
	v_addc_co_u32_e32 v12, vcc, v5, v12, vcc
	s_movk_i32 s8, 0x98
	v_mov_b32_e32 v13, s2
	v_mov_b32_e32 v5, v6
	s_branch .LBB162_8
.LBB162_7:                              ;   in Loop: Header=BB162_8 Depth=1
	s_or_b64 exec, exec, s[0:1]
	s_add_u32 s4, s4, 1
	s_addc_u32 s5, s5, 0
	v_cmp_lt_i64_e32 vcc, s[4:5], v[13:14]
	v_add_co_u32_e64 v11, s[0:1], 8, v11
	v_addc_co_u32_e64 v12, s[0:1], 0, v12, s[0:1]
	s_cbranch_vccz .LBB162_10
.LBB162_8:                              ; =>This Inner Loop Header: Depth=1
	v_mov_b32_e32 v19, s5
	v_add_co_u32_e32 v18, vcc, s4, v17
	v_addc_co_u32_e32 v19, vcc, 0, v19, vcc
	v_cmp_gt_i64_e32 vcc, s[2:3], v[18:19]
	s_and_saveexec_b64 s[0:1], vcc
	s_cbranch_execz .LBB162_7
; %bb.9:                                ;   in Loop: Header=BB162_8 Depth=1
	global_load_dwordx2 v[18:19], v[11:12], off
	s_waitcnt vmcnt(0)
	v_subrev_co_u32_e32 v18, vcc, s14, v18
	v_subbrev_co_u32_e32 v20, vcc, 0, v19, vcc
	v_mad_u64_u32 v[18:19], s[10:11], v18, s8, v[7:8]
	v_mad_u64_u32 v[19:20], s[10:11], v20, s8, v[19:20]
	global_load_dwordx2 v[20:21], v[9:10], off
	s_nop 0
	global_load_dwordx2 v[18:19], v[18:19], off
	v_add_co_u32_e32 v9, vcc, 0xb48, v9
	v_addc_co_u32_e32 v10, vcc, 0, v10, vcc
	s_waitcnt vmcnt(0)
	v_fmac_f32_e32 v5, v20, v18
	v_fmac_f32_e32 v6, v21, v18
	v_fma_f32 v5, -v21, v19, v5
	v_fmac_f32_e32 v6, v20, v19
	s_branch .LBB162_7
.LBB162_10:
	s_and_b64 vcc, exec, s[16:17]
	ds_write_b64 v15, v[5:6]
	s_waitcnt lgkmcnt(0)
	s_barrier
	s_cbranch_vccz .LBB162_22
; %bb.11:
	v_cmp_gt_u16_e32 vcc, 3, v16
	s_and_saveexec_b64 s[0:1], vcc
	s_cbranch_execz .LBB162_13
; %bb.12:
	ds_read2_b64 v[7:10], v15 offset1:16
	s_waitcnt lgkmcnt(0)
	v_add_f32_e32 v7, v9, v7
	v_add_f32_e32 v8, v10, v8
	ds_write_b64 v15, v[7:8]
.LBB162_13:
	s_or_b64 exec, exec, s[0:1]
	v_cmp_gt_u16_e32 vcc, 8, v16
	s_waitcnt lgkmcnt(0)
	s_barrier
	s_and_saveexec_b64 s[0:1], vcc
	s_cbranch_execz .LBB162_15
; %bb.14:
	ds_read2_b64 v[7:10], v15 offset1:8
	s_waitcnt lgkmcnt(0)
	v_add_f32_e32 v7, v9, v7
	v_add_f32_e32 v8, v10, v8
	ds_write_b64 v15, v[7:8]
.LBB162_15:
	s_or_b64 exec, exec, s[0:1]
	v_cmp_gt_u16_e32 vcc, 4, v16
	s_waitcnt lgkmcnt(0)
	s_barrier
	;; [unrolled: 13-line block ×3, first 2 shown]
	s_and_saveexec_b64 s[0:1], vcc
	s_cbranch_execz .LBB162_19
; %bb.18:
	ds_read2_b64 v[7:10], v15 offset1:2
	s_waitcnt lgkmcnt(0)
	v_add_f32_e32 v7, v9, v7
	v_add_f32_e32 v8, v10, v8
	ds_write_b64 v15, v[7:8]
.LBB162_19:
	s_or_b64 exec, exec, s[0:1]
	v_cmp_gt_u32_e32 vcc, 19, v0
	v_mov_b32_e32 v8, v6
	v_mov_b32_e32 v7, v5
	s_waitcnt lgkmcnt(0)
	s_barrier
	s_and_saveexec_b64 s[0:1], vcc
	s_cbranch_execz .LBB162_21
; %bb.20:
	s_movk_i32 s2, 0x90
	v_mad_u32_u24 v7, v0, s2, v15
	ds_read2_b64 v[7:10], v7 offset1:1
	s_waitcnt lgkmcnt(0)
	v_add_f32_e32 v7, v9, v7
	v_add_f32_e32 v8, v10, v8
.LBB162_21:
	s_or_b64 exec, exec, s[0:1]
	s_branch .LBB162_34
.LBB162_22:
                                        ; implicit-def: $vgpr8
                                        ; implicit-def: $vgpr7
	s_cbranch_execz .LBB162_34
; %bb.23:
	v_cmp_gt_u32_e32 vcc, 57, v0
	s_and_saveexec_b64 s[0:1], vcc
	s_cbranch_execz .LBB162_25
; %bb.24:
	ds_read_b64 v[7:8], v15 offset:2432
	ds_read_b64 v[9:10], v15
	s_waitcnt lgkmcnt(0)
	v_add_f32_e32 v7, v7, v9
	v_add_f32_e32 v8, v8, v10
	ds_write_b64 v15, v[7:8]
.LBB162_25:
	s_or_b64 exec, exec, s[0:1]
	s_movk_i32 s0, 0x98
	v_cmp_gt_u32_e32 vcc, s0, v0
	s_waitcnt lgkmcnt(0)
	s_barrier
	s_and_saveexec_b64 s[0:1], vcc
	s_cbranch_execz .LBB162_27
; %bb.26:
	ds_read2_b64 v[7:10], v15 offset1:152
	s_waitcnt lgkmcnt(0)
	v_add_f32_e32 v7, v9, v7
	v_add_f32_e32 v8, v10, v8
	ds_write_b64 v15, v[7:8]
.LBB162_27:
	s_or_b64 exec, exec, s[0:1]
	s_movk_i32 s0, 0x4c
	v_cmp_gt_u32_e32 vcc, s0, v0
	s_waitcnt lgkmcnt(0)
	s_barrier
	s_and_saveexec_b64 s[0:1], vcc
	s_cbranch_execz .LBB162_29
; %bb.28:
	ds_read2_b64 v[7:10], v15 offset1:76
	s_waitcnt lgkmcnt(0)
	v_add_f32_e32 v7, v9, v7
	v_add_f32_e32 v8, v10, v8
	ds_write_b64 v15, v[7:8]
.LBB162_29:
	s_or_b64 exec, exec, s[0:1]
	v_cmp_gt_u32_e32 vcc, 38, v0
	s_waitcnt lgkmcnt(0)
	s_barrier
	s_and_saveexec_b64 s[0:1], vcc
	s_cbranch_execz .LBB162_31
; %bb.30:
	ds_read2_b64 v[7:10], v15 offset1:38
	s_waitcnt lgkmcnt(0)
	v_add_f32_e32 v7, v9, v7
	v_add_f32_e32 v8, v10, v8
	ds_write_b64 v15, v[7:8]
.LBB162_31:
	s_or_b64 exec, exec, s[0:1]
	v_cmp_gt_u32_e32 vcc, 19, v0
	s_waitcnt lgkmcnt(0)
	s_and_saveexec_b64 s[0:1], vcc
	s_cbranch_execz .LBB162_33
; %bb.32:
	ds_read2_b64 v[5:8], v15 offset1:19
	s_waitcnt lgkmcnt(0)
	v_add_f32_e32 v5, v7, v5
	v_add_f32_e32 v6, v8, v6
.LBB162_33:
	s_or_b64 exec, exec, s[0:1]
	v_mov_b32_e32 v8, v6
	v_mov_b32_e32 v7, v5
.LBB162_34:
	v_cmp_gt_u32_e32 vcc, 19, v0
	s_and_b64 exec, exec, vcc
	s_cbranch_execz .LBB162_39
; %bb.35:
	v_cmp_eq_f32_e32 vcc, 0, v1
	v_cmp_eq_f32_e64 s[0:1], 0, v2
	v_mul_f32_e64 v5, v8, -v4
	v_mul_f32_e32 v6, v3, v8
	s_and_b64 s[0:1], vcc, s[0:1]
	v_fmac_f32_e32 v5, v3, v7
	v_fmac_f32_e32 v6, v4, v7
	s_mul_i32 s2, s7, 0x98
	s_mul_hi_u32 s3, s6, 0x98
	s_mul_i32 s4, s6, 0x98
	s_and_saveexec_b64 s[6:7], s[0:1]
	s_xor_b64 s[0:1], exec, s[6:7]
	s_cbranch_execz .LBB162_37
; %bb.36:
	s_add_i32 s5, s3, s2
	s_add_u32 s6, s12, s4
	s_addc_u32 s7, s13, s5
	global_store_dwordx2 v15, v[5:6], s[6:7]
                                        ; implicit-def: $vgpr15
                                        ; implicit-def: $vgpr1_vgpr2
                                        ; implicit-def: $vgpr5
.LBB162_37:
	s_andn2_saveexec_b64 s[0:1], s[0:1]
	s_cbranch_execz .LBB162_39
; %bb.38:
	s_add_i32 s3, s3, s2
	s_add_u32 s0, s12, s4
	s_addc_u32 s1, s13, s3
	global_load_dwordx2 v[3:4], v15, s[0:1]
	s_waitcnt vmcnt(0)
	v_fmac_f32_e32 v5, v1, v3
	v_fmac_f32_e32 v6, v2, v3
	v_fma_f32 v5, -v2, v4, v5
	v_fmac_f32_e32 v6, v1, v4
	global_store_dwordx2 v15, v[5:6], s[0:1]
.LBB162_39:
	s_endpgm
	.section	.rodata,"a",@progbits
	.p2align	6, 0x0
	.amdhsa_kernel _ZN9rocsparseL20bsrxmvn_17_32_kernelILj19E21rocsparse_complex_numIfEllS2_S2_S2_EEvT2_20rocsparse_direction_NS_24const_host_device_scalarIT0_EES3_PKS3_PKT1_SC_S9_PKT3_PKT4_S7_PT5_21rocsparse_index_base_b
		.amdhsa_group_segment_fixed_size 2888
		.amdhsa_private_segment_fixed_size 0
		.amdhsa_kernarg_size 104
		.amdhsa_user_sgpr_count 6
		.amdhsa_user_sgpr_private_segment_buffer 1
		.amdhsa_user_sgpr_dispatch_ptr 0
		.amdhsa_user_sgpr_queue_ptr 0
		.amdhsa_user_sgpr_kernarg_segment_ptr 1
		.amdhsa_user_sgpr_dispatch_id 0
		.amdhsa_user_sgpr_flat_scratch_init 0
		.amdhsa_user_sgpr_private_segment_size 0
		.amdhsa_uses_dynamic_stack 0
		.amdhsa_system_sgpr_private_segment_wavefront_offset 0
		.amdhsa_system_sgpr_workgroup_id_x 1
		.amdhsa_system_sgpr_workgroup_id_y 0
		.amdhsa_system_sgpr_workgroup_id_z 0
		.amdhsa_system_sgpr_workgroup_info 0
		.amdhsa_system_vgpr_workitem_id 0
		.amdhsa_next_free_vgpr 25
		.amdhsa_next_free_sgpr 61
		.amdhsa_reserve_vcc 1
		.amdhsa_reserve_flat_scratch 0
		.amdhsa_float_round_mode_32 0
		.amdhsa_float_round_mode_16_64 0
		.amdhsa_float_denorm_mode_32 3
		.amdhsa_float_denorm_mode_16_64 3
		.amdhsa_dx10_clamp 1
		.amdhsa_ieee_mode 1
		.amdhsa_fp16_overflow 0
		.amdhsa_exception_fp_ieee_invalid_op 0
		.amdhsa_exception_fp_denorm_src 0
		.amdhsa_exception_fp_ieee_div_zero 0
		.amdhsa_exception_fp_ieee_overflow 0
		.amdhsa_exception_fp_ieee_underflow 0
		.amdhsa_exception_fp_ieee_inexact 0
		.amdhsa_exception_int_div_zero 0
	.end_amdhsa_kernel
	.section	.text._ZN9rocsparseL20bsrxmvn_17_32_kernelILj19E21rocsparse_complex_numIfEllS2_S2_S2_EEvT2_20rocsparse_direction_NS_24const_host_device_scalarIT0_EES3_PKS3_PKT1_SC_S9_PKT3_PKT4_S7_PT5_21rocsparse_index_base_b,"axG",@progbits,_ZN9rocsparseL20bsrxmvn_17_32_kernelILj19E21rocsparse_complex_numIfEllS2_S2_S2_EEvT2_20rocsparse_direction_NS_24const_host_device_scalarIT0_EES3_PKS3_PKT1_SC_S9_PKT3_PKT4_S7_PT5_21rocsparse_index_base_b,comdat
.Lfunc_end162:
	.size	_ZN9rocsparseL20bsrxmvn_17_32_kernelILj19E21rocsparse_complex_numIfEllS2_S2_S2_EEvT2_20rocsparse_direction_NS_24const_host_device_scalarIT0_EES3_PKS3_PKT1_SC_S9_PKT3_PKT4_S7_PT5_21rocsparse_index_base_b, .Lfunc_end162-_ZN9rocsparseL20bsrxmvn_17_32_kernelILj19E21rocsparse_complex_numIfEllS2_S2_S2_EEvT2_20rocsparse_direction_NS_24const_host_device_scalarIT0_EES3_PKS3_PKT1_SC_S9_PKT3_PKT4_S7_PT5_21rocsparse_index_base_b
                                        ; -- End function
	.set _ZN9rocsparseL20bsrxmvn_17_32_kernelILj19E21rocsparse_complex_numIfEllS2_S2_S2_EEvT2_20rocsparse_direction_NS_24const_host_device_scalarIT0_EES3_PKS3_PKT1_SC_S9_PKT3_PKT4_S7_PT5_21rocsparse_index_base_b.num_vgpr, 22
	.set _ZN9rocsparseL20bsrxmvn_17_32_kernelILj19E21rocsparse_complex_numIfEllS2_S2_S2_EEvT2_20rocsparse_direction_NS_24const_host_device_scalarIT0_EES3_PKS3_PKT1_SC_S9_PKT3_PKT4_S7_PT5_21rocsparse_index_base_b.num_agpr, 0
	.set _ZN9rocsparseL20bsrxmvn_17_32_kernelILj19E21rocsparse_complex_numIfEllS2_S2_S2_EEvT2_20rocsparse_direction_NS_24const_host_device_scalarIT0_EES3_PKS3_PKT1_SC_S9_PKT3_PKT4_S7_PT5_21rocsparse_index_base_b.numbered_sgpr, 22
	.set _ZN9rocsparseL20bsrxmvn_17_32_kernelILj19E21rocsparse_complex_numIfEllS2_S2_S2_EEvT2_20rocsparse_direction_NS_24const_host_device_scalarIT0_EES3_PKS3_PKT1_SC_S9_PKT3_PKT4_S7_PT5_21rocsparse_index_base_b.num_named_barrier, 0
	.set _ZN9rocsparseL20bsrxmvn_17_32_kernelILj19E21rocsparse_complex_numIfEllS2_S2_S2_EEvT2_20rocsparse_direction_NS_24const_host_device_scalarIT0_EES3_PKS3_PKT1_SC_S9_PKT3_PKT4_S7_PT5_21rocsparse_index_base_b.private_seg_size, 0
	.set _ZN9rocsparseL20bsrxmvn_17_32_kernelILj19E21rocsparse_complex_numIfEllS2_S2_S2_EEvT2_20rocsparse_direction_NS_24const_host_device_scalarIT0_EES3_PKS3_PKT1_SC_S9_PKT3_PKT4_S7_PT5_21rocsparse_index_base_b.uses_vcc, 1
	.set _ZN9rocsparseL20bsrxmvn_17_32_kernelILj19E21rocsparse_complex_numIfEllS2_S2_S2_EEvT2_20rocsparse_direction_NS_24const_host_device_scalarIT0_EES3_PKS3_PKT1_SC_S9_PKT3_PKT4_S7_PT5_21rocsparse_index_base_b.uses_flat_scratch, 0
	.set _ZN9rocsparseL20bsrxmvn_17_32_kernelILj19E21rocsparse_complex_numIfEllS2_S2_S2_EEvT2_20rocsparse_direction_NS_24const_host_device_scalarIT0_EES3_PKS3_PKT1_SC_S9_PKT3_PKT4_S7_PT5_21rocsparse_index_base_b.has_dyn_sized_stack, 0
	.set _ZN9rocsparseL20bsrxmvn_17_32_kernelILj19E21rocsparse_complex_numIfEllS2_S2_S2_EEvT2_20rocsparse_direction_NS_24const_host_device_scalarIT0_EES3_PKS3_PKT1_SC_S9_PKT3_PKT4_S7_PT5_21rocsparse_index_base_b.has_recursion, 0
	.set _ZN9rocsparseL20bsrxmvn_17_32_kernelILj19E21rocsparse_complex_numIfEllS2_S2_S2_EEvT2_20rocsparse_direction_NS_24const_host_device_scalarIT0_EES3_PKS3_PKT1_SC_S9_PKT3_PKT4_S7_PT5_21rocsparse_index_base_b.has_indirect_call, 0
	.section	.AMDGPU.csdata,"",@progbits
; Kernel info:
; codeLenInByte = 1480
; TotalNumSgprs: 26
; NumVgprs: 22
; ScratchSize: 0
; MemoryBound: 0
; FloatMode: 240
; IeeeMode: 1
; LDSByteSize: 2888 bytes/workgroup (compile time only)
; SGPRBlocks: 8
; VGPRBlocks: 6
; NumSGPRsForWavesPerEU: 65
; NumVGPRsForWavesPerEU: 25
; Occupancy: 9
; WaveLimiterHint : 1
; COMPUTE_PGM_RSRC2:SCRATCH_EN: 0
; COMPUTE_PGM_RSRC2:USER_SGPR: 6
; COMPUTE_PGM_RSRC2:TRAP_HANDLER: 0
; COMPUTE_PGM_RSRC2:TGID_X_EN: 1
; COMPUTE_PGM_RSRC2:TGID_Y_EN: 0
; COMPUTE_PGM_RSRC2:TGID_Z_EN: 0
; COMPUTE_PGM_RSRC2:TIDIG_COMP_CNT: 0
	.section	.text._ZN9rocsparseL20bsrxmvn_17_32_kernelILj20E21rocsparse_complex_numIfEllS2_S2_S2_EEvT2_20rocsparse_direction_NS_24const_host_device_scalarIT0_EES3_PKS3_PKT1_SC_S9_PKT3_PKT4_S7_PT5_21rocsparse_index_base_b,"axG",@progbits,_ZN9rocsparseL20bsrxmvn_17_32_kernelILj20E21rocsparse_complex_numIfEllS2_S2_S2_EEvT2_20rocsparse_direction_NS_24const_host_device_scalarIT0_EES3_PKS3_PKT1_SC_S9_PKT3_PKT4_S7_PT5_21rocsparse_index_base_b,comdat
	.globl	_ZN9rocsparseL20bsrxmvn_17_32_kernelILj20E21rocsparse_complex_numIfEllS2_S2_S2_EEvT2_20rocsparse_direction_NS_24const_host_device_scalarIT0_EES3_PKS3_PKT1_SC_S9_PKT3_PKT4_S7_PT5_21rocsparse_index_base_b ; -- Begin function _ZN9rocsparseL20bsrxmvn_17_32_kernelILj20E21rocsparse_complex_numIfEllS2_S2_S2_EEvT2_20rocsparse_direction_NS_24const_host_device_scalarIT0_EES3_PKS3_PKT1_SC_S9_PKT3_PKT4_S7_PT5_21rocsparse_index_base_b
	.p2align	8
	.type	_ZN9rocsparseL20bsrxmvn_17_32_kernelILj20E21rocsparse_complex_numIfEllS2_S2_S2_EEvT2_20rocsparse_direction_NS_24const_host_device_scalarIT0_EES3_PKS3_PKT1_SC_S9_PKT3_PKT4_S7_PT5_21rocsparse_index_base_b,@function
_ZN9rocsparseL20bsrxmvn_17_32_kernelILj20E21rocsparse_complex_numIfEllS2_S2_S2_EEvT2_20rocsparse_direction_NS_24const_host_device_scalarIT0_EES3_PKS3_PKT1_SC_S9_PKT3_PKT4_S7_PT5_21rocsparse_index_base_b: ; @_ZN9rocsparseL20bsrxmvn_17_32_kernelILj20E21rocsparse_complex_numIfEllS2_S2_S2_EEvT2_20rocsparse_direction_NS_24const_host_device_scalarIT0_EES3_PKS3_PKT1_SC_S9_PKT3_PKT4_S7_PT5_21rocsparse_index_base_b
; %bb.0:
	s_load_dwordx2 s[0:1], s[4:5], 0x10
	s_load_dwordx2 s[14:15], s[4:5], 0x60
	s_add_u32 s7, s4, 16
	s_addc_u32 s8, s5, 0
	s_add_u32 s9, s4, 0x50
	s_load_dwordx2 s[2:3], s[4:5], 0x50
	s_addc_u32 s10, s5, 0
	s_waitcnt lgkmcnt(0)
	s_bitcmp1_b32 s15, 0
	s_cselect_b32 s1, s8, s1
	s_cselect_b32 s0, s7, s0
	v_mov_b32_e32 v1, s0
	v_mov_b32_e32 v2, s1
	flat_load_dwordx2 v[3:4], v[1:2]
	s_cselect_b32 s0, s10, s3
	s_cselect_b32 s1, s9, s2
	v_mov_b32_e32 v1, s1
	v_mov_b32_e32 v2, s0
	flat_load_dwordx2 v[1:2], v[1:2]
	s_waitcnt vmcnt(0) lgkmcnt(0)
	v_cmp_eq_f32_e32 vcc, 0, v3
	v_cmp_eq_f32_e64 s[0:1], 0, v4
	s_and_b64 s[8:9], vcc, s[0:1]
	s_mov_b64 s[0:1], -1
	s_and_saveexec_b64 s[2:3], s[8:9]
; %bb.1:
	v_cmp_neq_f32_e32 vcc, 1.0, v1
	v_cmp_neq_f32_e64 s[0:1], 0, v2
	s_or_b64 s[0:1], vcc, s[0:1]
	s_orn2_b64 s[0:1], s[0:1], exec
; %bb.2:
	s_or_b64 exec, exec, s[2:3]
	s_and_saveexec_b64 s[2:3], s[0:1]
	s_cbranch_execz .LBB163_39
; %bb.3:
	s_load_dwordx4 s[0:3], s[4:5], 0x20
	s_load_dwordx2 s[8:9], s[4:5], 0x30
	s_mov_b32 s7, 0
	s_waitcnt lgkmcnt(0)
	s_cmp_eq_u64 s[0:1], 0
	s_cbranch_scc1 .LBB163_5
; %bb.4:
	s_lshl_b64 s[6:7], s[6:7], 3
	s_add_u32 s0, s0, s6
	s_addc_u32 s1, s1, s7
	s_load_dwordx2 s[0:1], s[0:1], 0x0
	s_waitcnt lgkmcnt(0)
	s_sub_u32 s6, s0, s14
	s_subb_u32 s7, s1, 0
.LBB163_5:
	s_load_dword s10, s[4:5], 0x8
	s_load_dwordx2 s[12:13], s[4:5], 0x58
	v_mul_u32_u24_e32 v7, 0xccd, v0
	v_mov_b32_e32 v8, 20
	v_mul_lo_u16_sdwa v5, v7, v8 dst_sel:DWORD dst_unused:UNUSED_PAD src0_sel:WORD_1 src1_sel:DWORD
	s_waitcnt lgkmcnt(0)
	s_cmp_eq_u32 s10, 1
	s_cselect_b64 s[0:1], -1, 0
	s_cmp_lg_u32 s10, 1
	s_cselect_b64 s[16:17], -1, 0
	s_lshl_b64 s[10:11], s[6:7], 3
	s_add_u32 s20, s2, s10
	s_addc_u32 s21, s3, s11
	s_add_u32 s2, s20, 8
	s_addc_u32 s3, s21, 0
	;; [unrolled: 2-line block ×3, first 2 shown]
	s_cmp_eq_u64 s[8:9], 0
	s_cselect_b32 s9, s3, s11
	s_cselect_b32 s8, s2, s10
	s_load_dwordx2 s[2:3], s[8:9], 0x0
	s_load_dwordx2 s[18:19], s[20:21], 0x0
	v_sub_u16_e32 v16, v0, v5
	v_lshlrev_b32_e32 v15, 3, v0
	s_waitcnt lgkmcnt(0)
	v_mov_b32_e32 v6, s3
	v_mov_b32_e32 v5, s2
	v_cmp_ge_i64_e32 vcc, s[18:19], v[5:6]
	v_mov_b32_e32 v6, 0
	v_mov_b32_e32 v5, 0
	s_cbranch_vccnz .LBB163_10
; %bb.6:
	v_mov_b32_e32 v5, 13
	v_mul_lo_u16_sdwa v5, v7, v5 dst_sel:DWORD dst_unused:UNUSED_PAD src0_sel:WORD_1 src1_sel:DWORD
	s_sub_u32 s2, s2, s14
	s_load_dwordx4 s[8:11], s[4:5], 0x38
	s_load_dwordx2 s[20:21], s[4:5], 0x48
	v_mul_lo_u16_sdwa v5, v5, v8 dst_sel:DWORD dst_unused:UNUSED_PAD src0_sel:BYTE_1 src1_sel:DWORD
	s_subb_u32 s3, s3, 0
	v_sub_u16_sdwa v5, v7, v5 dst_sel:DWORD dst_unused:UNUSED_PAD src0_sel:WORD_1 src1_sel:DWORD
	s_sub_u32 s4, s18, s14
	v_and_b32_e32 v5, 0xff, v5
	s_subb_u32 s5, s19, 0
	v_cndmask_b32_e64 v5, v16, v5, s[0:1]
	s_mul_i32 s0, s5, 0xc80
	s_mul_hi_u32 s1, s4, 0xc80
	v_lshlrev_b32_e32 v5, 3, v5
	s_add_i32 s1, s1, s0
	s_mul_i32 s0, s4, 0xc80
	s_waitcnt lgkmcnt(0)
	v_mov_b32_e32 v8, s21
	v_add_co_u32_e32 v7, vcc, s20, v5
	s_add_u32 s0, s10, s0
	v_addc_co_u32_e32 v8, vcc, 0, v8, vcc
	s_addc_u32 s1, s11, s1
	v_mov_b32_e32 v5, s1
	v_add_co_u32_e32 v9, vcc, s0, v15
	s_movk_i32 s0, 0xa4
	v_addc_co_u32_e32 v10, vcc, 0, v5, vcc
	v_mul_u32_u24_sdwa v5, v0, s0 dst_sel:DWORD dst_unused:UNUSED_PAD src0_sel:WORD_0 src1_sel:DWORD
	v_lshrrev_b32_e32 v17, 16, v5
	v_mov_b32_e32 v5, s19
	v_add_co_u32_e32 v11, vcc, s18, v17
	v_addc_co_u32_e32 v5, vcc, 0, v5, vcc
	v_subrev_co_u32_e32 v11, vcc, s14, v11
	v_subbrev_co_u32_e32 v12, vcc, 0, v5, vcc
	v_lshlrev_b64 v[11:12], 3, v[11:12]
	v_mov_b32_e32 v6, 0
	v_mov_b32_e32 v5, s9
	v_add_co_u32_e32 v11, vcc, s8, v11
	v_mov_b32_e32 v14, s3
	v_addc_co_u32_e32 v12, vcc, v5, v12, vcc
	s_movk_i32 s8, 0xa0
	v_mov_b32_e32 v13, s2
	v_mov_b32_e32 v5, v6
	s_branch .LBB163_8
.LBB163_7:                              ;   in Loop: Header=BB163_8 Depth=1
	s_or_b64 exec, exec, s[0:1]
	s_add_u32 s4, s4, 1
	s_addc_u32 s5, s5, 0
	v_cmp_lt_i64_e32 vcc, s[4:5], v[13:14]
	v_add_co_u32_e64 v11, s[0:1], 8, v11
	v_addc_co_u32_e64 v12, s[0:1], 0, v12, s[0:1]
	s_cbranch_vccz .LBB163_10
.LBB163_8:                              ; =>This Inner Loop Header: Depth=1
	v_mov_b32_e32 v19, s5
	v_add_co_u32_e32 v18, vcc, s4, v17
	v_addc_co_u32_e32 v19, vcc, 0, v19, vcc
	v_cmp_gt_i64_e32 vcc, s[2:3], v[18:19]
	s_and_saveexec_b64 s[0:1], vcc
	s_cbranch_execz .LBB163_7
; %bb.9:                                ;   in Loop: Header=BB163_8 Depth=1
	global_load_dwordx2 v[18:19], v[11:12], off
	s_waitcnt vmcnt(0)
	v_subrev_co_u32_e32 v18, vcc, s14, v18
	v_subbrev_co_u32_e32 v20, vcc, 0, v19, vcc
	v_mad_u64_u32 v[18:19], s[10:11], v18, s8, v[7:8]
	v_mad_u64_u32 v[19:20], s[10:11], v20, s8, v[19:20]
	global_load_dwordx2 v[20:21], v[9:10], off
	s_nop 0
	global_load_dwordx2 v[18:19], v[18:19], off
	v_add_co_u32_e32 v9, vcc, 0xc80, v9
	v_addc_co_u32_e32 v10, vcc, 0, v10, vcc
	s_waitcnt vmcnt(0)
	v_fmac_f32_e32 v5, v20, v18
	v_fmac_f32_e32 v6, v21, v18
	v_fma_f32 v5, -v21, v19, v5
	v_fmac_f32_e32 v6, v20, v19
	s_branch .LBB163_7
.LBB163_10:
	s_and_b64 vcc, exec, s[16:17]
	ds_write_b64 v15, v[5:6]
	s_waitcnt lgkmcnt(0)
	s_barrier
	s_cbranch_vccz .LBB163_22
; %bb.11:
	v_cmp_gt_u16_e32 vcc, 4, v16
	s_and_saveexec_b64 s[0:1], vcc
	s_cbranch_execz .LBB163_13
; %bb.12:
	ds_read2_b64 v[7:10], v15 offset1:16
	s_waitcnt lgkmcnt(0)
	v_add_f32_e32 v7, v9, v7
	v_add_f32_e32 v8, v10, v8
	ds_write_b64 v15, v[7:8]
.LBB163_13:
	s_or_b64 exec, exec, s[0:1]
	v_cmp_gt_u16_e64 s[0:1], 8, v16
	s_waitcnt lgkmcnt(0)
	s_barrier
	s_and_saveexec_b64 s[2:3], s[0:1]
	s_cbranch_execz .LBB163_15
; %bb.14:
	ds_read2_b64 v[7:10], v15 offset1:8
	s_waitcnt lgkmcnt(0)
	v_add_f32_e32 v7, v9, v7
	v_add_f32_e32 v8, v10, v8
	ds_write_b64 v15, v[7:8]
.LBB163_15:
	s_or_b64 exec, exec, s[2:3]
	s_waitcnt lgkmcnt(0)
	s_barrier
	s_and_saveexec_b64 s[0:1], vcc
	s_cbranch_execz .LBB163_17
; %bb.16:
	ds_read2_b64 v[7:10], v15 offset1:4
	s_waitcnt lgkmcnt(0)
	v_add_f32_e32 v7, v9, v7
	v_add_f32_e32 v8, v10, v8
	ds_write_b64 v15, v[7:8]
.LBB163_17:
	s_or_b64 exec, exec, s[0:1]
	v_cmp_gt_u16_e32 vcc, 2, v16
	s_waitcnt lgkmcnt(0)
	s_barrier
	s_and_saveexec_b64 s[0:1], vcc
	s_cbranch_execz .LBB163_19
; %bb.18:
	ds_read2_b64 v[7:10], v15 offset1:2
	s_waitcnt lgkmcnt(0)
	v_add_f32_e32 v7, v9, v7
	v_add_f32_e32 v8, v10, v8
	ds_write_b64 v15, v[7:8]
.LBB163_19:
	s_or_b64 exec, exec, s[0:1]
	v_cmp_gt_u32_e32 vcc, 20, v0
	v_mov_b32_e32 v8, v6
	v_mov_b32_e32 v7, v5
	s_waitcnt lgkmcnt(0)
	s_barrier
	s_and_saveexec_b64 s[0:1], vcc
	s_cbranch_execz .LBB163_21
; %bb.20:
	s_movk_i32 s2, 0x98
	v_mad_u32_u24 v7, v0, s2, v15
	ds_read2_b64 v[7:10], v7 offset1:1
	s_waitcnt lgkmcnt(0)
	v_add_f32_e32 v7, v9, v7
	v_add_f32_e32 v8, v10, v8
.LBB163_21:
	s_or_b64 exec, exec, s[0:1]
	s_branch .LBB163_34
.LBB163_22:
                                        ; implicit-def: $vgpr8
                                        ; implicit-def: $vgpr7
	s_cbranch_execz .LBB163_34
; %bb.23:
	s_movk_i32 s0, 0x50
	v_cmp_gt_u32_e32 vcc, s0, v0
	s_and_saveexec_b64 s[0:1], vcc
	s_cbranch_execz .LBB163_25
; %bb.24:
	ds_read2st64_b64 v[7:10], v15 offset1:5
	s_waitcnt lgkmcnt(0)
	v_add_f32_e32 v7, v9, v7
	v_add_f32_e32 v8, v10, v8
	ds_write_b64 v15, v[7:8]
.LBB163_25:
	s_or_b64 exec, exec, s[0:1]
	s_movk_i32 s0, 0xa0
	v_cmp_gt_u32_e64 s[0:1], s0, v0
	s_waitcnt lgkmcnt(0)
	s_barrier
	s_and_saveexec_b64 s[2:3], s[0:1]
	s_cbranch_execz .LBB163_27
; %bb.26:
	ds_read2_b64 v[7:10], v15 offset1:160
	s_waitcnt lgkmcnt(0)
	v_add_f32_e32 v7, v9, v7
	v_add_f32_e32 v8, v10, v8
	ds_write_b64 v15, v[7:8]
.LBB163_27:
	s_or_b64 exec, exec, s[2:3]
	s_waitcnt lgkmcnt(0)
	s_barrier
	s_and_saveexec_b64 s[0:1], vcc
	s_cbranch_execz .LBB163_29
; %bb.28:
	ds_read2_b64 v[7:10], v15 offset1:80
	s_waitcnt lgkmcnt(0)
	v_add_f32_e32 v7, v9, v7
	v_add_f32_e32 v8, v10, v8
	ds_write_b64 v15, v[7:8]
.LBB163_29:
	s_or_b64 exec, exec, s[0:1]
	v_cmp_gt_u32_e32 vcc, 40, v0
	s_waitcnt lgkmcnt(0)
	s_barrier
	s_and_saveexec_b64 s[0:1], vcc
	s_cbranch_execz .LBB163_31
; %bb.30:
	ds_read2_b64 v[7:10], v15 offset1:40
	s_waitcnt lgkmcnt(0)
	v_add_f32_e32 v7, v9, v7
	v_add_f32_e32 v8, v10, v8
	ds_write_b64 v15, v[7:8]
.LBB163_31:
	s_or_b64 exec, exec, s[0:1]
	v_cmp_gt_u32_e32 vcc, 20, v0
	s_waitcnt lgkmcnt(0)
	s_and_saveexec_b64 s[0:1], vcc
	s_cbranch_execz .LBB163_33
; %bb.32:
	ds_read2_b64 v[5:8], v15 offset1:20
	s_waitcnt lgkmcnt(0)
	v_add_f32_e32 v5, v7, v5
	v_add_f32_e32 v6, v8, v6
.LBB163_33:
	s_or_b64 exec, exec, s[0:1]
	v_mov_b32_e32 v8, v6
	v_mov_b32_e32 v7, v5
.LBB163_34:
	v_cmp_gt_u32_e32 vcc, 20, v0
	s_and_b64 exec, exec, vcc
	s_cbranch_execz .LBB163_39
; %bb.35:
	v_cmp_eq_f32_e32 vcc, 0, v1
	v_cmp_eq_f32_e64 s[0:1], 0, v2
	v_mul_f32_e64 v5, v8, -v4
	v_mul_f32_e32 v6, v3, v8
	s_and_b64 s[0:1], vcc, s[0:1]
	v_fmac_f32_e32 v5, v3, v7
	v_fmac_f32_e32 v6, v4, v7
	s_mul_i32 s2, s7, 0xa0
	s_mul_hi_u32 s3, s6, 0xa0
	s_mul_i32 s4, s6, 0xa0
	s_and_saveexec_b64 s[6:7], s[0:1]
	s_xor_b64 s[0:1], exec, s[6:7]
	s_cbranch_execz .LBB163_37
; %bb.36:
	s_add_i32 s5, s3, s2
	s_add_u32 s6, s12, s4
	s_addc_u32 s7, s13, s5
	global_store_dwordx2 v15, v[5:6], s[6:7]
                                        ; implicit-def: $vgpr15
                                        ; implicit-def: $vgpr1_vgpr2
                                        ; implicit-def: $vgpr5
.LBB163_37:
	s_andn2_saveexec_b64 s[0:1], s[0:1]
	s_cbranch_execz .LBB163_39
; %bb.38:
	s_add_i32 s3, s3, s2
	s_add_u32 s0, s12, s4
	s_addc_u32 s1, s13, s3
	global_load_dwordx2 v[3:4], v15, s[0:1]
	s_waitcnt vmcnt(0)
	v_fmac_f32_e32 v5, v1, v3
	v_fmac_f32_e32 v6, v2, v3
	v_fma_f32 v5, -v2, v4, v5
	v_fmac_f32_e32 v6, v1, v4
	global_store_dwordx2 v15, v[5:6], s[0:1]
.LBB163_39:
	s_endpgm
	.section	.rodata,"a",@progbits
	.p2align	6, 0x0
	.amdhsa_kernel _ZN9rocsparseL20bsrxmvn_17_32_kernelILj20E21rocsparse_complex_numIfEllS2_S2_S2_EEvT2_20rocsparse_direction_NS_24const_host_device_scalarIT0_EES3_PKS3_PKT1_SC_S9_PKT3_PKT4_S7_PT5_21rocsparse_index_base_b
		.amdhsa_group_segment_fixed_size 3200
		.amdhsa_private_segment_fixed_size 0
		.amdhsa_kernarg_size 104
		.amdhsa_user_sgpr_count 6
		.amdhsa_user_sgpr_private_segment_buffer 1
		.amdhsa_user_sgpr_dispatch_ptr 0
		.amdhsa_user_sgpr_queue_ptr 0
		.amdhsa_user_sgpr_kernarg_segment_ptr 1
		.amdhsa_user_sgpr_dispatch_id 0
		.amdhsa_user_sgpr_flat_scratch_init 0
		.amdhsa_user_sgpr_private_segment_size 0
		.amdhsa_uses_dynamic_stack 0
		.amdhsa_system_sgpr_private_segment_wavefront_offset 0
		.amdhsa_system_sgpr_workgroup_id_x 1
		.amdhsa_system_sgpr_workgroup_id_y 0
		.amdhsa_system_sgpr_workgroup_id_z 0
		.amdhsa_system_sgpr_workgroup_info 0
		.amdhsa_system_vgpr_workitem_id 0
		.amdhsa_next_free_vgpr 25
		.amdhsa_next_free_sgpr 61
		.amdhsa_reserve_vcc 1
		.amdhsa_reserve_flat_scratch 0
		.amdhsa_float_round_mode_32 0
		.amdhsa_float_round_mode_16_64 0
		.amdhsa_float_denorm_mode_32 3
		.amdhsa_float_denorm_mode_16_64 3
		.amdhsa_dx10_clamp 1
		.amdhsa_ieee_mode 1
		.amdhsa_fp16_overflow 0
		.amdhsa_exception_fp_ieee_invalid_op 0
		.amdhsa_exception_fp_denorm_src 0
		.amdhsa_exception_fp_ieee_div_zero 0
		.amdhsa_exception_fp_ieee_overflow 0
		.amdhsa_exception_fp_ieee_underflow 0
		.amdhsa_exception_fp_ieee_inexact 0
		.amdhsa_exception_int_div_zero 0
	.end_amdhsa_kernel
	.section	.text._ZN9rocsparseL20bsrxmvn_17_32_kernelILj20E21rocsparse_complex_numIfEllS2_S2_S2_EEvT2_20rocsparse_direction_NS_24const_host_device_scalarIT0_EES3_PKS3_PKT1_SC_S9_PKT3_PKT4_S7_PT5_21rocsparse_index_base_b,"axG",@progbits,_ZN9rocsparseL20bsrxmvn_17_32_kernelILj20E21rocsparse_complex_numIfEllS2_S2_S2_EEvT2_20rocsparse_direction_NS_24const_host_device_scalarIT0_EES3_PKS3_PKT1_SC_S9_PKT3_PKT4_S7_PT5_21rocsparse_index_base_b,comdat
.Lfunc_end163:
	.size	_ZN9rocsparseL20bsrxmvn_17_32_kernelILj20E21rocsparse_complex_numIfEllS2_S2_S2_EEvT2_20rocsparse_direction_NS_24const_host_device_scalarIT0_EES3_PKS3_PKT1_SC_S9_PKT3_PKT4_S7_PT5_21rocsparse_index_base_b, .Lfunc_end163-_ZN9rocsparseL20bsrxmvn_17_32_kernelILj20E21rocsparse_complex_numIfEllS2_S2_S2_EEvT2_20rocsparse_direction_NS_24const_host_device_scalarIT0_EES3_PKS3_PKT1_SC_S9_PKT3_PKT4_S7_PT5_21rocsparse_index_base_b
                                        ; -- End function
	.set _ZN9rocsparseL20bsrxmvn_17_32_kernelILj20E21rocsparse_complex_numIfEllS2_S2_S2_EEvT2_20rocsparse_direction_NS_24const_host_device_scalarIT0_EES3_PKS3_PKT1_SC_S9_PKT3_PKT4_S7_PT5_21rocsparse_index_base_b.num_vgpr, 22
	.set _ZN9rocsparseL20bsrxmvn_17_32_kernelILj20E21rocsparse_complex_numIfEllS2_S2_S2_EEvT2_20rocsparse_direction_NS_24const_host_device_scalarIT0_EES3_PKS3_PKT1_SC_S9_PKT3_PKT4_S7_PT5_21rocsparse_index_base_b.num_agpr, 0
	.set _ZN9rocsparseL20bsrxmvn_17_32_kernelILj20E21rocsparse_complex_numIfEllS2_S2_S2_EEvT2_20rocsparse_direction_NS_24const_host_device_scalarIT0_EES3_PKS3_PKT1_SC_S9_PKT3_PKT4_S7_PT5_21rocsparse_index_base_b.numbered_sgpr, 22
	.set _ZN9rocsparseL20bsrxmvn_17_32_kernelILj20E21rocsparse_complex_numIfEllS2_S2_S2_EEvT2_20rocsparse_direction_NS_24const_host_device_scalarIT0_EES3_PKS3_PKT1_SC_S9_PKT3_PKT4_S7_PT5_21rocsparse_index_base_b.num_named_barrier, 0
	.set _ZN9rocsparseL20bsrxmvn_17_32_kernelILj20E21rocsparse_complex_numIfEllS2_S2_S2_EEvT2_20rocsparse_direction_NS_24const_host_device_scalarIT0_EES3_PKS3_PKT1_SC_S9_PKT3_PKT4_S7_PT5_21rocsparse_index_base_b.private_seg_size, 0
	.set _ZN9rocsparseL20bsrxmvn_17_32_kernelILj20E21rocsparse_complex_numIfEllS2_S2_S2_EEvT2_20rocsparse_direction_NS_24const_host_device_scalarIT0_EES3_PKS3_PKT1_SC_S9_PKT3_PKT4_S7_PT5_21rocsparse_index_base_b.uses_vcc, 1
	.set _ZN9rocsparseL20bsrxmvn_17_32_kernelILj20E21rocsparse_complex_numIfEllS2_S2_S2_EEvT2_20rocsparse_direction_NS_24const_host_device_scalarIT0_EES3_PKS3_PKT1_SC_S9_PKT3_PKT4_S7_PT5_21rocsparse_index_base_b.uses_flat_scratch, 0
	.set _ZN9rocsparseL20bsrxmvn_17_32_kernelILj20E21rocsparse_complex_numIfEllS2_S2_S2_EEvT2_20rocsparse_direction_NS_24const_host_device_scalarIT0_EES3_PKS3_PKT1_SC_S9_PKT3_PKT4_S7_PT5_21rocsparse_index_base_b.has_dyn_sized_stack, 0
	.set _ZN9rocsparseL20bsrxmvn_17_32_kernelILj20E21rocsparse_complex_numIfEllS2_S2_S2_EEvT2_20rocsparse_direction_NS_24const_host_device_scalarIT0_EES3_PKS3_PKT1_SC_S9_PKT3_PKT4_S7_PT5_21rocsparse_index_base_b.has_recursion, 0
	.set _ZN9rocsparseL20bsrxmvn_17_32_kernelILj20E21rocsparse_complex_numIfEllS2_S2_S2_EEvT2_20rocsparse_direction_NS_24const_host_device_scalarIT0_EES3_PKS3_PKT1_SC_S9_PKT3_PKT4_S7_PT5_21rocsparse_index_base_b.has_indirect_call, 0
	.section	.AMDGPU.csdata,"",@progbits
; Kernel info:
; codeLenInByte = 1472
; TotalNumSgprs: 26
; NumVgprs: 22
; ScratchSize: 0
; MemoryBound: 0
; FloatMode: 240
; IeeeMode: 1
; LDSByteSize: 3200 bytes/workgroup (compile time only)
; SGPRBlocks: 8
; VGPRBlocks: 6
; NumSGPRsForWavesPerEU: 65
; NumVGPRsForWavesPerEU: 25
; Occupancy: 9
; WaveLimiterHint : 1
; COMPUTE_PGM_RSRC2:SCRATCH_EN: 0
; COMPUTE_PGM_RSRC2:USER_SGPR: 6
; COMPUTE_PGM_RSRC2:TRAP_HANDLER: 0
; COMPUTE_PGM_RSRC2:TGID_X_EN: 1
; COMPUTE_PGM_RSRC2:TGID_Y_EN: 0
; COMPUTE_PGM_RSRC2:TGID_Z_EN: 0
; COMPUTE_PGM_RSRC2:TIDIG_COMP_CNT: 0
	.section	.text._ZN9rocsparseL20bsrxmvn_17_32_kernelILj21E21rocsparse_complex_numIfEllS2_S2_S2_EEvT2_20rocsparse_direction_NS_24const_host_device_scalarIT0_EES3_PKS3_PKT1_SC_S9_PKT3_PKT4_S7_PT5_21rocsparse_index_base_b,"axG",@progbits,_ZN9rocsparseL20bsrxmvn_17_32_kernelILj21E21rocsparse_complex_numIfEllS2_S2_S2_EEvT2_20rocsparse_direction_NS_24const_host_device_scalarIT0_EES3_PKS3_PKT1_SC_S9_PKT3_PKT4_S7_PT5_21rocsparse_index_base_b,comdat
	.globl	_ZN9rocsparseL20bsrxmvn_17_32_kernelILj21E21rocsparse_complex_numIfEllS2_S2_S2_EEvT2_20rocsparse_direction_NS_24const_host_device_scalarIT0_EES3_PKS3_PKT1_SC_S9_PKT3_PKT4_S7_PT5_21rocsparse_index_base_b ; -- Begin function _ZN9rocsparseL20bsrxmvn_17_32_kernelILj21E21rocsparse_complex_numIfEllS2_S2_S2_EEvT2_20rocsparse_direction_NS_24const_host_device_scalarIT0_EES3_PKS3_PKT1_SC_S9_PKT3_PKT4_S7_PT5_21rocsparse_index_base_b
	.p2align	8
	.type	_ZN9rocsparseL20bsrxmvn_17_32_kernelILj21E21rocsparse_complex_numIfEllS2_S2_S2_EEvT2_20rocsparse_direction_NS_24const_host_device_scalarIT0_EES3_PKS3_PKT1_SC_S9_PKT3_PKT4_S7_PT5_21rocsparse_index_base_b,@function
_ZN9rocsparseL20bsrxmvn_17_32_kernelILj21E21rocsparse_complex_numIfEllS2_S2_S2_EEvT2_20rocsparse_direction_NS_24const_host_device_scalarIT0_EES3_PKS3_PKT1_SC_S9_PKT3_PKT4_S7_PT5_21rocsparse_index_base_b: ; @_ZN9rocsparseL20bsrxmvn_17_32_kernelILj21E21rocsparse_complex_numIfEllS2_S2_S2_EEvT2_20rocsparse_direction_NS_24const_host_device_scalarIT0_EES3_PKS3_PKT1_SC_S9_PKT3_PKT4_S7_PT5_21rocsparse_index_base_b
; %bb.0:
	s_load_dwordx2 s[0:1], s[4:5], 0x10
	s_load_dwordx2 s[14:15], s[4:5], 0x60
	s_add_u32 s7, s4, 16
	s_addc_u32 s8, s5, 0
	s_add_u32 s9, s4, 0x50
	s_load_dwordx2 s[2:3], s[4:5], 0x50
	s_addc_u32 s10, s5, 0
	s_waitcnt lgkmcnt(0)
	s_bitcmp1_b32 s15, 0
	s_cselect_b32 s1, s8, s1
	s_cselect_b32 s0, s7, s0
	v_mov_b32_e32 v1, s0
	v_mov_b32_e32 v2, s1
	flat_load_dwordx2 v[3:4], v[1:2]
	s_cselect_b32 s0, s10, s3
	s_cselect_b32 s1, s9, s2
	v_mov_b32_e32 v1, s1
	v_mov_b32_e32 v2, s0
	flat_load_dwordx2 v[1:2], v[1:2]
	s_waitcnt vmcnt(0) lgkmcnt(0)
	v_cmp_eq_f32_e32 vcc, 0, v3
	v_cmp_eq_f32_e64 s[0:1], 0, v4
	s_and_b64 s[8:9], vcc, s[0:1]
	s_mov_b64 s[0:1], -1
	s_and_saveexec_b64 s[2:3], s[8:9]
; %bb.1:
	v_cmp_neq_f32_e32 vcc, 1.0, v1
	v_cmp_neq_f32_e64 s[0:1], 0, v2
	s_or_b64 s[0:1], vcc, s[0:1]
	s_orn2_b64 s[0:1], s[0:1], exec
; %bb.2:
	s_or_b64 exec, exec, s[2:3]
	s_and_saveexec_b64 s[2:3], s[0:1]
	s_cbranch_execz .LBB164_39
; %bb.3:
	s_load_dwordx4 s[0:3], s[4:5], 0x20
	s_load_dwordx2 s[8:9], s[4:5], 0x30
	s_mov_b32 s7, 0
	s_waitcnt lgkmcnt(0)
	s_cmp_eq_u64 s[0:1], 0
	s_cbranch_scc1 .LBB164_5
; %bb.4:
	s_lshl_b64 s[6:7], s[6:7], 3
	s_add_u32 s0, s0, s6
	s_addc_u32 s1, s1, s7
	s_load_dwordx2 s[0:1], s[0:1], 0x0
	s_waitcnt lgkmcnt(0)
	s_sub_u32 s6, s0, s14
	s_subb_u32 s7, s1, 0
.LBB164_5:
	s_load_dword s10, s[4:5], 0x8
	s_load_dwordx2 s[12:13], s[4:5], 0x58
	v_mul_u32_u24_e32 v7, 0xc31, v0
	v_mov_b32_e32 v5, 21
	v_mul_lo_u16_sdwa v5, v7, v5 dst_sel:DWORD dst_unused:UNUSED_PAD src0_sel:WORD_1 src1_sel:DWORD
	s_waitcnt lgkmcnt(0)
	s_cmp_eq_u32 s10, 1
	s_cselect_b64 s[0:1], -1, 0
	s_cmp_lg_u32 s10, 1
	s_cselect_b64 s[16:17], -1, 0
	s_lshl_b64 s[10:11], s[6:7], 3
	s_add_u32 s20, s2, s10
	s_addc_u32 s21, s3, s11
	s_add_u32 s2, s20, 8
	s_addc_u32 s3, s21, 0
	;; [unrolled: 2-line block ×3, first 2 shown]
	s_cmp_eq_u64 s[8:9], 0
	s_cselect_b32 s9, s3, s11
	s_cselect_b32 s8, s2, s10
	s_load_dwordx2 s[2:3], s[8:9], 0x0
	s_load_dwordx2 s[18:19], s[20:21], 0x0
	v_sub_u16_e32 v16, v0, v5
	v_lshlrev_b32_e32 v15, 3, v0
	s_waitcnt lgkmcnt(0)
	v_mov_b32_e32 v6, s3
	v_mov_b32_e32 v5, s2
	v_cmp_ge_i64_e32 vcc, s[18:19], v[5:6]
	v_mov_b32_e32 v6, 0
	v_mov_b32_e32 v5, 0
	s_cbranch_vccnz .LBB164_10
; %bb.6:
	v_mov_b32_e32 v5, 25
	v_mul_lo_u16_sdwa v5, v7, v5 dst_sel:DWORD dst_unused:UNUSED_PAD src0_sel:WORD_1 src1_sel:DWORD
	v_lshrrev_b16_e32 v5, 9, v5
	s_sub_u32 s2, s2, s14
	s_load_dwordx4 s[8:11], s[4:5], 0x38
	s_load_dwordx2 s[20:21], s[4:5], 0x48
	v_mul_lo_u16_e32 v5, 21, v5
	s_subb_u32 s3, s3, 0
	v_sub_u16_sdwa v5, v7, v5 dst_sel:DWORD dst_unused:UNUSED_PAD src0_sel:WORD_1 src1_sel:DWORD
	s_sub_u32 s4, s18, s14
	v_and_b32_e32 v5, 0xff, v5
	s_subb_u32 s5, s19, 0
	v_cndmask_b32_e64 v5, v16, v5, s[0:1]
	s_mul_i32 s0, s5, 0xdc8
	s_mul_hi_u32 s1, s4, 0xdc8
	v_lshlrev_b32_e32 v5, 3, v5
	s_add_i32 s1, s1, s0
	s_mul_i32 s0, s4, 0xdc8
	s_waitcnt lgkmcnt(0)
	v_mov_b32_e32 v8, s21
	v_add_co_u32_e32 v7, vcc, s20, v5
	s_add_u32 s0, s10, s0
	v_addc_co_u32_e32 v8, vcc, 0, v8, vcc
	s_addc_u32 s1, s11, s1
	v_mov_b32_e32 v5, s1
	v_add_co_u32_e32 v9, vcc, s0, v15
	s_movk_i32 s0, 0x253
	v_addc_co_u32_e32 v10, vcc, 0, v5, vcc
	v_mul_u32_u24_sdwa v5, v0, s0 dst_sel:DWORD dst_unused:UNUSED_PAD src0_sel:WORD_0 src1_sel:DWORD
	v_lshrrev_b32_e32 v17, 18, v5
	v_mov_b32_e32 v5, s19
	v_add_co_u32_e32 v11, vcc, s18, v17
	v_addc_co_u32_e32 v5, vcc, 0, v5, vcc
	v_subrev_co_u32_e32 v11, vcc, s14, v11
	v_subbrev_co_u32_e32 v12, vcc, 0, v5, vcc
	v_lshlrev_b64 v[11:12], 3, v[11:12]
	v_mov_b32_e32 v6, 0
	v_mov_b32_e32 v5, s9
	v_add_co_u32_e32 v11, vcc, s8, v11
	v_mov_b32_e32 v14, s3
	v_addc_co_u32_e32 v12, vcc, v5, v12, vcc
	s_movk_i32 s8, 0xa8
	v_mov_b32_e32 v13, s2
	v_mov_b32_e32 v5, v6
	s_branch .LBB164_8
.LBB164_7:                              ;   in Loop: Header=BB164_8 Depth=1
	s_or_b64 exec, exec, s[0:1]
	s_add_u32 s4, s4, 1
	s_addc_u32 s5, s5, 0
	v_cmp_lt_i64_e32 vcc, s[4:5], v[13:14]
	v_add_co_u32_e64 v11, s[0:1], 8, v11
	v_addc_co_u32_e64 v12, s[0:1], 0, v12, s[0:1]
	s_cbranch_vccz .LBB164_10
.LBB164_8:                              ; =>This Inner Loop Header: Depth=1
	v_mov_b32_e32 v19, s5
	v_add_co_u32_e32 v18, vcc, s4, v17
	v_addc_co_u32_e32 v19, vcc, 0, v19, vcc
	v_cmp_gt_i64_e32 vcc, s[2:3], v[18:19]
	s_and_saveexec_b64 s[0:1], vcc
	s_cbranch_execz .LBB164_7
; %bb.9:                                ;   in Loop: Header=BB164_8 Depth=1
	global_load_dwordx2 v[18:19], v[11:12], off
	s_waitcnt vmcnt(0)
	v_subrev_co_u32_e32 v18, vcc, s14, v18
	v_subbrev_co_u32_e32 v20, vcc, 0, v19, vcc
	v_mad_u64_u32 v[18:19], s[10:11], v18, s8, v[7:8]
	v_mad_u64_u32 v[19:20], s[10:11], v20, s8, v[19:20]
	global_load_dwordx2 v[20:21], v[9:10], off
	s_nop 0
	global_load_dwordx2 v[18:19], v[18:19], off
	v_add_co_u32_e32 v9, vcc, 0xdc8, v9
	v_addc_co_u32_e32 v10, vcc, 0, v10, vcc
	s_waitcnt vmcnt(0)
	v_fmac_f32_e32 v5, v20, v18
	v_fmac_f32_e32 v6, v21, v18
	v_fma_f32 v5, -v21, v19, v5
	v_fmac_f32_e32 v6, v20, v19
	s_branch .LBB164_7
.LBB164_10:
	s_and_b64 vcc, exec, s[16:17]
	ds_write_b64 v15, v[5:6]
	s_waitcnt lgkmcnt(0)
	s_barrier
	s_cbranch_vccz .LBB164_22
; %bb.11:
	v_cmp_gt_u16_e32 vcc, 5, v16
	s_and_saveexec_b64 s[0:1], vcc
	s_cbranch_execz .LBB164_13
; %bb.12:
	ds_read2_b64 v[7:10], v15 offset1:16
	s_waitcnt lgkmcnt(0)
	v_add_f32_e32 v7, v9, v7
	v_add_f32_e32 v8, v10, v8
	ds_write_b64 v15, v[7:8]
.LBB164_13:
	s_or_b64 exec, exec, s[0:1]
	v_cmp_gt_u16_e32 vcc, 8, v16
	s_waitcnt lgkmcnt(0)
	s_barrier
	s_and_saveexec_b64 s[0:1], vcc
	s_cbranch_execz .LBB164_15
; %bb.14:
	ds_read2_b64 v[7:10], v15 offset1:8
	s_waitcnt lgkmcnt(0)
	v_add_f32_e32 v7, v9, v7
	v_add_f32_e32 v8, v10, v8
	ds_write_b64 v15, v[7:8]
.LBB164_15:
	s_or_b64 exec, exec, s[0:1]
	v_cmp_gt_u16_e32 vcc, 4, v16
	s_waitcnt lgkmcnt(0)
	s_barrier
	;; [unrolled: 13-line block ×3, first 2 shown]
	s_and_saveexec_b64 s[0:1], vcc
	s_cbranch_execz .LBB164_19
; %bb.18:
	ds_read2_b64 v[7:10], v15 offset1:2
	s_waitcnt lgkmcnt(0)
	v_add_f32_e32 v7, v9, v7
	v_add_f32_e32 v8, v10, v8
	ds_write_b64 v15, v[7:8]
.LBB164_19:
	s_or_b64 exec, exec, s[0:1]
	v_cmp_gt_u32_e32 vcc, 21, v0
	v_mov_b32_e32 v8, v6
	v_mov_b32_e32 v7, v5
	s_waitcnt lgkmcnt(0)
	s_barrier
	s_and_saveexec_b64 s[0:1], vcc
	s_cbranch_execz .LBB164_21
; %bb.20:
	s_movk_i32 s2, 0xa0
	v_mad_u32_u24 v7, v0, s2, v15
	ds_read2_b64 v[7:10], v7 offset1:1
	s_waitcnt lgkmcnt(0)
	v_add_f32_e32 v7, v9, v7
	v_add_f32_e32 v8, v10, v8
.LBB164_21:
	s_or_b64 exec, exec, s[0:1]
	s_branch .LBB164_34
.LBB164_22:
                                        ; implicit-def: $vgpr8
                                        ; implicit-def: $vgpr7
	s_cbranch_execz .LBB164_34
; %bb.23:
	s_movk_i32 s0, 0x69
	v_cmp_gt_u32_e32 vcc, s0, v0
	s_and_saveexec_b64 s[0:1], vcc
	s_cbranch_execz .LBB164_25
; %bb.24:
	ds_read_b64 v[7:8], v15 offset:2688
	ds_read_b64 v[9:10], v15
	s_waitcnt lgkmcnt(0)
	v_add_f32_e32 v7, v7, v9
	v_add_f32_e32 v8, v8, v10
	ds_write_b64 v15, v[7:8]
.LBB164_25:
	s_or_b64 exec, exec, s[0:1]
	s_movk_i32 s0, 0xa8
	v_cmp_gt_u32_e32 vcc, s0, v0
	s_waitcnt lgkmcnt(0)
	s_barrier
	s_and_saveexec_b64 s[0:1], vcc
	s_cbranch_execz .LBB164_27
; %bb.26:
	ds_read2_b64 v[7:10], v15 offset1:168
	s_waitcnt lgkmcnt(0)
	v_add_f32_e32 v7, v9, v7
	v_add_f32_e32 v8, v10, v8
	ds_write_b64 v15, v[7:8]
.LBB164_27:
	s_or_b64 exec, exec, s[0:1]
	s_movk_i32 s0, 0x54
	v_cmp_gt_u32_e32 vcc, s0, v0
	s_waitcnt lgkmcnt(0)
	s_barrier
	s_and_saveexec_b64 s[0:1], vcc
	s_cbranch_execz .LBB164_29
; %bb.28:
	ds_read2_b64 v[7:10], v15 offset1:84
	s_waitcnt lgkmcnt(0)
	v_add_f32_e32 v7, v9, v7
	v_add_f32_e32 v8, v10, v8
	ds_write_b64 v15, v[7:8]
.LBB164_29:
	s_or_b64 exec, exec, s[0:1]
	v_cmp_gt_u32_e32 vcc, 42, v0
	s_waitcnt lgkmcnt(0)
	s_barrier
	s_and_saveexec_b64 s[0:1], vcc
	s_cbranch_execz .LBB164_31
; %bb.30:
	ds_read2_b64 v[7:10], v15 offset1:42
	s_waitcnt lgkmcnt(0)
	v_add_f32_e32 v7, v9, v7
	v_add_f32_e32 v8, v10, v8
	ds_write_b64 v15, v[7:8]
.LBB164_31:
	s_or_b64 exec, exec, s[0:1]
	v_cmp_gt_u32_e32 vcc, 21, v0
	s_waitcnt lgkmcnt(0)
	s_and_saveexec_b64 s[0:1], vcc
	s_cbranch_execz .LBB164_33
; %bb.32:
	ds_read2_b64 v[5:8], v15 offset1:21
	s_waitcnt lgkmcnt(0)
	v_add_f32_e32 v5, v7, v5
	v_add_f32_e32 v6, v8, v6
.LBB164_33:
	s_or_b64 exec, exec, s[0:1]
	v_mov_b32_e32 v8, v6
	v_mov_b32_e32 v7, v5
.LBB164_34:
	v_cmp_gt_u32_e32 vcc, 21, v0
	s_and_b64 exec, exec, vcc
	s_cbranch_execz .LBB164_39
; %bb.35:
	v_cmp_eq_f32_e32 vcc, 0, v1
	v_cmp_eq_f32_e64 s[0:1], 0, v2
	v_mul_f32_e64 v5, v8, -v4
	v_mul_f32_e32 v6, v3, v8
	s_and_b64 s[0:1], vcc, s[0:1]
	v_fmac_f32_e32 v5, v3, v7
	v_fmac_f32_e32 v6, v4, v7
	s_mul_i32 s2, s7, 0xa8
	s_mul_hi_u32 s3, s6, 0xa8
	s_mul_i32 s4, s6, 0xa8
	s_and_saveexec_b64 s[6:7], s[0:1]
	s_xor_b64 s[0:1], exec, s[6:7]
	s_cbranch_execz .LBB164_37
; %bb.36:
	s_add_i32 s5, s3, s2
	s_add_u32 s6, s12, s4
	s_addc_u32 s7, s13, s5
	global_store_dwordx2 v15, v[5:6], s[6:7]
                                        ; implicit-def: $vgpr15
                                        ; implicit-def: $vgpr1_vgpr2
                                        ; implicit-def: $vgpr5
.LBB164_37:
	s_andn2_saveexec_b64 s[0:1], s[0:1]
	s_cbranch_execz .LBB164_39
; %bb.38:
	s_add_i32 s3, s3, s2
	s_add_u32 s0, s12, s4
	s_addc_u32 s1, s13, s3
	global_load_dwordx2 v[3:4], v15, s[0:1]
	s_waitcnt vmcnt(0)
	v_fmac_f32_e32 v5, v1, v3
	v_fmac_f32_e32 v6, v2, v3
	v_fma_f32 v5, -v2, v4, v5
	v_fmac_f32_e32 v6, v1, v4
	global_store_dwordx2 v15, v[5:6], s[0:1]
.LBB164_39:
	s_endpgm
	.section	.rodata,"a",@progbits
	.p2align	6, 0x0
	.amdhsa_kernel _ZN9rocsparseL20bsrxmvn_17_32_kernelILj21E21rocsparse_complex_numIfEllS2_S2_S2_EEvT2_20rocsparse_direction_NS_24const_host_device_scalarIT0_EES3_PKS3_PKT1_SC_S9_PKT3_PKT4_S7_PT5_21rocsparse_index_base_b
		.amdhsa_group_segment_fixed_size 3528
		.amdhsa_private_segment_fixed_size 0
		.amdhsa_kernarg_size 104
		.amdhsa_user_sgpr_count 6
		.amdhsa_user_sgpr_private_segment_buffer 1
		.amdhsa_user_sgpr_dispatch_ptr 0
		.amdhsa_user_sgpr_queue_ptr 0
		.amdhsa_user_sgpr_kernarg_segment_ptr 1
		.amdhsa_user_sgpr_dispatch_id 0
		.amdhsa_user_sgpr_flat_scratch_init 0
		.amdhsa_user_sgpr_private_segment_size 0
		.amdhsa_uses_dynamic_stack 0
		.amdhsa_system_sgpr_private_segment_wavefront_offset 0
		.amdhsa_system_sgpr_workgroup_id_x 1
		.amdhsa_system_sgpr_workgroup_id_y 0
		.amdhsa_system_sgpr_workgroup_id_z 0
		.amdhsa_system_sgpr_workgroup_info 0
		.amdhsa_system_vgpr_workitem_id 0
		.amdhsa_next_free_vgpr 25
		.amdhsa_next_free_sgpr 61
		.amdhsa_reserve_vcc 1
		.amdhsa_reserve_flat_scratch 0
		.amdhsa_float_round_mode_32 0
		.amdhsa_float_round_mode_16_64 0
		.amdhsa_float_denorm_mode_32 3
		.amdhsa_float_denorm_mode_16_64 3
		.amdhsa_dx10_clamp 1
		.amdhsa_ieee_mode 1
		.amdhsa_fp16_overflow 0
		.amdhsa_exception_fp_ieee_invalid_op 0
		.amdhsa_exception_fp_denorm_src 0
		.amdhsa_exception_fp_ieee_div_zero 0
		.amdhsa_exception_fp_ieee_overflow 0
		.amdhsa_exception_fp_ieee_underflow 0
		.amdhsa_exception_fp_ieee_inexact 0
		.amdhsa_exception_int_div_zero 0
	.end_amdhsa_kernel
	.section	.text._ZN9rocsparseL20bsrxmvn_17_32_kernelILj21E21rocsparse_complex_numIfEllS2_S2_S2_EEvT2_20rocsparse_direction_NS_24const_host_device_scalarIT0_EES3_PKS3_PKT1_SC_S9_PKT3_PKT4_S7_PT5_21rocsparse_index_base_b,"axG",@progbits,_ZN9rocsparseL20bsrxmvn_17_32_kernelILj21E21rocsparse_complex_numIfEllS2_S2_S2_EEvT2_20rocsparse_direction_NS_24const_host_device_scalarIT0_EES3_PKS3_PKT1_SC_S9_PKT3_PKT4_S7_PT5_21rocsparse_index_base_b,comdat
.Lfunc_end164:
	.size	_ZN9rocsparseL20bsrxmvn_17_32_kernelILj21E21rocsparse_complex_numIfEllS2_S2_S2_EEvT2_20rocsparse_direction_NS_24const_host_device_scalarIT0_EES3_PKS3_PKT1_SC_S9_PKT3_PKT4_S7_PT5_21rocsparse_index_base_b, .Lfunc_end164-_ZN9rocsparseL20bsrxmvn_17_32_kernelILj21E21rocsparse_complex_numIfEllS2_S2_S2_EEvT2_20rocsparse_direction_NS_24const_host_device_scalarIT0_EES3_PKS3_PKT1_SC_S9_PKT3_PKT4_S7_PT5_21rocsparse_index_base_b
                                        ; -- End function
	.set _ZN9rocsparseL20bsrxmvn_17_32_kernelILj21E21rocsparse_complex_numIfEllS2_S2_S2_EEvT2_20rocsparse_direction_NS_24const_host_device_scalarIT0_EES3_PKS3_PKT1_SC_S9_PKT3_PKT4_S7_PT5_21rocsparse_index_base_b.num_vgpr, 22
	.set _ZN9rocsparseL20bsrxmvn_17_32_kernelILj21E21rocsparse_complex_numIfEllS2_S2_S2_EEvT2_20rocsparse_direction_NS_24const_host_device_scalarIT0_EES3_PKS3_PKT1_SC_S9_PKT3_PKT4_S7_PT5_21rocsparse_index_base_b.num_agpr, 0
	.set _ZN9rocsparseL20bsrxmvn_17_32_kernelILj21E21rocsparse_complex_numIfEllS2_S2_S2_EEvT2_20rocsparse_direction_NS_24const_host_device_scalarIT0_EES3_PKS3_PKT1_SC_S9_PKT3_PKT4_S7_PT5_21rocsparse_index_base_b.numbered_sgpr, 22
	.set _ZN9rocsparseL20bsrxmvn_17_32_kernelILj21E21rocsparse_complex_numIfEllS2_S2_S2_EEvT2_20rocsparse_direction_NS_24const_host_device_scalarIT0_EES3_PKS3_PKT1_SC_S9_PKT3_PKT4_S7_PT5_21rocsparse_index_base_b.num_named_barrier, 0
	.set _ZN9rocsparseL20bsrxmvn_17_32_kernelILj21E21rocsparse_complex_numIfEllS2_S2_S2_EEvT2_20rocsparse_direction_NS_24const_host_device_scalarIT0_EES3_PKS3_PKT1_SC_S9_PKT3_PKT4_S7_PT5_21rocsparse_index_base_b.private_seg_size, 0
	.set _ZN9rocsparseL20bsrxmvn_17_32_kernelILj21E21rocsparse_complex_numIfEllS2_S2_S2_EEvT2_20rocsparse_direction_NS_24const_host_device_scalarIT0_EES3_PKS3_PKT1_SC_S9_PKT3_PKT4_S7_PT5_21rocsparse_index_base_b.uses_vcc, 1
	.set _ZN9rocsparseL20bsrxmvn_17_32_kernelILj21E21rocsparse_complex_numIfEllS2_S2_S2_EEvT2_20rocsparse_direction_NS_24const_host_device_scalarIT0_EES3_PKS3_PKT1_SC_S9_PKT3_PKT4_S7_PT5_21rocsparse_index_base_b.uses_flat_scratch, 0
	.set _ZN9rocsparseL20bsrxmvn_17_32_kernelILj21E21rocsparse_complex_numIfEllS2_S2_S2_EEvT2_20rocsparse_direction_NS_24const_host_device_scalarIT0_EES3_PKS3_PKT1_SC_S9_PKT3_PKT4_S7_PT5_21rocsparse_index_base_b.has_dyn_sized_stack, 0
	.set _ZN9rocsparseL20bsrxmvn_17_32_kernelILj21E21rocsparse_complex_numIfEllS2_S2_S2_EEvT2_20rocsparse_direction_NS_24const_host_device_scalarIT0_EES3_PKS3_PKT1_SC_S9_PKT3_PKT4_S7_PT5_21rocsparse_index_base_b.has_recursion, 0
	.set _ZN9rocsparseL20bsrxmvn_17_32_kernelILj21E21rocsparse_complex_numIfEllS2_S2_S2_EEvT2_20rocsparse_direction_NS_24const_host_device_scalarIT0_EES3_PKS3_PKT1_SC_S9_PKT3_PKT4_S7_PT5_21rocsparse_index_base_b.has_indirect_call, 0
	.section	.AMDGPU.csdata,"",@progbits
; Kernel info:
; codeLenInByte = 1484
; TotalNumSgprs: 26
; NumVgprs: 22
; ScratchSize: 0
; MemoryBound: 0
; FloatMode: 240
; IeeeMode: 1
; LDSByteSize: 3528 bytes/workgroup (compile time only)
; SGPRBlocks: 8
; VGPRBlocks: 6
; NumSGPRsForWavesPerEU: 65
; NumVGPRsForWavesPerEU: 25
; Occupancy: 9
; WaveLimiterHint : 1
; COMPUTE_PGM_RSRC2:SCRATCH_EN: 0
; COMPUTE_PGM_RSRC2:USER_SGPR: 6
; COMPUTE_PGM_RSRC2:TRAP_HANDLER: 0
; COMPUTE_PGM_RSRC2:TGID_X_EN: 1
; COMPUTE_PGM_RSRC2:TGID_Y_EN: 0
; COMPUTE_PGM_RSRC2:TGID_Z_EN: 0
; COMPUTE_PGM_RSRC2:TIDIG_COMP_CNT: 0
	.section	.text._ZN9rocsparseL20bsrxmvn_17_32_kernelILj22E21rocsparse_complex_numIfEllS2_S2_S2_EEvT2_20rocsparse_direction_NS_24const_host_device_scalarIT0_EES3_PKS3_PKT1_SC_S9_PKT3_PKT4_S7_PT5_21rocsparse_index_base_b,"axG",@progbits,_ZN9rocsparseL20bsrxmvn_17_32_kernelILj22E21rocsparse_complex_numIfEllS2_S2_S2_EEvT2_20rocsparse_direction_NS_24const_host_device_scalarIT0_EES3_PKS3_PKT1_SC_S9_PKT3_PKT4_S7_PT5_21rocsparse_index_base_b,comdat
	.globl	_ZN9rocsparseL20bsrxmvn_17_32_kernelILj22E21rocsparse_complex_numIfEllS2_S2_S2_EEvT2_20rocsparse_direction_NS_24const_host_device_scalarIT0_EES3_PKS3_PKT1_SC_S9_PKT3_PKT4_S7_PT5_21rocsparse_index_base_b ; -- Begin function _ZN9rocsparseL20bsrxmvn_17_32_kernelILj22E21rocsparse_complex_numIfEllS2_S2_S2_EEvT2_20rocsparse_direction_NS_24const_host_device_scalarIT0_EES3_PKS3_PKT1_SC_S9_PKT3_PKT4_S7_PT5_21rocsparse_index_base_b
	.p2align	8
	.type	_ZN9rocsparseL20bsrxmvn_17_32_kernelILj22E21rocsparse_complex_numIfEllS2_S2_S2_EEvT2_20rocsparse_direction_NS_24const_host_device_scalarIT0_EES3_PKS3_PKT1_SC_S9_PKT3_PKT4_S7_PT5_21rocsparse_index_base_b,@function
_ZN9rocsparseL20bsrxmvn_17_32_kernelILj22E21rocsparse_complex_numIfEllS2_S2_S2_EEvT2_20rocsparse_direction_NS_24const_host_device_scalarIT0_EES3_PKS3_PKT1_SC_S9_PKT3_PKT4_S7_PT5_21rocsparse_index_base_b: ; @_ZN9rocsparseL20bsrxmvn_17_32_kernelILj22E21rocsparse_complex_numIfEllS2_S2_S2_EEvT2_20rocsparse_direction_NS_24const_host_device_scalarIT0_EES3_PKS3_PKT1_SC_S9_PKT3_PKT4_S7_PT5_21rocsparse_index_base_b
; %bb.0:
	s_load_dwordx2 s[0:1], s[4:5], 0x10
	s_load_dwordx2 s[14:15], s[4:5], 0x60
	s_add_u32 s7, s4, 16
	s_addc_u32 s8, s5, 0
	s_add_u32 s9, s4, 0x50
	s_load_dwordx2 s[2:3], s[4:5], 0x50
	s_addc_u32 s10, s5, 0
	s_waitcnt lgkmcnt(0)
	s_bitcmp1_b32 s15, 0
	s_cselect_b32 s1, s8, s1
	s_cselect_b32 s0, s7, s0
	v_mov_b32_e32 v1, s0
	v_mov_b32_e32 v2, s1
	flat_load_dwordx2 v[3:4], v[1:2]
	s_cselect_b32 s0, s10, s3
	s_cselect_b32 s1, s9, s2
	v_mov_b32_e32 v1, s1
	v_mov_b32_e32 v2, s0
	flat_load_dwordx2 v[1:2], v[1:2]
	s_waitcnt vmcnt(0) lgkmcnt(0)
	v_cmp_eq_f32_e32 vcc, 0, v3
	v_cmp_eq_f32_e64 s[0:1], 0, v4
	s_and_b64 s[8:9], vcc, s[0:1]
	s_mov_b64 s[0:1], -1
	s_and_saveexec_b64 s[2:3], s[8:9]
; %bb.1:
	v_cmp_neq_f32_e32 vcc, 1.0, v1
	v_cmp_neq_f32_e64 s[0:1], 0, v2
	s_or_b64 s[0:1], vcc, s[0:1]
	s_orn2_b64 s[0:1], s[0:1], exec
; %bb.2:
	s_or_b64 exec, exec, s[2:3]
	s_and_saveexec_b64 s[2:3], s[0:1]
	s_cbranch_execz .LBB165_39
; %bb.3:
	s_load_dwordx4 s[0:3], s[4:5], 0x20
	s_load_dwordx2 s[8:9], s[4:5], 0x30
	s_mov_b32 s7, 0
	s_waitcnt lgkmcnt(0)
	s_cmp_eq_u64 s[0:1], 0
	s_cbranch_scc1 .LBB165_5
; %bb.4:
	s_lshl_b64 s[6:7], s[6:7], 3
	s_add_u32 s0, s0, s6
	s_addc_u32 s1, s1, s7
	s_load_dwordx2 s[0:1], s[0:1], 0x0
	s_waitcnt lgkmcnt(0)
	s_sub_u32 s6, s0, s14
	s_subb_u32 s7, s1, 0
.LBB165_5:
	s_load_dword s10, s[4:5], 0x8
	s_load_dwordx2 s[12:13], s[4:5], 0x58
	v_mul_u32_u24_e32 v7, 0xba3, v0
	v_mov_b32_e32 v8, 22
	v_mul_lo_u16_sdwa v5, v7, v8 dst_sel:DWORD dst_unused:UNUSED_PAD src0_sel:WORD_1 src1_sel:DWORD
	s_waitcnt lgkmcnt(0)
	s_cmp_eq_u32 s10, 1
	s_cselect_b64 s[0:1], -1, 0
	s_cmp_lg_u32 s10, 1
	s_cselect_b64 s[16:17], -1, 0
	s_lshl_b64 s[10:11], s[6:7], 3
	s_add_u32 s20, s2, s10
	s_addc_u32 s21, s3, s11
	s_add_u32 s2, s20, 8
	s_addc_u32 s3, s21, 0
	;; [unrolled: 2-line block ×3, first 2 shown]
	s_cmp_eq_u64 s[8:9], 0
	s_cselect_b32 s9, s3, s11
	s_cselect_b32 s8, s2, s10
	s_load_dwordx2 s[2:3], s[8:9], 0x0
	s_load_dwordx2 s[18:19], s[20:21], 0x0
	v_sub_u16_e32 v16, v0, v5
	v_lshlrev_b32_e32 v15, 3, v0
	s_waitcnt lgkmcnt(0)
	v_mov_b32_e32 v6, s3
	v_mov_b32_e32 v5, s2
	v_cmp_ge_i64_e32 vcc, s[18:19], v[5:6]
	v_mov_b32_e32 v6, 0
	v_mov_b32_e32 v5, 0
	s_cbranch_vccnz .LBB165_10
; %bb.6:
	v_mov_b32_e32 v5, 12
	v_mul_lo_u16_sdwa v5, v7, v5 dst_sel:DWORD dst_unused:UNUSED_PAD src0_sel:WORD_1 src1_sel:DWORD
	s_sub_u32 s2, s2, s14
	s_load_dwordx4 s[8:11], s[4:5], 0x38
	s_load_dwordx2 s[20:21], s[4:5], 0x48
	v_mul_lo_u16_sdwa v5, v5, v8 dst_sel:DWORD dst_unused:UNUSED_PAD src0_sel:BYTE_1 src1_sel:DWORD
	s_subb_u32 s3, s3, 0
	v_sub_u16_sdwa v5, v7, v5 dst_sel:DWORD dst_unused:UNUSED_PAD src0_sel:WORD_1 src1_sel:DWORD
	s_sub_u32 s4, s18, s14
	v_and_b32_e32 v5, 0xff, v5
	s_subb_u32 s5, s19, 0
	v_cndmask_b32_e64 v5, v16, v5, s[0:1]
	s_mul_i32 s0, s5, 0xf20
	s_mul_hi_u32 s1, s4, 0xf20
	v_lshlrev_b32_e32 v5, 3, v5
	s_add_i32 s1, s1, s0
	s_mul_i32 s0, s4, 0xf20
	s_waitcnt lgkmcnt(0)
	v_mov_b32_e32 v8, s21
	v_add_co_u32_e32 v7, vcc, s20, v5
	s_add_u32 s0, s10, s0
	v_addc_co_u32_e32 v8, vcc, 0, v8, vcc
	s_addc_u32 s1, s11, s1
	v_mov_b32_e32 v5, s1
	v_add_co_u32_e32 v9, vcc, s0, v15
	s_movk_i32 s0, 0x10f
	v_addc_co_u32_e32 v10, vcc, 0, v5, vcc
	v_mul_u32_u24_sdwa v5, v0, s0 dst_sel:DWORD dst_unused:UNUSED_PAD src0_sel:WORD_0 src1_sel:DWORD
	v_lshrrev_b32_e32 v17, 17, v5
	v_mov_b32_e32 v5, s19
	v_add_co_u32_e32 v11, vcc, s18, v17
	v_addc_co_u32_e32 v5, vcc, 0, v5, vcc
	v_subrev_co_u32_e32 v11, vcc, s14, v11
	v_subbrev_co_u32_e32 v12, vcc, 0, v5, vcc
	v_lshlrev_b64 v[11:12], 3, v[11:12]
	v_mov_b32_e32 v6, 0
	v_mov_b32_e32 v5, s9
	v_add_co_u32_e32 v11, vcc, s8, v11
	v_mov_b32_e32 v14, s3
	v_addc_co_u32_e32 v12, vcc, v5, v12, vcc
	s_movk_i32 s8, 0xb0
	v_mov_b32_e32 v13, s2
	v_mov_b32_e32 v5, v6
	s_branch .LBB165_8
.LBB165_7:                              ;   in Loop: Header=BB165_8 Depth=1
	s_or_b64 exec, exec, s[0:1]
	s_add_u32 s4, s4, 1
	s_addc_u32 s5, s5, 0
	v_cmp_lt_i64_e32 vcc, s[4:5], v[13:14]
	v_add_co_u32_e64 v11, s[0:1], 8, v11
	v_addc_co_u32_e64 v12, s[0:1], 0, v12, s[0:1]
	s_cbranch_vccz .LBB165_10
.LBB165_8:                              ; =>This Inner Loop Header: Depth=1
	v_mov_b32_e32 v19, s5
	v_add_co_u32_e32 v18, vcc, s4, v17
	v_addc_co_u32_e32 v19, vcc, 0, v19, vcc
	v_cmp_gt_i64_e32 vcc, s[2:3], v[18:19]
	s_and_saveexec_b64 s[0:1], vcc
	s_cbranch_execz .LBB165_7
; %bb.9:                                ;   in Loop: Header=BB165_8 Depth=1
	global_load_dwordx2 v[18:19], v[11:12], off
	s_waitcnt vmcnt(0)
	v_subrev_co_u32_e32 v18, vcc, s14, v18
	v_subbrev_co_u32_e32 v20, vcc, 0, v19, vcc
	v_mad_u64_u32 v[18:19], s[10:11], v18, s8, v[7:8]
	v_mad_u64_u32 v[19:20], s[10:11], v20, s8, v[19:20]
	global_load_dwordx2 v[20:21], v[9:10], off
	s_nop 0
	global_load_dwordx2 v[18:19], v[18:19], off
	v_add_co_u32_e32 v9, vcc, 0xf20, v9
	v_addc_co_u32_e32 v10, vcc, 0, v10, vcc
	s_waitcnt vmcnt(0)
	v_fmac_f32_e32 v5, v20, v18
	v_fmac_f32_e32 v6, v21, v18
	v_fma_f32 v5, -v21, v19, v5
	v_fmac_f32_e32 v6, v20, v19
	s_branch .LBB165_7
.LBB165_10:
	s_and_b64 vcc, exec, s[16:17]
	ds_write_b64 v15, v[5:6]
	s_waitcnt lgkmcnt(0)
	s_barrier
	s_cbranch_vccz .LBB165_22
; %bb.11:
	v_cmp_gt_u16_e32 vcc, 6, v16
	s_and_saveexec_b64 s[0:1], vcc
	s_cbranch_execz .LBB165_13
; %bb.12:
	ds_read2_b64 v[7:10], v15 offset1:16
	s_waitcnt lgkmcnt(0)
	v_add_f32_e32 v7, v9, v7
	v_add_f32_e32 v8, v10, v8
	ds_write_b64 v15, v[7:8]
.LBB165_13:
	s_or_b64 exec, exec, s[0:1]
	v_cmp_gt_u16_e32 vcc, 8, v16
	s_waitcnt lgkmcnt(0)
	s_barrier
	s_and_saveexec_b64 s[0:1], vcc
	s_cbranch_execz .LBB165_15
; %bb.14:
	ds_read2_b64 v[7:10], v15 offset1:8
	s_waitcnt lgkmcnt(0)
	v_add_f32_e32 v7, v9, v7
	v_add_f32_e32 v8, v10, v8
	ds_write_b64 v15, v[7:8]
.LBB165_15:
	s_or_b64 exec, exec, s[0:1]
	v_cmp_gt_u16_e32 vcc, 4, v16
	s_waitcnt lgkmcnt(0)
	s_barrier
	;; [unrolled: 13-line block ×3, first 2 shown]
	s_and_saveexec_b64 s[0:1], vcc
	s_cbranch_execz .LBB165_19
; %bb.18:
	ds_read2_b64 v[7:10], v15 offset1:2
	s_waitcnt lgkmcnt(0)
	v_add_f32_e32 v7, v9, v7
	v_add_f32_e32 v8, v10, v8
	ds_write_b64 v15, v[7:8]
.LBB165_19:
	s_or_b64 exec, exec, s[0:1]
	v_cmp_gt_u32_e32 vcc, 22, v0
	v_mov_b32_e32 v8, v6
	v_mov_b32_e32 v7, v5
	s_waitcnt lgkmcnt(0)
	s_barrier
	s_and_saveexec_b64 s[0:1], vcc
	s_cbranch_execz .LBB165_21
; %bb.20:
	s_movk_i32 s2, 0xa8
	v_mad_u32_u24 v7, v0, s2, v15
	ds_read2_b64 v[7:10], v7 offset1:1
	s_waitcnt lgkmcnt(0)
	v_add_f32_e32 v7, v9, v7
	v_add_f32_e32 v8, v10, v8
.LBB165_21:
	s_or_b64 exec, exec, s[0:1]
	s_branch .LBB165_34
.LBB165_22:
                                        ; implicit-def: $vgpr8
                                        ; implicit-def: $vgpr7
	s_cbranch_execz .LBB165_34
; %bb.23:
	s_movk_i32 s0, 0x84
	v_cmp_gt_u32_e32 vcc, s0, v0
	s_and_saveexec_b64 s[0:1], vcc
	s_cbranch_execz .LBB165_25
; %bb.24:
	ds_read_b64 v[7:8], v15 offset:2816
	ds_read_b64 v[9:10], v15
	s_waitcnt lgkmcnt(0)
	v_add_f32_e32 v7, v7, v9
	v_add_f32_e32 v8, v8, v10
	ds_write_b64 v15, v[7:8]
.LBB165_25:
	s_or_b64 exec, exec, s[0:1]
	s_movk_i32 s0, 0xb0
	v_cmp_gt_u32_e32 vcc, s0, v0
	s_waitcnt lgkmcnt(0)
	s_barrier
	s_and_saveexec_b64 s[0:1], vcc
	s_cbranch_execz .LBB165_27
; %bb.26:
	ds_read2_b64 v[7:10], v15 offset1:176
	s_waitcnt lgkmcnt(0)
	v_add_f32_e32 v7, v9, v7
	v_add_f32_e32 v8, v10, v8
	ds_write_b64 v15, v[7:8]
.LBB165_27:
	s_or_b64 exec, exec, s[0:1]
	s_movk_i32 s0, 0x58
	v_cmp_gt_u32_e32 vcc, s0, v0
	s_waitcnt lgkmcnt(0)
	s_barrier
	s_and_saveexec_b64 s[0:1], vcc
	s_cbranch_execz .LBB165_29
; %bb.28:
	ds_read2_b64 v[7:10], v15 offset1:88
	s_waitcnt lgkmcnt(0)
	v_add_f32_e32 v7, v9, v7
	v_add_f32_e32 v8, v10, v8
	ds_write_b64 v15, v[7:8]
.LBB165_29:
	s_or_b64 exec, exec, s[0:1]
	v_cmp_gt_u32_e32 vcc, 44, v0
	s_waitcnt lgkmcnt(0)
	s_barrier
	s_and_saveexec_b64 s[0:1], vcc
	s_cbranch_execz .LBB165_31
; %bb.30:
	ds_read2_b64 v[7:10], v15 offset1:44
	s_waitcnt lgkmcnt(0)
	v_add_f32_e32 v7, v9, v7
	v_add_f32_e32 v8, v10, v8
	ds_write_b64 v15, v[7:8]
.LBB165_31:
	s_or_b64 exec, exec, s[0:1]
	v_cmp_gt_u32_e32 vcc, 22, v0
	s_waitcnt lgkmcnt(0)
	s_and_saveexec_b64 s[0:1], vcc
	s_cbranch_execz .LBB165_33
; %bb.32:
	ds_read2_b64 v[5:8], v15 offset1:22
	s_waitcnt lgkmcnt(0)
	v_add_f32_e32 v5, v7, v5
	v_add_f32_e32 v6, v8, v6
.LBB165_33:
	s_or_b64 exec, exec, s[0:1]
	v_mov_b32_e32 v8, v6
	v_mov_b32_e32 v7, v5
.LBB165_34:
	v_cmp_gt_u32_e32 vcc, 22, v0
	s_and_b64 exec, exec, vcc
	s_cbranch_execz .LBB165_39
; %bb.35:
	v_cmp_eq_f32_e32 vcc, 0, v1
	v_cmp_eq_f32_e64 s[0:1], 0, v2
	v_mul_f32_e64 v5, v8, -v4
	v_mul_f32_e32 v6, v3, v8
	s_and_b64 s[0:1], vcc, s[0:1]
	v_fmac_f32_e32 v5, v3, v7
	v_fmac_f32_e32 v6, v4, v7
	s_mul_i32 s2, s7, 0xb0
	s_mul_hi_u32 s3, s6, 0xb0
	s_mul_i32 s4, s6, 0xb0
	s_and_saveexec_b64 s[6:7], s[0:1]
	s_xor_b64 s[0:1], exec, s[6:7]
	s_cbranch_execz .LBB165_37
; %bb.36:
	s_add_i32 s5, s3, s2
	s_add_u32 s6, s12, s4
	s_addc_u32 s7, s13, s5
	global_store_dwordx2 v15, v[5:6], s[6:7]
                                        ; implicit-def: $vgpr15
                                        ; implicit-def: $vgpr1_vgpr2
                                        ; implicit-def: $vgpr5
.LBB165_37:
	s_andn2_saveexec_b64 s[0:1], s[0:1]
	s_cbranch_execz .LBB165_39
; %bb.38:
	s_add_i32 s3, s3, s2
	s_add_u32 s0, s12, s4
	s_addc_u32 s1, s13, s3
	global_load_dwordx2 v[3:4], v15, s[0:1]
	s_waitcnt vmcnt(0)
	v_fmac_f32_e32 v5, v1, v3
	v_fmac_f32_e32 v6, v2, v3
	v_fma_f32 v5, -v2, v4, v5
	v_fmac_f32_e32 v6, v1, v4
	global_store_dwordx2 v15, v[5:6], s[0:1]
.LBB165_39:
	s_endpgm
	.section	.rodata,"a",@progbits
	.p2align	6, 0x0
	.amdhsa_kernel _ZN9rocsparseL20bsrxmvn_17_32_kernelILj22E21rocsparse_complex_numIfEllS2_S2_S2_EEvT2_20rocsparse_direction_NS_24const_host_device_scalarIT0_EES3_PKS3_PKT1_SC_S9_PKT3_PKT4_S7_PT5_21rocsparse_index_base_b
		.amdhsa_group_segment_fixed_size 3872
		.amdhsa_private_segment_fixed_size 0
		.amdhsa_kernarg_size 104
		.amdhsa_user_sgpr_count 6
		.amdhsa_user_sgpr_private_segment_buffer 1
		.amdhsa_user_sgpr_dispatch_ptr 0
		.amdhsa_user_sgpr_queue_ptr 0
		.amdhsa_user_sgpr_kernarg_segment_ptr 1
		.amdhsa_user_sgpr_dispatch_id 0
		.amdhsa_user_sgpr_flat_scratch_init 0
		.amdhsa_user_sgpr_private_segment_size 0
		.amdhsa_uses_dynamic_stack 0
		.amdhsa_system_sgpr_private_segment_wavefront_offset 0
		.amdhsa_system_sgpr_workgroup_id_x 1
		.amdhsa_system_sgpr_workgroup_id_y 0
		.amdhsa_system_sgpr_workgroup_id_z 0
		.amdhsa_system_sgpr_workgroup_info 0
		.amdhsa_system_vgpr_workitem_id 0
		.amdhsa_next_free_vgpr 22
		.amdhsa_next_free_sgpr 22
		.amdhsa_reserve_vcc 1
		.amdhsa_reserve_flat_scratch 0
		.amdhsa_float_round_mode_32 0
		.amdhsa_float_round_mode_16_64 0
		.amdhsa_float_denorm_mode_32 3
		.amdhsa_float_denorm_mode_16_64 3
		.amdhsa_dx10_clamp 1
		.amdhsa_ieee_mode 1
		.amdhsa_fp16_overflow 0
		.amdhsa_exception_fp_ieee_invalid_op 0
		.amdhsa_exception_fp_denorm_src 0
		.amdhsa_exception_fp_ieee_div_zero 0
		.amdhsa_exception_fp_ieee_overflow 0
		.amdhsa_exception_fp_ieee_underflow 0
		.amdhsa_exception_fp_ieee_inexact 0
		.amdhsa_exception_int_div_zero 0
	.end_amdhsa_kernel
	.section	.text._ZN9rocsparseL20bsrxmvn_17_32_kernelILj22E21rocsparse_complex_numIfEllS2_S2_S2_EEvT2_20rocsparse_direction_NS_24const_host_device_scalarIT0_EES3_PKS3_PKT1_SC_S9_PKT3_PKT4_S7_PT5_21rocsparse_index_base_b,"axG",@progbits,_ZN9rocsparseL20bsrxmvn_17_32_kernelILj22E21rocsparse_complex_numIfEllS2_S2_S2_EEvT2_20rocsparse_direction_NS_24const_host_device_scalarIT0_EES3_PKS3_PKT1_SC_S9_PKT3_PKT4_S7_PT5_21rocsparse_index_base_b,comdat
.Lfunc_end165:
	.size	_ZN9rocsparseL20bsrxmvn_17_32_kernelILj22E21rocsparse_complex_numIfEllS2_S2_S2_EEvT2_20rocsparse_direction_NS_24const_host_device_scalarIT0_EES3_PKS3_PKT1_SC_S9_PKT3_PKT4_S7_PT5_21rocsparse_index_base_b, .Lfunc_end165-_ZN9rocsparseL20bsrxmvn_17_32_kernelILj22E21rocsparse_complex_numIfEllS2_S2_S2_EEvT2_20rocsparse_direction_NS_24const_host_device_scalarIT0_EES3_PKS3_PKT1_SC_S9_PKT3_PKT4_S7_PT5_21rocsparse_index_base_b
                                        ; -- End function
	.set _ZN9rocsparseL20bsrxmvn_17_32_kernelILj22E21rocsparse_complex_numIfEllS2_S2_S2_EEvT2_20rocsparse_direction_NS_24const_host_device_scalarIT0_EES3_PKS3_PKT1_SC_S9_PKT3_PKT4_S7_PT5_21rocsparse_index_base_b.num_vgpr, 22
	.set _ZN9rocsparseL20bsrxmvn_17_32_kernelILj22E21rocsparse_complex_numIfEllS2_S2_S2_EEvT2_20rocsparse_direction_NS_24const_host_device_scalarIT0_EES3_PKS3_PKT1_SC_S9_PKT3_PKT4_S7_PT5_21rocsparse_index_base_b.num_agpr, 0
	.set _ZN9rocsparseL20bsrxmvn_17_32_kernelILj22E21rocsparse_complex_numIfEllS2_S2_S2_EEvT2_20rocsparse_direction_NS_24const_host_device_scalarIT0_EES3_PKS3_PKT1_SC_S9_PKT3_PKT4_S7_PT5_21rocsparse_index_base_b.numbered_sgpr, 22
	.set _ZN9rocsparseL20bsrxmvn_17_32_kernelILj22E21rocsparse_complex_numIfEllS2_S2_S2_EEvT2_20rocsparse_direction_NS_24const_host_device_scalarIT0_EES3_PKS3_PKT1_SC_S9_PKT3_PKT4_S7_PT5_21rocsparse_index_base_b.num_named_barrier, 0
	.set _ZN9rocsparseL20bsrxmvn_17_32_kernelILj22E21rocsparse_complex_numIfEllS2_S2_S2_EEvT2_20rocsparse_direction_NS_24const_host_device_scalarIT0_EES3_PKS3_PKT1_SC_S9_PKT3_PKT4_S7_PT5_21rocsparse_index_base_b.private_seg_size, 0
	.set _ZN9rocsparseL20bsrxmvn_17_32_kernelILj22E21rocsparse_complex_numIfEllS2_S2_S2_EEvT2_20rocsparse_direction_NS_24const_host_device_scalarIT0_EES3_PKS3_PKT1_SC_S9_PKT3_PKT4_S7_PT5_21rocsparse_index_base_b.uses_vcc, 1
	.set _ZN9rocsparseL20bsrxmvn_17_32_kernelILj22E21rocsparse_complex_numIfEllS2_S2_S2_EEvT2_20rocsparse_direction_NS_24const_host_device_scalarIT0_EES3_PKS3_PKT1_SC_S9_PKT3_PKT4_S7_PT5_21rocsparse_index_base_b.uses_flat_scratch, 0
	.set _ZN9rocsparseL20bsrxmvn_17_32_kernelILj22E21rocsparse_complex_numIfEllS2_S2_S2_EEvT2_20rocsparse_direction_NS_24const_host_device_scalarIT0_EES3_PKS3_PKT1_SC_S9_PKT3_PKT4_S7_PT5_21rocsparse_index_base_b.has_dyn_sized_stack, 0
	.set _ZN9rocsparseL20bsrxmvn_17_32_kernelILj22E21rocsparse_complex_numIfEllS2_S2_S2_EEvT2_20rocsparse_direction_NS_24const_host_device_scalarIT0_EES3_PKS3_PKT1_SC_S9_PKT3_PKT4_S7_PT5_21rocsparse_index_base_b.has_recursion, 0
	.set _ZN9rocsparseL20bsrxmvn_17_32_kernelILj22E21rocsparse_complex_numIfEllS2_S2_S2_EEvT2_20rocsparse_direction_NS_24const_host_device_scalarIT0_EES3_PKS3_PKT1_SC_S9_PKT3_PKT4_S7_PT5_21rocsparse_index_base_b.has_indirect_call, 0
	.section	.AMDGPU.csdata,"",@progbits
; Kernel info:
; codeLenInByte = 1484
; TotalNumSgprs: 26
; NumVgprs: 22
; ScratchSize: 0
; MemoryBound: 0
; FloatMode: 240
; IeeeMode: 1
; LDSByteSize: 3872 bytes/workgroup (compile time only)
; SGPRBlocks: 3
; VGPRBlocks: 5
; NumSGPRsForWavesPerEU: 26
; NumVGPRsForWavesPerEU: 22
; Occupancy: 10
; WaveLimiterHint : 1
; COMPUTE_PGM_RSRC2:SCRATCH_EN: 0
; COMPUTE_PGM_RSRC2:USER_SGPR: 6
; COMPUTE_PGM_RSRC2:TRAP_HANDLER: 0
; COMPUTE_PGM_RSRC2:TGID_X_EN: 1
; COMPUTE_PGM_RSRC2:TGID_Y_EN: 0
; COMPUTE_PGM_RSRC2:TGID_Z_EN: 0
; COMPUTE_PGM_RSRC2:TIDIG_COMP_CNT: 0
	.section	.text._ZN9rocsparseL20bsrxmvn_17_32_kernelILj23E21rocsparse_complex_numIfEllS2_S2_S2_EEvT2_20rocsparse_direction_NS_24const_host_device_scalarIT0_EES3_PKS3_PKT1_SC_S9_PKT3_PKT4_S7_PT5_21rocsparse_index_base_b,"axG",@progbits,_ZN9rocsparseL20bsrxmvn_17_32_kernelILj23E21rocsparse_complex_numIfEllS2_S2_S2_EEvT2_20rocsparse_direction_NS_24const_host_device_scalarIT0_EES3_PKS3_PKT1_SC_S9_PKT3_PKT4_S7_PT5_21rocsparse_index_base_b,comdat
	.globl	_ZN9rocsparseL20bsrxmvn_17_32_kernelILj23E21rocsparse_complex_numIfEllS2_S2_S2_EEvT2_20rocsparse_direction_NS_24const_host_device_scalarIT0_EES3_PKS3_PKT1_SC_S9_PKT3_PKT4_S7_PT5_21rocsparse_index_base_b ; -- Begin function _ZN9rocsparseL20bsrxmvn_17_32_kernelILj23E21rocsparse_complex_numIfEllS2_S2_S2_EEvT2_20rocsparse_direction_NS_24const_host_device_scalarIT0_EES3_PKS3_PKT1_SC_S9_PKT3_PKT4_S7_PT5_21rocsparse_index_base_b
	.p2align	8
	.type	_ZN9rocsparseL20bsrxmvn_17_32_kernelILj23E21rocsparse_complex_numIfEllS2_S2_S2_EEvT2_20rocsparse_direction_NS_24const_host_device_scalarIT0_EES3_PKS3_PKT1_SC_S9_PKT3_PKT4_S7_PT5_21rocsparse_index_base_b,@function
_ZN9rocsparseL20bsrxmvn_17_32_kernelILj23E21rocsparse_complex_numIfEllS2_S2_S2_EEvT2_20rocsparse_direction_NS_24const_host_device_scalarIT0_EES3_PKS3_PKT1_SC_S9_PKT3_PKT4_S7_PT5_21rocsparse_index_base_b: ; @_ZN9rocsparseL20bsrxmvn_17_32_kernelILj23E21rocsparse_complex_numIfEllS2_S2_S2_EEvT2_20rocsparse_direction_NS_24const_host_device_scalarIT0_EES3_PKS3_PKT1_SC_S9_PKT3_PKT4_S7_PT5_21rocsparse_index_base_b
; %bb.0:
	s_load_dwordx2 s[0:1], s[4:5], 0x10
	s_load_dwordx2 s[14:15], s[4:5], 0x60
	s_add_u32 s7, s4, 16
	s_addc_u32 s8, s5, 0
	s_add_u32 s9, s4, 0x50
	s_load_dwordx2 s[2:3], s[4:5], 0x50
	s_addc_u32 s10, s5, 0
	s_waitcnt lgkmcnt(0)
	s_bitcmp1_b32 s15, 0
	s_cselect_b32 s1, s8, s1
	s_cselect_b32 s0, s7, s0
	v_mov_b32_e32 v1, s0
	v_mov_b32_e32 v2, s1
	flat_load_dwordx2 v[3:4], v[1:2]
	s_cselect_b32 s0, s10, s3
	s_cselect_b32 s1, s9, s2
	v_mov_b32_e32 v1, s1
	v_mov_b32_e32 v2, s0
	flat_load_dwordx2 v[1:2], v[1:2]
	s_waitcnt vmcnt(0) lgkmcnt(0)
	v_cmp_eq_f32_e32 vcc, 0, v3
	v_cmp_eq_f32_e64 s[0:1], 0, v4
	s_and_b64 s[8:9], vcc, s[0:1]
	s_mov_b64 s[0:1], -1
	s_and_saveexec_b64 s[2:3], s[8:9]
; %bb.1:
	v_cmp_neq_f32_e32 vcc, 1.0, v1
	v_cmp_neq_f32_e64 s[0:1], 0, v2
	s_or_b64 s[0:1], vcc, s[0:1]
	s_orn2_b64 s[0:1], s[0:1], exec
; %bb.2:
	s_or_b64 exec, exec, s[2:3]
	s_and_saveexec_b64 s[2:3], s[0:1]
	s_cbranch_execz .LBB166_39
; %bb.3:
	s_load_dwordx4 s[0:3], s[4:5], 0x20
	s_load_dwordx2 s[8:9], s[4:5], 0x30
	s_mov_b32 s7, 0
	s_waitcnt lgkmcnt(0)
	s_cmp_eq_u64 s[0:1], 0
	s_cbranch_scc1 .LBB166_5
; %bb.4:
	s_lshl_b64 s[6:7], s[6:7], 3
	s_add_u32 s0, s0, s6
	s_addc_u32 s1, s1, s7
	s_load_dwordx2 s[0:1], s[0:1], 0x0
	s_waitcnt lgkmcnt(0)
	s_sub_u32 s6, s0, s14
	s_subb_u32 s7, s1, 0
.LBB166_5:
	s_load_dword s10, s[4:5], 0x8
	s_load_dwordx2 s[12:13], s[4:5], 0x58
	v_mul_u32_u24_e32 v7, 0xb22, v0
	v_mov_b32_e32 v5, 23
	v_mul_lo_u16_sdwa v5, v7, v5 dst_sel:DWORD dst_unused:UNUSED_PAD src0_sel:WORD_1 src1_sel:DWORD
	s_waitcnt lgkmcnt(0)
	s_cmp_eq_u32 s10, 1
	s_cselect_b64 s[0:1], -1, 0
	s_cmp_lg_u32 s10, 1
	s_cselect_b64 s[16:17], -1, 0
	s_lshl_b64 s[10:11], s[6:7], 3
	s_add_u32 s20, s2, s10
	s_addc_u32 s21, s3, s11
	s_add_u32 s2, s20, 8
	s_addc_u32 s3, s21, 0
	;; [unrolled: 2-line block ×3, first 2 shown]
	s_cmp_eq_u64 s[8:9], 0
	s_cselect_b32 s9, s3, s11
	s_cselect_b32 s8, s2, s10
	s_load_dwordx2 s[2:3], s[8:9], 0x0
	s_load_dwordx2 s[18:19], s[20:21], 0x0
	v_sub_u16_e32 v16, v0, v5
	v_lshlrev_b32_e32 v15, 3, v0
	s_waitcnt lgkmcnt(0)
	v_mov_b32_e32 v6, s3
	v_mov_b32_e32 v5, s2
	v_cmp_ge_i64_e32 vcc, s[18:19], v[5:6]
	v_mov_b32_e32 v6, 0
	v_mov_b32_e32 v5, 0
	s_cbranch_vccnz .LBB166_10
; %bb.6:
	s_load_dwordx4 s[8:11], s[4:5], 0x38
	s_load_dwordx2 s[20:21], s[4:5], 0x48
	s_mov_b32 s4, 0xffff
	s_movk_i32 s5, 0x211
	v_and_b32_sdwa v5, s4, v7 dst_sel:DWORD dst_unused:UNUSED_PAD src0_sel:DWORD src1_sel:WORD_1
	s_sub_u32 s2, s2, s14
	v_subrev_u32_e32 v6, 23, v5
	v_cmp_gt_u32_e32 vcc, s5, v0
	s_subb_u32 s3, s3, 0
	v_cndmask_b32_e32 v5, v6, v5, vcc
	s_sub_u32 s4, s18, s14
	v_cndmask_b32_e64 v5, v16, v5, s[0:1]
	v_mov_b32_e32 v6, 0
	s_subb_u32 s5, s19, 0
	v_lshlrev_b64 v[7:8], 3, v[5:6]
	s_mul_i32 s0, s5, 0x1088
	s_mul_hi_u32 s1, s4, 0x1088
	s_add_i32 s1, s1, s0
	s_mul_i32 s0, s4, 0x1088
	s_waitcnt lgkmcnt(0)
	v_mov_b32_e32 v5, s21
	v_add_co_u32_e32 v7, vcc, s20, v7
	s_add_u32 s0, s10, s0
	v_addc_co_u32_e32 v8, vcc, v5, v8, vcc
	s_addc_u32 s1, s11, s1
	v_mov_b32_e32 v5, s1
	v_add_co_u32_e32 v9, vcc, s0, v15
	v_addc_co_u32_e32 v10, vcc, 0, v5, vcc
	s_movk_i32 s0, 0x210
	v_cmp_lt_u32_e32 vcc, s0, v0
	v_cndmask_b32_e64 v17, 0, 1, vcc
	v_mov_b32_e32 v5, s19
	v_add_co_u32_e32 v11, vcc, s18, v17
	v_addc_co_u32_e32 v5, vcc, 0, v5, vcc
	v_subrev_co_u32_e32 v11, vcc, s14, v11
	v_subbrev_co_u32_e32 v12, vcc, 0, v5, vcc
	v_lshlrev_b64 v[11:12], 3, v[11:12]
	v_mov_b32_e32 v5, s9
	v_add_co_u32_e32 v11, vcc, s8, v11
	v_mov_b32_e32 v14, s3
	v_addc_co_u32_e32 v12, vcc, v5, v12, vcc
	s_movk_i32 s8, 0xb8
	v_mov_b32_e32 v13, s2
	v_mov_b32_e32 v5, v6
	s_branch .LBB166_8
.LBB166_7:                              ;   in Loop: Header=BB166_8 Depth=1
	s_or_b64 exec, exec, s[0:1]
	s_add_u32 s4, s4, 1
	s_addc_u32 s5, s5, 0
	v_cmp_lt_i64_e32 vcc, s[4:5], v[13:14]
	v_add_co_u32_e64 v11, s[0:1], 8, v11
	v_addc_co_u32_e64 v12, s[0:1], 0, v12, s[0:1]
	s_cbranch_vccz .LBB166_10
.LBB166_8:                              ; =>This Inner Loop Header: Depth=1
	v_mov_b32_e32 v19, s5
	v_add_co_u32_e32 v18, vcc, s4, v17
	v_addc_co_u32_e32 v19, vcc, 0, v19, vcc
	v_cmp_gt_i64_e32 vcc, s[2:3], v[18:19]
	s_and_saveexec_b64 s[0:1], vcc
	s_cbranch_execz .LBB166_7
; %bb.9:                                ;   in Loop: Header=BB166_8 Depth=1
	global_load_dwordx2 v[18:19], v[11:12], off
	s_waitcnt vmcnt(0)
	v_subrev_co_u32_e32 v18, vcc, s14, v18
	v_subbrev_co_u32_e32 v20, vcc, 0, v19, vcc
	v_mad_u64_u32 v[18:19], s[10:11], v18, s8, v[7:8]
	v_mad_u64_u32 v[19:20], s[10:11], v20, s8, v[19:20]
	global_load_dwordx2 v[20:21], v[9:10], off
	s_nop 0
	global_load_dwordx2 v[18:19], v[18:19], off
	v_add_co_u32_e32 v9, vcc, 0x1088, v9
	v_addc_co_u32_e32 v10, vcc, 0, v10, vcc
	s_waitcnt vmcnt(0)
	v_fmac_f32_e32 v5, v20, v18
	v_fmac_f32_e32 v6, v21, v18
	v_fma_f32 v5, -v21, v19, v5
	v_fmac_f32_e32 v6, v20, v19
	s_branch .LBB166_7
.LBB166_10:
	s_and_b64 vcc, exec, s[16:17]
	ds_write_b64 v15, v[5:6]
	s_waitcnt lgkmcnt(0)
	s_barrier
	s_cbranch_vccz .LBB166_22
; %bb.11:
	v_cmp_gt_u16_e32 vcc, 7, v16
	s_and_saveexec_b64 s[0:1], vcc
	s_cbranch_execz .LBB166_13
; %bb.12:
	ds_read2_b64 v[7:10], v15 offset1:16
	s_waitcnt lgkmcnt(0)
	v_add_f32_e32 v7, v9, v7
	v_add_f32_e32 v8, v10, v8
	ds_write_b64 v15, v[7:8]
.LBB166_13:
	s_or_b64 exec, exec, s[0:1]
	v_cmp_gt_u16_e32 vcc, 8, v16
	s_waitcnt lgkmcnt(0)
	s_barrier
	s_and_saveexec_b64 s[0:1], vcc
	s_cbranch_execz .LBB166_15
; %bb.14:
	ds_read2_b64 v[7:10], v15 offset1:8
	s_waitcnt lgkmcnt(0)
	v_add_f32_e32 v7, v9, v7
	v_add_f32_e32 v8, v10, v8
	ds_write_b64 v15, v[7:8]
.LBB166_15:
	s_or_b64 exec, exec, s[0:1]
	v_cmp_gt_u16_e32 vcc, 4, v16
	s_waitcnt lgkmcnt(0)
	s_barrier
	;; [unrolled: 13-line block ×3, first 2 shown]
	s_and_saveexec_b64 s[0:1], vcc
	s_cbranch_execz .LBB166_19
; %bb.18:
	ds_read2_b64 v[7:10], v15 offset1:2
	s_waitcnt lgkmcnt(0)
	v_add_f32_e32 v7, v9, v7
	v_add_f32_e32 v8, v10, v8
	ds_write_b64 v15, v[7:8]
.LBB166_19:
	s_or_b64 exec, exec, s[0:1]
	v_cmp_gt_u32_e32 vcc, 23, v0
	v_mov_b32_e32 v8, v6
	v_mov_b32_e32 v7, v5
	s_waitcnt lgkmcnt(0)
	s_barrier
	s_and_saveexec_b64 s[0:1], vcc
	s_cbranch_execz .LBB166_21
; %bb.20:
	s_movk_i32 s2, 0xb0
	v_mad_u32_u24 v7, v0, s2, v15
	ds_read2_b64 v[7:10], v7 offset1:1
	s_waitcnt lgkmcnt(0)
	v_add_f32_e32 v7, v9, v7
	v_add_f32_e32 v8, v10, v8
.LBB166_21:
	s_or_b64 exec, exec, s[0:1]
	s_branch .LBB166_34
.LBB166_22:
                                        ; implicit-def: $vgpr8
                                        ; implicit-def: $vgpr7
	s_cbranch_execz .LBB166_34
; %bb.23:
	s_movk_i32 s0, 0xa1
	v_cmp_gt_u32_e32 vcc, s0, v0
	s_and_saveexec_b64 s[0:1], vcc
	s_cbranch_execz .LBB166_25
; %bb.24:
	ds_read_b64 v[7:8], v15 offset:2944
	ds_read_b64 v[9:10], v15
	s_waitcnt lgkmcnt(0)
	v_add_f32_e32 v7, v7, v9
	v_add_f32_e32 v8, v8, v10
	ds_write_b64 v15, v[7:8]
.LBB166_25:
	s_or_b64 exec, exec, s[0:1]
	s_movk_i32 s0, 0xb8
	v_cmp_gt_u32_e32 vcc, s0, v0
	s_waitcnt lgkmcnt(0)
	s_barrier
	s_and_saveexec_b64 s[0:1], vcc
	s_cbranch_execz .LBB166_27
; %bb.26:
	ds_read2_b64 v[7:10], v15 offset1:184
	s_waitcnt lgkmcnt(0)
	v_add_f32_e32 v7, v9, v7
	v_add_f32_e32 v8, v10, v8
	ds_write_b64 v15, v[7:8]
.LBB166_27:
	s_or_b64 exec, exec, s[0:1]
	s_movk_i32 s0, 0x5c
	v_cmp_gt_u32_e32 vcc, s0, v0
	s_waitcnt lgkmcnt(0)
	s_barrier
	s_and_saveexec_b64 s[0:1], vcc
	s_cbranch_execz .LBB166_29
; %bb.28:
	ds_read2_b64 v[7:10], v15 offset1:92
	s_waitcnt lgkmcnt(0)
	v_add_f32_e32 v7, v9, v7
	v_add_f32_e32 v8, v10, v8
	ds_write_b64 v15, v[7:8]
.LBB166_29:
	s_or_b64 exec, exec, s[0:1]
	v_cmp_gt_u32_e32 vcc, 46, v0
	s_waitcnt lgkmcnt(0)
	s_barrier
	s_and_saveexec_b64 s[0:1], vcc
	s_cbranch_execz .LBB166_31
; %bb.30:
	ds_read2_b64 v[7:10], v15 offset1:46
	s_waitcnt lgkmcnt(0)
	v_add_f32_e32 v7, v9, v7
	v_add_f32_e32 v8, v10, v8
	ds_write_b64 v15, v[7:8]
.LBB166_31:
	s_or_b64 exec, exec, s[0:1]
	v_cmp_gt_u32_e32 vcc, 23, v0
	s_waitcnt lgkmcnt(0)
	s_and_saveexec_b64 s[0:1], vcc
	s_cbranch_execz .LBB166_33
; %bb.32:
	ds_read2_b64 v[5:8], v15 offset1:23
	s_waitcnt lgkmcnt(0)
	v_add_f32_e32 v5, v7, v5
	v_add_f32_e32 v6, v8, v6
.LBB166_33:
	s_or_b64 exec, exec, s[0:1]
	v_mov_b32_e32 v8, v6
	v_mov_b32_e32 v7, v5
.LBB166_34:
	v_cmp_gt_u32_e32 vcc, 23, v0
	s_and_b64 exec, exec, vcc
	s_cbranch_execz .LBB166_39
; %bb.35:
	v_cmp_eq_f32_e32 vcc, 0, v1
	v_cmp_eq_f32_e64 s[0:1], 0, v2
	v_mul_f32_e64 v5, v8, -v4
	v_mul_f32_e32 v6, v3, v8
	s_and_b64 s[0:1], vcc, s[0:1]
	v_fmac_f32_e32 v5, v3, v7
	v_fmac_f32_e32 v6, v4, v7
	s_mul_i32 s2, s7, 0xb8
	s_mul_hi_u32 s3, s6, 0xb8
	s_mul_i32 s4, s6, 0xb8
	s_and_saveexec_b64 s[6:7], s[0:1]
	s_xor_b64 s[0:1], exec, s[6:7]
	s_cbranch_execz .LBB166_37
; %bb.36:
	s_add_i32 s5, s3, s2
	s_add_u32 s6, s12, s4
	s_addc_u32 s7, s13, s5
	global_store_dwordx2 v15, v[5:6], s[6:7]
                                        ; implicit-def: $vgpr15
                                        ; implicit-def: $vgpr1_vgpr2
                                        ; implicit-def: $vgpr5
.LBB166_37:
	s_andn2_saveexec_b64 s[0:1], s[0:1]
	s_cbranch_execz .LBB166_39
; %bb.38:
	s_add_i32 s3, s3, s2
	s_add_u32 s0, s12, s4
	s_addc_u32 s1, s13, s3
	global_load_dwordx2 v[3:4], v15, s[0:1]
	s_waitcnt vmcnt(0)
	v_fmac_f32_e32 v5, v1, v3
	v_fmac_f32_e32 v6, v2, v3
	v_fma_f32 v5, -v2, v4, v5
	v_fmac_f32_e32 v6, v1, v4
	global_store_dwordx2 v15, v[5:6], s[0:1]
.LBB166_39:
	s_endpgm
	.section	.rodata,"a",@progbits
	.p2align	6, 0x0
	.amdhsa_kernel _ZN9rocsparseL20bsrxmvn_17_32_kernelILj23E21rocsparse_complex_numIfEllS2_S2_S2_EEvT2_20rocsparse_direction_NS_24const_host_device_scalarIT0_EES3_PKS3_PKT1_SC_S9_PKT3_PKT4_S7_PT5_21rocsparse_index_base_b
		.amdhsa_group_segment_fixed_size 4232
		.amdhsa_private_segment_fixed_size 0
		.amdhsa_kernarg_size 104
		.amdhsa_user_sgpr_count 6
		.amdhsa_user_sgpr_private_segment_buffer 1
		.amdhsa_user_sgpr_dispatch_ptr 0
		.amdhsa_user_sgpr_queue_ptr 0
		.amdhsa_user_sgpr_kernarg_segment_ptr 1
		.amdhsa_user_sgpr_dispatch_id 0
		.amdhsa_user_sgpr_flat_scratch_init 0
		.amdhsa_user_sgpr_private_segment_size 0
		.amdhsa_uses_dynamic_stack 0
		.amdhsa_system_sgpr_private_segment_wavefront_offset 0
		.amdhsa_system_sgpr_workgroup_id_x 1
		.amdhsa_system_sgpr_workgroup_id_y 0
		.amdhsa_system_sgpr_workgroup_id_z 0
		.amdhsa_system_sgpr_workgroup_info 0
		.amdhsa_system_vgpr_workitem_id 0
		.amdhsa_next_free_vgpr 25
		.amdhsa_next_free_sgpr 61
		.amdhsa_reserve_vcc 1
		.amdhsa_reserve_flat_scratch 0
		.amdhsa_float_round_mode_32 0
		.amdhsa_float_round_mode_16_64 0
		.amdhsa_float_denorm_mode_32 3
		.amdhsa_float_denorm_mode_16_64 3
		.amdhsa_dx10_clamp 1
		.amdhsa_ieee_mode 1
		.amdhsa_fp16_overflow 0
		.amdhsa_exception_fp_ieee_invalid_op 0
		.amdhsa_exception_fp_denorm_src 0
		.amdhsa_exception_fp_ieee_div_zero 0
		.amdhsa_exception_fp_ieee_overflow 0
		.amdhsa_exception_fp_ieee_underflow 0
		.amdhsa_exception_fp_ieee_inexact 0
		.amdhsa_exception_int_div_zero 0
	.end_amdhsa_kernel
	.section	.text._ZN9rocsparseL20bsrxmvn_17_32_kernelILj23E21rocsparse_complex_numIfEllS2_S2_S2_EEvT2_20rocsparse_direction_NS_24const_host_device_scalarIT0_EES3_PKS3_PKT1_SC_S9_PKT3_PKT4_S7_PT5_21rocsparse_index_base_b,"axG",@progbits,_ZN9rocsparseL20bsrxmvn_17_32_kernelILj23E21rocsparse_complex_numIfEllS2_S2_S2_EEvT2_20rocsparse_direction_NS_24const_host_device_scalarIT0_EES3_PKS3_PKT1_SC_S9_PKT3_PKT4_S7_PT5_21rocsparse_index_base_b,comdat
.Lfunc_end166:
	.size	_ZN9rocsparseL20bsrxmvn_17_32_kernelILj23E21rocsparse_complex_numIfEllS2_S2_S2_EEvT2_20rocsparse_direction_NS_24const_host_device_scalarIT0_EES3_PKS3_PKT1_SC_S9_PKT3_PKT4_S7_PT5_21rocsparse_index_base_b, .Lfunc_end166-_ZN9rocsparseL20bsrxmvn_17_32_kernelILj23E21rocsparse_complex_numIfEllS2_S2_S2_EEvT2_20rocsparse_direction_NS_24const_host_device_scalarIT0_EES3_PKS3_PKT1_SC_S9_PKT3_PKT4_S7_PT5_21rocsparse_index_base_b
                                        ; -- End function
	.set _ZN9rocsparseL20bsrxmvn_17_32_kernelILj23E21rocsparse_complex_numIfEllS2_S2_S2_EEvT2_20rocsparse_direction_NS_24const_host_device_scalarIT0_EES3_PKS3_PKT1_SC_S9_PKT3_PKT4_S7_PT5_21rocsparse_index_base_b.num_vgpr, 22
	.set _ZN9rocsparseL20bsrxmvn_17_32_kernelILj23E21rocsparse_complex_numIfEllS2_S2_S2_EEvT2_20rocsparse_direction_NS_24const_host_device_scalarIT0_EES3_PKS3_PKT1_SC_S9_PKT3_PKT4_S7_PT5_21rocsparse_index_base_b.num_agpr, 0
	.set _ZN9rocsparseL20bsrxmvn_17_32_kernelILj23E21rocsparse_complex_numIfEllS2_S2_S2_EEvT2_20rocsparse_direction_NS_24const_host_device_scalarIT0_EES3_PKS3_PKT1_SC_S9_PKT3_PKT4_S7_PT5_21rocsparse_index_base_b.numbered_sgpr, 22
	.set _ZN9rocsparseL20bsrxmvn_17_32_kernelILj23E21rocsparse_complex_numIfEllS2_S2_S2_EEvT2_20rocsparse_direction_NS_24const_host_device_scalarIT0_EES3_PKS3_PKT1_SC_S9_PKT3_PKT4_S7_PT5_21rocsparse_index_base_b.num_named_barrier, 0
	.set _ZN9rocsparseL20bsrxmvn_17_32_kernelILj23E21rocsparse_complex_numIfEllS2_S2_S2_EEvT2_20rocsparse_direction_NS_24const_host_device_scalarIT0_EES3_PKS3_PKT1_SC_S9_PKT3_PKT4_S7_PT5_21rocsparse_index_base_b.private_seg_size, 0
	.set _ZN9rocsparseL20bsrxmvn_17_32_kernelILj23E21rocsparse_complex_numIfEllS2_S2_S2_EEvT2_20rocsparse_direction_NS_24const_host_device_scalarIT0_EES3_PKS3_PKT1_SC_S9_PKT3_PKT4_S7_PT5_21rocsparse_index_base_b.uses_vcc, 1
	.set _ZN9rocsparseL20bsrxmvn_17_32_kernelILj23E21rocsparse_complex_numIfEllS2_S2_S2_EEvT2_20rocsparse_direction_NS_24const_host_device_scalarIT0_EES3_PKS3_PKT1_SC_S9_PKT3_PKT4_S7_PT5_21rocsparse_index_base_b.uses_flat_scratch, 0
	.set _ZN9rocsparseL20bsrxmvn_17_32_kernelILj23E21rocsparse_complex_numIfEllS2_S2_S2_EEvT2_20rocsparse_direction_NS_24const_host_device_scalarIT0_EES3_PKS3_PKT1_SC_S9_PKT3_PKT4_S7_PT5_21rocsparse_index_base_b.has_dyn_sized_stack, 0
	.set _ZN9rocsparseL20bsrxmvn_17_32_kernelILj23E21rocsparse_complex_numIfEllS2_S2_S2_EEvT2_20rocsparse_direction_NS_24const_host_device_scalarIT0_EES3_PKS3_PKT1_SC_S9_PKT3_PKT4_S7_PT5_21rocsparse_index_base_b.has_recursion, 0
	.set _ZN9rocsparseL20bsrxmvn_17_32_kernelILj23E21rocsparse_complex_numIfEllS2_S2_S2_EEvT2_20rocsparse_direction_NS_24const_host_device_scalarIT0_EES3_PKS3_PKT1_SC_S9_PKT3_PKT4_S7_PT5_21rocsparse_index_base_b.has_indirect_call, 0
	.section	.AMDGPU.csdata,"",@progbits
; Kernel info:
; codeLenInByte = 1484
; TotalNumSgprs: 26
; NumVgprs: 22
; ScratchSize: 0
; MemoryBound: 0
; FloatMode: 240
; IeeeMode: 1
; LDSByteSize: 4232 bytes/workgroup (compile time only)
; SGPRBlocks: 8
; VGPRBlocks: 6
; NumSGPRsForWavesPerEU: 65
; NumVGPRsForWavesPerEU: 25
; Occupancy: 9
; WaveLimiterHint : 1
; COMPUTE_PGM_RSRC2:SCRATCH_EN: 0
; COMPUTE_PGM_RSRC2:USER_SGPR: 6
; COMPUTE_PGM_RSRC2:TRAP_HANDLER: 0
; COMPUTE_PGM_RSRC2:TGID_X_EN: 1
; COMPUTE_PGM_RSRC2:TGID_Y_EN: 0
; COMPUTE_PGM_RSRC2:TGID_Z_EN: 0
; COMPUTE_PGM_RSRC2:TIDIG_COMP_CNT: 0
	.section	.text._ZN9rocsparseL20bsrxmvn_17_32_kernelILj24E21rocsparse_complex_numIfEllS2_S2_S2_EEvT2_20rocsparse_direction_NS_24const_host_device_scalarIT0_EES3_PKS3_PKT1_SC_S9_PKT3_PKT4_S7_PT5_21rocsparse_index_base_b,"axG",@progbits,_ZN9rocsparseL20bsrxmvn_17_32_kernelILj24E21rocsparse_complex_numIfEllS2_S2_S2_EEvT2_20rocsparse_direction_NS_24const_host_device_scalarIT0_EES3_PKS3_PKT1_SC_S9_PKT3_PKT4_S7_PT5_21rocsparse_index_base_b,comdat
	.globl	_ZN9rocsparseL20bsrxmvn_17_32_kernelILj24E21rocsparse_complex_numIfEllS2_S2_S2_EEvT2_20rocsparse_direction_NS_24const_host_device_scalarIT0_EES3_PKS3_PKT1_SC_S9_PKT3_PKT4_S7_PT5_21rocsparse_index_base_b ; -- Begin function _ZN9rocsparseL20bsrxmvn_17_32_kernelILj24E21rocsparse_complex_numIfEllS2_S2_S2_EEvT2_20rocsparse_direction_NS_24const_host_device_scalarIT0_EES3_PKS3_PKT1_SC_S9_PKT3_PKT4_S7_PT5_21rocsparse_index_base_b
	.p2align	8
	.type	_ZN9rocsparseL20bsrxmvn_17_32_kernelILj24E21rocsparse_complex_numIfEllS2_S2_S2_EEvT2_20rocsparse_direction_NS_24const_host_device_scalarIT0_EES3_PKS3_PKT1_SC_S9_PKT3_PKT4_S7_PT5_21rocsparse_index_base_b,@function
_ZN9rocsparseL20bsrxmvn_17_32_kernelILj24E21rocsparse_complex_numIfEllS2_S2_S2_EEvT2_20rocsparse_direction_NS_24const_host_device_scalarIT0_EES3_PKS3_PKT1_SC_S9_PKT3_PKT4_S7_PT5_21rocsparse_index_base_b: ; @_ZN9rocsparseL20bsrxmvn_17_32_kernelILj24E21rocsparse_complex_numIfEllS2_S2_S2_EEvT2_20rocsparse_direction_NS_24const_host_device_scalarIT0_EES3_PKS3_PKT1_SC_S9_PKT3_PKT4_S7_PT5_21rocsparse_index_base_b
; %bb.0:
	s_load_dwordx2 s[0:1], s[4:5], 0x10
	s_load_dwordx2 s[14:15], s[4:5], 0x60
	s_add_u32 s7, s4, 16
	s_addc_u32 s8, s5, 0
	s_add_u32 s9, s4, 0x50
	s_load_dwordx2 s[2:3], s[4:5], 0x50
	s_addc_u32 s10, s5, 0
	s_waitcnt lgkmcnt(0)
	s_bitcmp1_b32 s15, 0
	s_cselect_b32 s1, s8, s1
	s_cselect_b32 s0, s7, s0
	v_mov_b32_e32 v1, s0
	v_mov_b32_e32 v2, s1
	flat_load_dwordx2 v[3:4], v[1:2]
	s_cselect_b32 s0, s10, s3
	s_cselect_b32 s1, s9, s2
	v_mov_b32_e32 v1, s1
	v_mov_b32_e32 v2, s0
	flat_load_dwordx2 v[1:2], v[1:2]
	s_waitcnt vmcnt(0) lgkmcnt(0)
	v_cmp_eq_f32_e32 vcc, 0, v3
	v_cmp_eq_f32_e64 s[0:1], 0, v4
	s_and_b64 s[8:9], vcc, s[0:1]
	s_mov_b64 s[0:1], -1
	s_and_saveexec_b64 s[2:3], s[8:9]
; %bb.1:
	v_cmp_neq_f32_e32 vcc, 1.0, v1
	v_cmp_neq_f32_e64 s[0:1], 0, v2
	s_or_b64 s[0:1], vcc, s[0:1]
	s_orn2_b64 s[0:1], s[0:1], exec
; %bb.2:
	s_or_b64 exec, exec, s[2:3]
	s_and_saveexec_b64 s[2:3], s[0:1]
	s_cbranch_execz .LBB167_39
; %bb.3:
	s_load_dwordx4 s[0:3], s[4:5], 0x20
	s_load_dwordx2 s[8:9], s[4:5], 0x30
	s_mov_b32 s7, 0
	s_waitcnt lgkmcnt(0)
	s_cmp_eq_u64 s[0:1], 0
	s_cbranch_scc1 .LBB167_5
; %bb.4:
	s_lshl_b64 s[6:7], s[6:7], 3
	s_add_u32 s0, s0, s6
	s_addc_u32 s1, s1, s7
	s_load_dwordx2 s[0:1], s[0:1], 0x0
	s_waitcnt lgkmcnt(0)
	s_sub_u32 s6, s0, s14
	s_subb_u32 s7, s1, 0
.LBB167_5:
	s_load_dword s10, s[4:5], 0x8
	s_load_dwordx2 s[12:13], s[4:5], 0x58
	v_mul_u32_u24_e32 v7, 0xaab, v0
	v_mov_b32_e32 v5, 24
	v_mul_lo_u16_sdwa v5, v7, v5 dst_sel:DWORD dst_unused:UNUSED_PAD src0_sel:WORD_1 src1_sel:DWORD
	s_waitcnt lgkmcnt(0)
	s_cmp_eq_u32 s10, 1
	s_cselect_b64 s[0:1], -1, 0
	s_cmp_lg_u32 s10, 1
	s_cselect_b64 s[16:17], -1, 0
	s_lshl_b64 s[10:11], s[6:7], 3
	s_add_u32 s20, s2, s10
	s_addc_u32 s21, s3, s11
	s_add_u32 s2, s20, 8
	s_addc_u32 s3, s21, 0
	;; [unrolled: 2-line block ×3, first 2 shown]
	s_cmp_eq_u64 s[8:9], 0
	s_cselect_b32 s9, s3, s11
	s_cselect_b32 s8, s2, s10
	s_load_dwordx2 s[2:3], s[8:9], 0x0
	s_load_dwordx2 s[18:19], s[20:21], 0x0
	v_sub_u16_e32 v16, v0, v5
	v_lshlrev_b32_e32 v15, 3, v0
	s_waitcnt lgkmcnt(0)
	v_mov_b32_e32 v6, s3
	v_mov_b32_e32 v5, s2
	v_cmp_ge_i64_e32 vcc, s[18:19], v[5:6]
	v_mov_b32_e32 v6, 0
	v_mov_b32_e32 v5, 0
	s_cbranch_vccnz .LBB167_10
; %bb.6:
	s_load_dwordx4 s[8:11], s[4:5], 0x38
	s_load_dwordx2 s[20:21], s[4:5], 0x48
	s_mov_b32 s4, 0xffff
	s_movk_i32 s5, 0x240
	v_and_b32_sdwa v5, s4, v7 dst_sel:DWORD dst_unused:UNUSED_PAD src0_sel:DWORD src1_sel:WORD_1
	s_sub_u32 s2, s2, s14
	v_subrev_u32_e32 v6, 24, v5
	v_cmp_gt_u32_e32 vcc, s5, v0
	s_subb_u32 s3, s3, 0
	v_cndmask_b32_e32 v5, v6, v5, vcc
	s_sub_u32 s4, s18, s14
	v_cndmask_b32_e64 v5, v16, v5, s[0:1]
	v_mov_b32_e32 v6, 0
	s_subb_u32 s5, s19, 0
	v_lshlrev_b64 v[7:8], 3, v[5:6]
	s_mul_i32 s0, s5, 0x1200
	s_mul_hi_u32 s1, s4, 0x1200
	s_add_i32 s1, s1, s0
	s_mul_i32 s0, s4, 0x1200
	s_waitcnt lgkmcnt(0)
	v_mov_b32_e32 v5, s21
	v_add_co_u32_e32 v7, vcc, s20, v7
	s_add_u32 s0, s10, s0
	v_addc_co_u32_e32 v8, vcc, v5, v8, vcc
	s_addc_u32 s1, s11, s1
	v_mov_b32_e32 v5, s1
	v_add_co_u32_e32 v9, vcc, s0, v15
	v_addc_co_u32_e32 v10, vcc, 0, v5, vcc
	s_movk_i32 s0, 0x23f
	v_cmp_lt_u32_e32 vcc, s0, v0
	v_cndmask_b32_e64 v17, 0, 1, vcc
	v_mov_b32_e32 v5, s19
	v_add_co_u32_e32 v11, vcc, s18, v17
	v_addc_co_u32_e32 v5, vcc, 0, v5, vcc
	v_subrev_co_u32_e32 v11, vcc, s14, v11
	v_subbrev_co_u32_e32 v12, vcc, 0, v5, vcc
	v_lshlrev_b64 v[11:12], 3, v[11:12]
	v_mov_b32_e32 v5, s9
	v_add_co_u32_e32 v11, vcc, s8, v11
	v_mov_b32_e32 v14, s3
	v_addc_co_u32_e32 v12, vcc, v5, v12, vcc
	s_movk_i32 s8, 0xc0
	v_mov_b32_e32 v13, s2
	v_mov_b32_e32 v5, v6
	s_branch .LBB167_8
.LBB167_7:                              ;   in Loop: Header=BB167_8 Depth=1
	s_or_b64 exec, exec, s[0:1]
	s_add_u32 s4, s4, 1
	s_addc_u32 s5, s5, 0
	v_cmp_lt_i64_e32 vcc, s[4:5], v[13:14]
	v_add_co_u32_e64 v11, s[0:1], 8, v11
	v_addc_co_u32_e64 v12, s[0:1], 0, v12, s[0:1]
	s_cbranch_vccz .LBB167_10
.LBB167_8:                              ; =>This Inner Loop Header: Depth=1
	v_mov_b32_e32 v19, s5
	v_add_co_u32_e32 v18, vcc, s4, v17
	v_addc_co_u32_e32 v19, vcc, 0, v19, vcc
	v_cmp_gt_i64_e32 vcc, s[2:3], v[18:19]
	s_and_saveexec_b64 s[0:1], vcc
	s_cbranch_execz .LBB167_7
; %bb.9:                                ;   in Loop: Header=BB167_8 Depth=1
	global_load_dwordx2 v[18:19], v[11:12], off
	s_waitcnt vmcnt(0)
	v_subrev_co_u32_e32 v18, vcc, s14, v18
	v_subbrev_co_u32_e32 v20, vcc, 0, v19, vcc
	v_mad_u64_u32 v[18:19], s[10:11], v18, s8, v[7:8]
	v_mad_u64_u32 v[19:20], s[10:11], v20, s8, v[19:20]
	global_load_dwordx2 v[20:21], v[9:10], off
	s_nop 0
	global_load_dwordx2 v[18:19], v[18:19], off
	v_add_co_u32_e32 v9, vcc, 0x1200, v9
	v_addc_co_u32_e32 v10, vcc, 0, v10, vcc
	s_waitcnt vmcnt(0)
	v_fmac_f32_e32 v5, v20, v18
	v_fmac_f32_e32 v6, v21, v18
	v_fma_f32 v5, -v21, v19, v5
	v_fmac_f32_e32 v6, v20, v19
	s_branch .LBB167_7
.LBB167_10:
	s_and_b64 vcc, exec, s[16:17]
	ds_write_b64 v15, v[5:6]
	s_waitcnt lgkmcnt(0)
	s_barrier
	s_cbranch_vccz .LBB167_22
; %bb.11:
	v_cmp_gt_u16_e32 vcc, 8, v16
	s_and_saveexec_b64 s[0:1], vcc
	s_cbranch_execz .LBB167_13
; %bb.12:
	ds_read2_b64 v[7:10], v15 offset1:16
	s_waitcnt lgkmcnt(0)
	v_add_f32_e32 v7, v9, v7
	v_add_f32_e32 v8, v10, v8
	ds_write_b64 v15, v[7:8]
.LBB167_13:
	s_or_b64 exec, exec, s[0:1]
	s_waitcnt lgkmcnt(0)
	s_barrier
	s_and_saveexec_b64 s[0:1], vcc
	s_cbranch_execz .LBB167_15
; %bb.14:
	ds_read2_b64 v[7:10], v15 offset1:8
	s_waitcnt lgkmcnt(0)
	v_add_f32_e32 v7, v9, v7
	v_add_f32_e32 v8, v10, v8
	ds_write_b64 v15, v[7:8]
.LBB167_15:
	s_or_b64 exec, exec, s[0:1]
	v_cmp_gt_u16_e32 vcc, 4, v16
	s_waitcnt lgkmcnt(0)
	s_barrier
	s_and_saveexec_b64 s[0:1], vcc
	s_cbranch_execz .LBB167_17
; %bb.16:
	ds_read2_b64 v[7:10], v15 offset1:4
	s_waitcnt lgkmcnt(0)
	v_add_f32_e32 v7, v9, v7
	v_add_f32_e32 v8, v10, v8
	ds_write_b64 v15, v[7:8]
.LBB167_17:
	s_or_b64 exec, exec, s[0:1]
	v_cmp_gt_u16_e32 vcc, 2, v16
	s_waitcnt lgkmcnt(0)
	s_barrier
	s_and_saveexec_b64 s[0:1], vcc
	s_cbranch_execz .LBB167_19
; %bb.18:
	ds_read2_b64 v[7:10], v15 offset1:2
	s_waitcnt lgkmcnt(0)
	v_add_f32_e32 v7, v9, v7
	v_add_f32_e32 v8, v10, v8
	ds_write_b64 v15, v[7:8]
.LBB167_19:
	s_or_b64 exec, exec, s[0:1]
	v_cmp_gt_u32_e32 vcc, 24, v0
	v_mov_b32_e32 v8, v6
	v_mov_b32_e32 v7, v5
	s_waitcnt lgkmcnt(0)
	s_barrier
	s_and_saveexec_b64 s[0:1], vcc
	s_cbranch_execz .LBB167_21
; %bb.20:
	s_movk_i32 s2, 0xb8
	v_mad_u32_u24 v7, v0, s2, v15
	ds_read2_b64 v[7:10], v7 offset1:1
	s_waitcnt lgkmcnt(0)
	v_add_f32_e32 v7, v9, v7
	v_add_f32_e32 v8, v10, v8
.LBB167_21:
	s_or_b64 exec, exec, s[0:1]
	s_branch .LBB167_34
.LBB167_22:
                                        ; implicit-def: $vgpr8
                                        ; implicit-def: $vgpr7
	s_cbranch_execz .LBB167_34
; %bb.23:
	s_movk_i32 s0, 0xc0
	v_cmp_gt_u32_e32 vcc, s0, v0
	s_and_saveexec_b64 s[0:1], vcc
	s_cbranch_execz .LBB167_25
; %bb.24:
	ds_read2st64_b64 v[7:10], v15 offset1:6
	s_waitcnt lgkmcnt(0)
	v_add_f32_e32 v7, v9, v7
	v_add_f32_e32 v8, v10, v8
	ds_write_b64 v15, v[7:8]
.LBB167_25:
	s_or_b64 exec, exec, s[0:1]
	s_waitcnt lgkmcnt(0)
	s_barrier
	s_and_saveexec_b64 s[0:1], vcc
	s_cbranch_execz .LBB167_27
; %bb.26:
	ds_read2st64_b64 v[7:10], v15 offset1:3
	s_waitcnt lgkmcnt(0)
	v_add_f32_e32 v7, v9, v7
	v_add_f32_e32 v8, v10, v8
	ds_write_b64 v15, v[7:8]
.LBB167_27:
	s_or_b64 exec, exec, s[0:1]
	s_movk_i32 s0, 0x60
	v_cmp_gt_u32_e32 vcc, s0, v0
	s_waitcnt lgkmcnt(0)
	s_barrier
	s_and_saveexec_b64 s[0:1], vcc
	s_cbranch_execz .LBB167_29
; %bb.28:
	ds_read2_b64 v[7:10], v15 offset1:96
	s_waitcnt lgkmcnt(0)
	v_add_f32_e32 v7, v9, v7
	v_add_f32_e32 v8, v10, v8
	ds_write_b64 v15, v[7:8]
.LBB167_29:
	s_or_b64 exec, exec, s[0:1]
	v_cmp_gt_u32_e32 vcc, 48, v0
	s_waitcnt lgkmcnt(0)
	s_barrier
	s_and_saveexec_b64 s[0:1], vcc
	s_cbranch_execz .LBB167_31
; %bb.30:
	ds_read2_b64 v[7:10], v15 offset1:48
	s_waitcnt lgkmcnt(0)
	v_add_f32_e32 v7, v9, v7
	v_add_f32_e32 v8, v10, v8
	ds_write_b64 v15, v[7:8]
.LBB167_31:
	s_or_b64 exec, exec, s[0:1]
	v_cmp_gt_u32_e32 vcc, 24, v0
	s_waitcnt lgkmcnt(0)
	s_and_saveexec_b64 s[0:1], vcc
	s_cbranch_execz .LBB167_33
; %bb.32:
	ds_read2_b64 v[5:8], v15 offset1:24
	s_waitcnt lgkmcnt(0)
	v_add_f32_e32 v5, v7, v5
	v_add_f32_e32 v6, v8, v6
.LBB167_33:
	s_or_b64 exec, exec, s[0:1]
	v_mov_b32_e32 v8, v6
	v_mov_b32_e32 v7, v5
.LBB167_34:
	v_cmp_gt_u32_e32 vcc, 24, v0
	s_and_b64 exec, exec, vcc
	s_cbranch_execz .LBB167_39
; %bb.35:
	v_cmp_eq_f32_e32 vcc, 0, v1
	v_cmp_eq_f32_e64 s[0:1], 0, v2
	v_mul_f32_e64 v5, v8, -v4
	v_mul_f32_e32 v6, v3, v8
	s_and_b64 s[0:1], vcc, s[0:1]
	v_fmac_f32_e32 v5, v3, v7
	v_fmac_f32_e32 v6, v4, v7
	s_mul_i32 s2, s7, 0xc0
	s_mul_hi_u32 s3, s6, 0xc0
	s_mul_i32 s4, s6, 0xc0
	s_and_saveexec_b64 s[6:7], s[0:1]
	s_xor_b64 s[0:1], exec, s[6:7]
	s_cbranch_execz .LBB167_37
; %bb.36:
	s_add_i32 s5, s3, s2
	s_add_u32 s6, s12, s4
	s_addc_u32 s7, s13, s5
	global_store_dwordx2 v15, v[5:6], s[6:7]
                                        ; implicit-def: $vgpr15
                                        ; implicit-def: $vgpr1_vgpr2
                                        ; implicit-def: $vgpr5
.LBB167_37:
	s_andn2_saveexec_b64 s[0:1], s[0:1]
	s_cbranch_execz .LBB167_39
; %bb.38:
	s_add_i32 s3, s3, s2
	s_add_u32 s0, s12, s4
	s_addc_u32 s1, s13, s3
	global_load_dwordx2 v[3:4], v15, s[0:1]
	s_waitcnt vmcnt(0)
	v_fmac_f32_e32 v5, v1, v3
	v_fmac_f32_e32 v6, v2, v3
	v_fma_f32 v5, -v2, v4, v5
	v_fmac_f32_e32 v6, v1, v4
	global_store_dwordx2 v15, v[5:6], s[0:1]
.LBB167_39:
	s_endpgm
	.section	.rodata,"a",@progbits
	.p2align	6, 0x0
	.amdhsa_kernel _ZN9rocsparseL20bsrxmvn_17_32_kernelILj24E21rocsparse_complex_numIfEllS2_S2_S2_EEvT2_20rocsparse_direction_NS_24const_host_device_scalarIT0_EES3_PKS3_PKT1_SC_S9_PKT3_PKT4_S7_PT5_21rocsparse_index_base_b
		.amdhsa_group_segment_fixed_size 4608
		.amdhsa_private_segment_fixed_size 0
		.amdhsa_kernarg_size 104
		.amdhsa_user_sgpr_count 6
		.amdhsa_user_sgpr_private_segment_buffer 1
		.amdhsa_user_sgpr_dispatch_ptr 0
		.amdhsa_user_sgpr_queue_ptr 0
		.amdhsa_user_sgpr_kernarg_segment_ptr 1
		.amdhsa_user_sgpr_dispatch_id 0
		.amdhsa_user_sgpr_flat_scratch_init 0
		.amdhsa_user_sgpr_private_segment_size 0
		.amdhsa_uses_dynamic_stack 0
		.amdhsa_system_sgpr_private_segment_wavefront_offset 0
		.amdhsa_system_sgpr_workgroup_id_x 1
		.amdhsa_system_sgpr_workgroup_id_y 0
		.amdhsa_system_sgpr_workgroup_id_z 0
		.amdhsa_system_sgpr_workgroup_info 0
		.amdhsa_system_vgpr_workitem_id 0
		.amdhsa_next_free_vgpr 25
		.amdhsa_next_free_sgpr 61
		.amdhsa_reserve_vcc 1
		.amdhsa_reserve_flat_scratch 0
		.amdhsa_float_round_mode_32 0
		.amdhsa_float_round_mode_16_64 0
		.amdhsa_float_denorm_mode_32 3
		.amdhsa_float_denorm_mode_16_64 3
		.amdhsa_dx10_clamp 1
		.amdhsa_ieee_mode 1
		.amdhsa_fp16_overflow 0
		.amdhsa_exception_fp_ieee_invalid_op 0
		.amdhsa_exception_fp_denorm_src 0
		.amdhsa_exception_fp_ieee_div_zero 0
		.amdhsa_exception_fp_ieee_overflow 0
		.amdhsa_exception_fp_ieee_underflow 0
		.amdhsa_exception_fp_ieee_inexact 0
		.amdhsa_exception_int_div_zero 0
	.end_amdhsa_kernel
	.section	.text._ZN9rocsparseL20bsrxmvn_17_32_kernelILj24E21rocsparse_complex_numIfEllS2_S2_S2_EEvT2_20rocsparse_direction_NS_24const_host_device_scalarIT0_EES3_PKS3_PKT1_SC_S9_PKT3_PKT4_S7_PT5_21rocsparse_index_base_b,"axG",@progbits,_ZN9rocsparseL20bsrxmvn_17_32_kernelILj24E21rocsparse_complex_numIfEllS2_S2_S2_EEvT2_20rocsparse_direction_NS_24const_host_device_scalarIT0_EES3_PKS3_PKT1_SC_S9_PKT3_PKT4_S7_PT5_21rocsparse_index_base_b,comdat
.Lfunc_end167:
	.size	_ZN9rocsparseL20bsrxmvn_17_32_kernelILj24E21rocsparse_complex_numIfEllS2_S2_S2_EEvT2_20rocsparse_direction_NS_24const_host_device_scalarIT0_EES3_PKS3_PKT1_SC_S9_PKT3_PKT4_S7_PT5_21rocsparse_index_base_b, .Lfunc_end167-_ZN9rocsparseL20bsrxmvn_17_32_kernelILj24E21rocsparse_complex_numIfEllS2_S2_S2_EEvT2_20rocsparse_direction_NS_24const_host_device_scalarIT0_EES3_PKS3_PKT1_SC_S9_PKT3_PKT4_S7_PT5_21rocsparse_index_base_b
                                        ; -- End function
	.set _ZN9rocsparseL20bsrxmvn_17_32_kernelILj24E21rocsparse_complex_numIfEllS2_S2_S2_EEvT2_20rocsparse_direction_NS_24const_host_device_scalarIT0_EES3_PKS3_PKT1_SC_S9_PKT3_PKT4_S7_PT5_21rocsparse_index_base_b.num_vgpr, 22
	.set _ZN9rocsparseL20bsrxmvn_17_32_kernelILj24E21rocsparse_complex_numIfEllS2_S2_S2_EEvT2_20rocsparse_direction_NS_24const_host_device_scalarIT0_EES3_PKS3_PKT1_SC_S9_PKT3_PKT4_S7_PT5_21rocsparse_index_base_b.num_agpr, 0
	.set _ZN9rocsparseL20bsrxmvn_17_32_kernelILj24E21rocsparse_complex_numIfEllS2_S2_S2_EEvT2_20rocsparse_direction_NS_24const_host_device_scalarIT0_EES3_PKS3_PKT1_SC_S9_PKT3_PKT4_S7_PT5_21rocsparse_index_base_b.numbered_sgpr, 22
	.set _ZN9rocsparseL20bsrxmvn_17_32_kernelILj24E21rocsparse_complex_numIfEllS2_S2_S2_EEvT2_20rocsparse_direction_NS_24const_host_device_scalarIT0_EES3_PKS3_PKT1_SC_S9_PKT3_PKT4_S7_PT5_21rocsparse_index_base_b.num_named_barrier, 0
	.set _ZN9rocsparseL20bsrxmvn_17_32_kernelILj24E21rocsparse_complex_numIfEllS2_S2_S2_EEvT2_20rocsparse_direction_NS_24const_host_device_scalarIT0_EES3_PKS3_PKT1_SC_S9_PKT3_PKT4_S7_PT5_21rocsparse_index_base_b.private_seg_size, 0
	.set _ZN9rocsparseL20bsrxmvn_17_32_kernelILj24E21rocsparse_complex_numIfEllS2_S2_S2_EEvT2_20rocsparse_direction_NS_24const_host_device_scalarIT0_EES3_PKS3_PKT1_SC_S9_PKT3_PKT4_S7_PT5_21rocsparse_index_base_b.uses_vcc, 1
	.set _ZN9rocsparseL20bsrxmvn_17_32_kernelILj24E21rocsparse_complex_numIfEllS2_S2_S2_EEvT2_20rocsparse_direction_NS_24const_host_device_scalarIT0_EES3_PKS3_PKT1_SC_S9_PKT3_PKT4_S7_PT5_21rocsparse_index_base_b.uses_flat_scratch, 0
	.set _ZN9rocsparseL20bsrxmvn_17_32_kernelILj24E21rocsparse_complex_numIfEllS2_S2_S2_EEvT2_20rocsparse_direction_NS_24const_host_device_scalarIT0_EES3_PKS3_PKT1_SC_S9_PKT3_PKT4_S7_PT5_21rocsparse_index_base_b.has_dyn_sized_stack, 0
	.set _ZN9rocsparseL20bsrxmvn_17_32_kernelILj24E21rocsparse_complex_numIfEllS2_S2_S2_EEvT2_20rocsparse_direction_NS_24const_host_device_scalarIT0_EES3_PKS3_PKT1_SC_S9_PKT3_PKT4_S7_PT5_21rocsparse_index_base_b.has_recursion, 0
	.set _ZN9rocsparseL20bsrxmvn_17_32_kernelILj24E21rocsparse_complex_numIfEllS2_S2_S2_EEvT2_20rocsparse_direction_NS_24const_host_device_scalarIT0_EES3_PKS3_PKT1_SC_S9_PKT3_PKT4_S7_PT5_21rocsparse_index_base_b.has_indirect_call, 0
	.section	.AMDGPU.csdata,"",@progbits
; Kernel info:
; codeLenInByte = 1464
; TotalNumSgprs: 26
; NumVgprs: 22
; ScratchSize: 0
; MemoryBound: 0
; FloatMode: 240
; IeeeMode: 1
; LDSByteSize: 4608 bytes/workgroup (compile time only)
; SGPRBlocks: 8
; VGPRBlocks: 6
; NumSGPRsForWavesPerEU: 65
; NumVGPRsForWavesPerEU: 25
; Occupancy: 9
; WaveLimiterHint : 1
; COMPUTE_PGM_RSRC2:SCRATCH_EN: 0
; COMPUTE_PGM_RSRC2:USER_SGPR: 6
; COMPUTE_PGM_RSRC2:TRAP_HANDLER: 0
; COMPUTE_PGM_RSRC2:TGID_X_EN: 1
; COMPUTE_PGM_RSRC2:TGID_Y_EN: 0
; COMPUTE_PGM_RSRC2:TGID_Z_EN: 0
; COMPUTE_PGM_RSRC2:TIDIG_COMP_CNT: 0
	.section	.text._ZN9rocsparseL20bsrxmvn_17_32_kernelILj25E21rocsparse_complex_numIfEllS2_S2_S2_EEvT2_20rocsparse_direction_NS_24const_host_device_scalarIT0_EES3_PKS3_PKT1_SC_S9_PKT3_PKT4_S7_PT5_21rocsparse_index_base_b,"axG",@progbits,_ZN9rocsparseL20bsrxmvn_17_32_kernelILj25E21rocsparse_complex_numIfEllS2_S2_S2_EEvT2_20rocsparse_direction_NS_24const_host_device_scalarIT0_EES3_PKS3_PKT1_SC_S9_PKT3_PKT4_S7_PT5_21rocsparse_index_base_b,comdat
	.globl	_ZN9rocsparseL20bsrxmvn_17_32_kernelILj25E21rocsparse_complex_numIfEllS2_S2_S2_EEvT2_20rocsparse_direction_NS_24const_host_device_scalarIT0_EES3_PKS3_PKT1_SC_S9_PKT3_PKT4_S7_PT5_21rocsparse_index_base_b ; -- Begin function _ZN9rocsparseL20bsrxmvn_17_32_kernelILj25E21rocsparse_complex_numIfEllS2_S2_S2_EEvT2_20rocsparse_direction_NS_24const_host_device_scalarIT0_EES3_PKS3_PKT1_SC_S9_PKT3_PKT4_S7_PT5_21rocsparse_index_base_b
	.p2align	8
	.type	_ZN9rocsparseL20bsrxmvn_17_32_kernelILj25E21rocsparse_complex_numIfEllS2_S2_S2_EEvT2_20rocsparse_direction_NS_24const_host_device_scalarIT0_EES3_PKS3_PKT1_SC_S9_PKT3_PKT4_S7_PT5_21rocsparse_index_base_b,@function
_ZN9rocsparseL20bsrxmvn_17_32_kernelILj25E21rocsparse_complex_numIfEllS2_S2_S2_EEvT2_20rocsparse_direction_NS_24const_host_device_scalarIT0_EES3_PKS3_PKT1_SC_S9_PKT3_PKT4_S7_PT5_21rocsparse_index_base_b: ; @_ZN9rocsparseL20bsrxmvn_17_32_kernelILj25E21rocsparse_complex_numIfEllS2_S2_S2_EEvT2_20rocsparse_direction_NS_24const_host_device_scalarIT0_EES3_PKS3_PKT1_SC_S9_PKT3_PKT4_S7_PT5_21rocsparse_index_base_b
; %bb.0:
	s_load_dwordx2 s[0:1], s[4:5], 0x10
	s_load_dwordx2 s[14:15], s[4:5], 0x60
	s_add_u32 s7, s4, 16
	s_addc_u32 s8, s5, 0
	s_add_u32 s9, s4, 0x50
	s_load_dwordx2 s[2:3], s[4:5], 0x50
	s_addc_u32 s10, s5, 0
	s_waitcnt lgkmcnt(0)
	s_bitcmp1_b32 s15, 0
	s_cselect_b32 s1, s8, s1
	s_cselect_b32 s0, s7, s0
	v_mov_b32_e32 v1, s0
	v_mov_b32_e32 v2, s1
	flat_load_dwordx2 v[3:4], v[1:2]
	s_cselect_b32 s0, s10, s3
	s_cselect_b32 s1, s9, s2
	v_mov_b32_e32 v1, s1
	v_mov_b32_e32 v2, s0
	flat_load_dwordx2 v[1:2], v[1:2]
	s_waitcnt vmcnt(0) lgkmcnt(0)
	v_cmp_eq_f32_e32 vcc, 0, v3
	v_cmp_eq_f32_e64 s[0:1], 0, v4
	s_and_b64 s[8:9], vcc, s[0:1]
	s_mov_b64 s[0:1], -1
	s_and_saveexec_b64 s[2:3], s[8:9]
; %bb.1:
	v_cmp_neq_f32_e32 vcc, 1.0, v1
	v_cmp_neq_f32_e64 s[0:1], 0, v2
	s_or_b64 s[0:1], vcc, s[0:1]
	s_orn2_b64 s[0:1], s[0:1], exec
; %bb.2:
	s_or_b64 exec, exec, s[2:3]
	s_and_saveexec_b64 s[2:3], s[0:1]
	s_cbranch_execz .LBB168_39
; %bb.3:
	s_load_dwordx4 s[0:3], s[4:5], 0x20
	s_load_dwordx2 s[8:9], s[4:5], 0x30
	s_mov_b32 s7, 0
	s_waitcnt lgkmcnt(0)
	s_cmp_eq_u64 s[0:1], 0
	s_cbranch_scc1 .LBB168_5
; %bb.4:
	s_lshl_b64 s[6:7], s[6:7], 3
	s_add_u32 s0, s0, s6
	s_addc_u32 s1, s1, s7
	s_load_dwordx2 s[0:1], s[0:1], 0x0
	s_waitcnt lgkmcnt(0)
	s_sub_u32 s6, s0, s14
	s_subb_u32 s7, s1, 0
.LBB168_5:
	s_load_dword s10, s[4:5], 0x8
	s_load_dwordx2 s[12:13], s[4:5], 0x58
	v_mul_u32_u24_e32 v7, 0xa3e, v0
	v_mov_b32_e32 v5, 25
	v_mul_lo_u16_sdwa v5, v7, v5 dst_sel:DWORD dst_unused:UNUSED_PAD src0_sel:WORD_1 src1_sel:DWORD
	s_waitcnt lgkmcnt(0)
	s_cmp_eq_u32 s10, 1
	s_cselect_b64 s[0:1], -1, 0
	s_cmp_lg_u32 s10, 1
	s_cselect_b64 s[16:17], -1, 0
	s_lshl_b64 s[10:11], s[6:7], 3
	s_add_u32 s20, s2, s10
	s_addc_u32 s21, s3, s11
	s_add_u32 s2, s20, 8
	s_addc_u32 s3, s21, 0
	;; [unrolled: 2-line block ×3, first 2 shown]
	s_cmp_eq_u64 s[8:9], 0
	s_cselect_b32 s9, s3, s11
	s_cselect_b32 s8, s2, s10
	s_load_dwordx2 s[2:3], s[8:9], 0x0
	s_load_dwordx2 s[18:19], s[20:21], 0x0
	v_sub_u16_e32 v16, v0, v5
	v_lshlrev_b32_e32 v15, 3, v0
	s_waitcnt lgkmcnt(0)
	v_mov_b32_e32 v6, s3
	v_mov_b32_e32 v5, s2
	v_cmp_ge_i64_e32 vcc, s[18:19], v[5:6]
	v_mov_b32_e32 v6, 0
	v_mov_b32_e32 v5, 0
	s_cbranch_vccnz .LBB168_10
; %bb.6:
	s_load_dwordx4 s[8:11], s[4:5], 0x38
	s_load_dwordx2 s[20:21], s[4:5], 0x48
	s_mov_b32 s4, 0xffff
	s_movk_i32 s5, 0x271
	v_and_b32_sdwa v5, s4, v7 dst_sel:DWORD dst_unused:UNUSED_PAD src0_sel:DWORD src1_sel:WORD_1
	s_sub_u32 s2, s2, s14
	v_subrev_u32_e32 v6, 25, v5
	v_cmp_gt_u32_e32 vcc, s5, v0
	s_subb_u32 s3, s3, 0
	v_cndmask_b32_e32 v5, v6, v5, vcc
	s_sub_u32 s4, s18, s14
	v_cndmask_b32_e64 v5, v16, v5, s[0:1]
	v_mov_b32_e32 v6, 0
	s_subb_u32 s5, s19, 0
	v_lshlrev_b64 v[7:8], 3, v[5:6]
	s_mul_i32 s0, s5, 0x1388
	s_mul_hi_u32 s1, s4, 0x1388
	s_add_i32 s1, s1, s0
	s_mul_i32 s0, s4, 0x1388
	s_waitcnt lgkmcnt(0)
	v_mov_b32_e32 v5, s21
	v_add_co_u32_e32 v7, vcc, s20, v7
	s_add_u32 s0, s10, s0
	v_addc_co_u32_e32 v8, vcc, v5, v8, vcc
	s_addc_u32 s1, s11, s1
	v_mov_b32_e32 v5, s1
	v_add_co_u32_e32 v9, vcc, s0, v15
	v_addc_co_u32_e32 v10, vcc, 0, v5, vcc
	s_movk_i32 s0, 0x270
	v_cmp_lt_u32_e32 vcc, s0, v0
	v_cndmask_b32_e64 v17, 0, 1, vcc
	v_mov_b32_e32 v5, s19
	v_add_co_u32_e32 v11, vcc, s18, v17
	v_addc_co_u32_e32 v5, vcc, 0, v5, vcc
	v_subrev_co_u32_e32 v11, vcc, s14, v11
	v_subbrev_co_u32_e32 v12, vcc, 0, v5, vcc
	v_lshlrev_b64 v[11:12], 3, v[11:12]
	v_mov_b32_e32 v5, s9
	v_add_co_u32_e32 v11, vcc, s8, v11
	v_mov_b32_e32 v14, s3
	v_addc_co_u32_e32 v12, vcc, v5, v12, vcc
	s_movk_i32 s8, 0xc8
	v_mov_b32_e32 v13, s2
	v_mov_b32_e32 v5, v6
	s_branch .LBB168_8
.LBB168_7:                              ;   in Loop: Header=BB168_8 Depth=1
	s_or_b64 exec, exec, s[0:1]
	s_add_u32 s4, s4, 1
	s_addc_u32 s5, s5, 0
	v_cmp_lt_i64_e32 vcc, s[4:5], v[13:14]
	v_add_co_u32_e64 v11, s[0:1], 8, v11
	v_addc_co_u32_e64 v12, s[0:1], 0, v12, s[0:1]
	s_cbranch_vccz .LBB168_10
.LBB168_8:                              ; =>This Inner Loop Header: Depth=1
	v_mov_b32_e32 v19, s5
	v_add_co_u32_e32 v18, vcc, s4, v17
	v_addc_co_u32_e32 v19, vcc, 0, v19, vcc
	v_cmp_gt_i64_e32 vcc, s[2:3], v[18:19]
	s_and_saveexec_b64 s[0:1], vcc
	s_cbranch_execz .LBB168_7
; %bb.9:                                ;   in Loop: Header=BB168_8 Depth=1
	global_load_dwordx2 v[18:19], v[11:12], off
	s_waitcnt vmcnt(0)
	v_subrev_co_u32_e32 v18, vcc, s14, v18
	v_subbrev_co_u32_e32 v20, vcc, 0, v19, vcc
	v_mad_u64_u32 v[18:19], s[10:11], v18, s8, v[7:8]
	v_mad_u64_u32 v[19:20], s[10:11], v20, s8, v[19:20]
	global_load_dwordx2 v[20:21], v[9:10], off
	s_nop 0
	global_load_dwordx2 v[18:19], v[18:19], off
	v_add_co_u32_e32 v9, vcc, 0x1388, v9
	v_addc_co_u32_e32 v10, vcc, 0, v10, vcc
	s_waitcnt vmcnt(0)
	v_fmac_f32_e32 v5, v20, v18
	v_fmac_f32_e32 v6, v21, v18
	v_fma_f32 v5, -v21, v19, v5
	v_fmac_f32_e32 v6, v20, v19
	s_branch .LBB168_7
.LBB168_10:
	s_and_b64 vcc, exec, s[16:17]
	ds_write_b64 v15, v[5:6]
	s_waitcnt lgkmcnt(0)
	s_barrier
	s_cbranch_vccz .LBB168_22
; %bb.11:
	v_cmp_gt_u16_e32 vcc, 9, v16
	s_and_saveexec_b64 s[0:1], vcc
	s_cbranch_execz .LBB168_13
; %bb.12:
	ds_read2_b64 v[7:10], v15 offset1:16
	s_waitcnt lgkmcnt(0)
	v_add_f32_e32 v7, v9, v7
	v_add_f32_e32 v8, v10, v8
	ds_write_b64 v15, v[7:8]
.LBB168_13:
	s_or_b64 exec, exec, s[0:1]
	v_cmp_gt_u16_e32 vcc, 8, v16
	s_waitcnt lgkmcnt(0)
	s_barrier
	s_and_saveexec_b64 s[0:1], vcc
	s_cbranch_execz .LBB168_15
; %bb.14:
	ds_read2_b64 v[7:10], v15 offset1:8
	s_waitcnt lgkmcnt(0)
	v_add_f32_e32 v7, v9, v7
	v_add_f32_e32 v8, v10, v8
	ds_write_b64 v15, v[7:8]
.LBB168_15:
	s_or_b64 exec, exec, s[0:1]
	v_cmp_gt_u16_e32 vcc, 4, v16
	s_waitcnt lgkmcnt(0)
	s_barrier
	;; [unrolled: 13-line block ×3, first 2 shown]
	s_and_saveexec_b64 s[0:1], vcc
	s_cbranch_execz .LBB168_19
; %bb.18:
	ds_read2_b64 v[7:10], v15 offset1:2
	s_waitcnt lgkmcnt(0)
	v_add_f32_e32 v7, v9, v7
	v_add_f32_e32 v8, v10, v8
	ds_write_b64 v15, v[7:8]
.LBB168_19:
	s_or_b64 exec, exec, s[0:1]
	v_cmp_gt_u32_e32 vcc, 25, v0
	v_mov_b32_e32 v8, v6
	v_mov_b32_e32 v7, v5
	s_waitcnt lgkmcnt(0)
	s_barrier
	s_and_saveexec_b64 s[0:1], vcc
	s_cbranch_execz .LBB168_21
; %bb.20:
	s_movk_i32 s2, 0xc0
	v_mad_u32_u24 v7, v0, s2, v15
	ds_read2_b64 v[7:10], v7 offset1:1
	s_waitcnt lgkmcnt(0)
	v_add_f32_e32 v7, v9, v7
	v_add_f32_e32 v8, v10, v8
.LBB168_21:
	s_or_b64 exec, exec, s[0:1]
	s_branch .LBB168_34
.LBB168_22:
                                        ; implicit-def: $vgpr8
                                        ; implicit-def: $vgpr7
	s_cbranch_execz .LBB168_34
; %bb.23:
	s_movk_i32 s0, 0xe1
	v_cmp_gt_u32_e32 vcc, s0, v0
	s_and_saveexec_b64 s[0:1], vcc
	s_cbranch_execz .LBB168_25
; %bb.24:
	ds_read_b64 v[7:8], v15 offset:3200
	ds_read_b64 v[9:10], v15
	s_waitcnt lgkmcnt(0)
	v_add_f32_e32 v7, v7, v9
	v_add_f32_e32 v8, v8, v10
	ds_write_b64 v15, v[7:8]
.LBB168_25:
	s_or_b64 exec, exec, s[0:1]
	s_movk_i32 s0, 0xc8
	v_cmp_gt_u32_e32 vcc, s0, v0
	s_waitcnt lgkmcnt(0)
	s_barrier
	s_and_saveexec_b64 s[0:1], vcc
	s_cbranch_execz .LBB168_27
; %bb.26:
	ds_read2_b64 v[7:10], v15 offset1:200
	s_waitcnt lgkmcnt(0)
	v_add_f32_e32 v7, v9, v7
	v_add_f32_e32 v8, v10, v8
	ds_write_b64 v15, v[7:8]
.LBB168_27:
	s_or_b64 exec, exec, s[0:1]
	s_movk_i32 s0, 0x64
	v_cmp_gt_u32_e32 vcc, s0, v0
	s_waitcnt lgkmcnt(0)
	s_barrier
	s_and_saveexec_b64 s[0:1], vcc
	s_cbranch_execz .LBB168_29
; %bb.28:
	ds_read2_b64 v[7:10], v15 offset1:100
	s_waitcnt lgkmcnt(0)
	v_add_f32_e32 v7, v9, v7
	v_add_f32_e32 v8, v10, v8
	ds_write_b64 v15, v[7:8]
.LBB168_29:
	s_or_b64 exec, exec, s[0:1]
	v_cmp_gt_u32_e32 vcc, 50, v0
	s_waitcnt lgkmcnt(0)
	s_barrier
	s_and_saveexec_b64 s[0:1], vcc
	s_cbranch_execz .LBB168_31
; %bb.30:
	ds_read2_b64 v[7:10], v15 offset1:50
	s_waitcnt lgkmcnt(0)
	v_add_f32_e32 v7, v9, v7
	v_add_f32_e32 v8, v10, v8
	ds_write_b64 v15, v[7:8]
.LBB168_31:
	s_or_b64 exec, exec, s[0:1]
	v_cmp_gt_u32_e32 vcc, 25, v0
	s_waitcnt lgkmcnt(0)
	s_and_saveexec_b64 s[0:1], vcc
	s_cbranch_execz .LBB168_33
; %bb.32:
	ds_read2_b64 v[5:8], v15 offset1:25
	s_waitcnt lgkmcnt(0)
	v_add_f32_e32 v5, v7, v5
	v_add_f32_e32 v6, v8, v6
.LBB168_33:
	s_or_b64 exec, exec, s[0:1]
	v_mov_b32_e32 v8, v6
	v_mov_b32_e32 v7, v5
.LBB168_34:
	v_cmp_gt_u32_e32 vcc, 25, v0
	s_and_b64 exec, exec, vcc
	s_cbranch_execz .LBB168_39
; %bb.35:
	v_cmp_eq_f32_e32 vcc, 0, v1
	v_cmp_eq_f32_e64 s[0:1], 0, v2
	v_mul_f32_e64 v5, v8, -v4
	v_mul_f32_e32 v6, v3, v8
	s_and_b64 s[0:1], vcc, s[0:1]
	v_fmac_f32_e32 v5, v3, v7
	v_fmac_f32_e32 v6, v4, v7
	s_mul_i32 s2, s7, 0xc8
	s_mul_hi_u32 s3, s6, 0xc8
	s_mul_i32 s4, s6, 0xc8
	s_and_saveexec_b64 s[6:7], s[0:1]
	s_xor_b64 s[0:1], exec, s[6:7]
	s_cbranch_execz .LBB168_37
; %bb.36:
	s_add_i32 s5, s3, s2
	s_add_u32 s6, s12, s4
	s_addc_u32 s7, s13, s5
	global_store_dwordx2 v15, v[5:6], s[6:7]
                                        ; implicit-def: $vgpr15
                                        ; implicit-def: $vgpr1_vgpr2
                                        ; implicit-def: $vgpr5
.LBB168_37:
	s_andn2_saveexec_b64 s[0:1], s[0:1]
	s_cbranch_execz .LBB168_39
; %bb.38:
	s_add_i32 s3, s3, s2
	s_add_u32 s0, s12, s4
	s_addc_u32 s1, s13, s3
	global_load_dwordx2 v[3:4], v15, s[0:1]
	s_waitcnt vmcnt(0)
	v_fmac_f32_e32 v5, v1, v3
	v_fmac_f32_e32 v6, v2, v3
	v_fma_f32 v5, -v2, v4, v5
	v_fmac_f32_e32 v6, v1, v4
	global_store_dwordx2 v15, v[5:6], s[0:1]
.LBB168_39:
	s_endpgm
	.section	.rodata,"a",@progbits
	.p2align	6, 0x0
	.amdhsa_kernel _ZN9rocsparseL20bsrxmvn_17_32_kernelILj25E21rocsparse_complex_numIfEllS2_S2_S2_EEvT2_20rocsparse_direction_NS_24const_host_device_scalarIT0_EES3_PKS3_PKT1_SC_S9_PKT3_PKT4_S7_PT5_21rocsparse_index_base_b
		.amdhsa_group_segment_fixed_size 5000
		.amdhsa_private_segment_fixed_size 0
		.amdhsa_kernarg_size 104
		.amdhsa_user_sgpr_count 6
		.amdhsa_user_sgpr_private_segment_buffer 1
		.amdhsa_user_sgpr_dispatch_ptr 0
		.amdhsa_user_sgpr_queue_ptr 0
		.amdhsa_user_sgpr_kernarg_segment_ptr 1
		.amdhsa_user_sgpr_dispatch_id 0
		.amdhsa_user_sgpr_flat_scratch_init 0
		.amdhsa_user_sgpr_private_segment_size 0
		.amdhsa_uses_dynamic_stack 0
		.amdhsa_system_sgpr_private_segment_wavefront_offset 0
		.amdhsa_system_sgpr_workgroup_id_x 1
		.amdhsa_system_sgpr_workgroup_id_y 0
		.amdhsa_system_sgpr_workgroup_id_z 0
		.amdhsa_system_sgpr_workgroup_info 0
		.amdhsa_system_vgpr_workitem_id 0
		.amdhsa_next_free_vgpr 22
		.amdhsa_next_free_sgpr 22
		.amdhsa_reserve_vcc 1
		.amdhsa_reserve_flat_scratch 0
		.amdhsa_float_round_mode_32 0
		.amdhsa_float_round_mode_16_64 0
		.amdhsa_float_denorm_mode_32 3
		.amdhsa_float_denorm_mode_16_64 3
		.amdhsa_dx10_clamp 1
		.amdhsa_ieee_mode 1
		.amdhsa_fp16_overflow 0
		.amdhsa_exception_fp_ieee_invalid_op 0
		.amdhsa_exception_fp_denorm_src 0
		.amdhsa_exception_fp_ieee_div_zero 0
		.amdhsa_exception_fp_ieee_overflow 0
		.amdhsa_exception_fp_ieee_underflow 0
		.amdhsa_exception_fp_ieee_inexact 0
		.amdhsa_exception_int_div_zero 0
	.end_amdhsa_kernel
	.section	.text._ZN9rocsparseL20bsrxmvn_17_32_kernelILj25E21rocsparse_complex_numIfEllS2_S2_S2_EEvT2_20rocsparse_direction_NS_24const_host_device_scalarIT0_EES3_PKS3_PKT1_SC_S9_PKT3_PKT4_S7_PT5_21rocsparse_index_base_b,"axG",@progbits,_ZN9rocsparseL20bsrxmvn_17_32_kernelILj25E21rocsparse_complex_numIfEllS2_S2_S2_EEvT2_20rocsparse_direction_NS_24const_host_device_scalarIT0_EES3_PKS3_PKT1_SC_S9_PKT3_PKT4_S7_PT5_21rocsparse_index_base_b,comdat
.Lfunc_end168:
	.size	_ZN9rocsparseL20bsrxmvn_17_32_kernelILj25E21rocsparse_complex_numIfEllS2_S2_S2_EEvT2_20rocsparse_direction_NS_24const_host_device_scalarIT0_EES3_PKS3_PKT1_SC_S9_PKT3_PKT4_S7_PT5_21rocsparse_index_base_b, .Lfunc_end168-_ZN9rocsparseL20bsrxmvn_17_32_kernelILj25E21rocsparse_complex_numIfEllS2_S2_S2_EEvT2_20rocsparse_direction_NS_24const_host_device_scalarIT0_EES3_PKS3_PKT1_SC_S9_PKT3_PKT4_S7_PT5_21rocsparse_index_base_b
                                        ; -- End function
	.set _ZN9rocsparseL20bsrxmvn_17_32_kernelILj25E21rocsparse_complex_numIfEllS2_S2_S2_EEvT2_20rocsparse_direction_NS_24const_host_device_scalarIT0_EES3_PKS3_PKT1_SC_S9_PKT3_PKT4_S7_PT5_21rocsparse_index_base_b.num_vgpr, 22
	.set _ZN9rocsparseL20bsrxmvn_17_32_kernelILj25E21rocsparse_complex_numIfEllS2_S2_S2_EEvT2_20rocsparse_direction_NS_24const_host_device_scalarIT0_EES3_PKS3_PKT1_SC_S9_PKT3_PKT4_S7_PT5_21rocsparse_index_base_b.num_agpr, 0
	.set _ZN9rocsparseL20bsrxmvn_17_32_kernelILj25E21rocsparse_complex_numIfEllS2_S2_S2_EEvT2_20rocsparse_direction_NS_24const_host_device_scalarIT0_EES3_PKS3_PKT1_SC_S9_PKT3_PKT4_S7_PT5_21rocsparse_index_base_b.numbered_sgpr, 22
	.set _ZN9rocsparseL20bsrxmvn_17_32_kernelILj25E21rocsparse_complex_numIfEllS2_S2_S2_EEvT2_20rocsparse_direction_NS_24const_host_device_scalarIT0_EES3_PKS3_PKT1_SC_S9_PKT3_PKT4_S7_PT5_21rocsparse_index_base_b.num_named_barrier, 0
	.set _ZN9rocsparseL20bsrxmvn_17_32_kernelILj25E21rocsparse_complex_numIfEllS2_S2_S2_EEvT2_20rocsparse_direction_NS_24const_host_device_scalarIT0_EES3_PKS3_PKT1_SC_S9_PKT3_PKT4_S7_PT5_21rocsparse_index_base_b.private_seg_size, 0
	.set _ZN9rocsparseL20bsrxmvn_17_32_kernelILj25E21rocsparse_complex_numIfEllS2_S2_S2_EEvT2_20rocsparse_direction_NS_24const_host_device_scalarIT0_EES3_PKS3_PKT1_SC_S9_PKT3_PKT4_S7_PT5_21rocsparse_index_base_b.uses_vcc, 1
	.set _ZN9rocsparseL20bsrxmvn_17_32_kernelILj25E21rocsparse_complex_numIfEllS2_S2_S2_EEvT2_20rocsparse_direction_NS_24const_host_device_scalarIT0_EES3_PKS3_PKT1_SC_S9_PKT3_PKT4_S7_PT5_21rocsparse_index_base_b.uses_flat_scratch, 0
	.set _ZN9rocsparseL20bsrxmvn_17_32_kernelILj25E21rocsparse_complex_numIfEllS2_S2_S2_EEvT2_20rocsparse_direction_NS_24const_host_device_scalarIT0_EES3_PKS3_PKT1_SC_S9_PKT3_PKT4_S7_PT5_21rocsparse_index_base_b.has_dyn_sized_stack, 0
	.set _ZN9rocsparseL20bsrxmvn_17_32_kernelILj25E21rocsparse_complex_numIfEllS2_S2_S2_EEvT2_20rocsparse_direction_NS_24const_host_device_scalarIT0_EES3_PKS3_PKT1_SC_S9_PKT3_PKT4_S7_PT5_21rocsparse_index_base_b.has_recursion, 0
	.set _ZN9rocsparseL20bsrxmvn_17_32_kernelILj25E21rocsparse_complex_numIfEllS2_S2_S2_EEvT2_20rocsparse_direction_NS_24const_host_device_scalarIT0_EES3_PKS3_PKT1_SC_S9_PKT3_PKT4_S7_PT5_21rocsparse_index_base_b.has_indirect_call, 0
	.section	.AMDGPU.csdata,"",@progbits
; Kernel info:
; codeLenInByte = 1484
; TotalNumSgprs: 26
; NumVgprs: 22
; ScratchSize: 0
; MemoryBound: 0
; FloatMode: 240
; IeeeMode: 1
; LDSByteSize: 5000 bytes/workgroup (compile time only)
; SGPRBlocks: 3
; VGPRBlocks: 5
; NumSGPRsForWavesPerEU: 26
; NumVGPRsForWavesPerEU: 22
; Occupancy: 10
; WaveLimiterHint : 1
; COMPUTE_PGM_RSRC2:SCRATCH_EN: 0
; COMPUTE_PGM_RSRC2:USER_SGPR: 6
; COMPUTE_PGM_RSRC2:TRAP_HANDLER: 0
; COMPUTE_PGM_RSRC2:TGID_X_EN: 1
; COMPUTE_PGM_RSRC2:TGID_Y_EN: 0
; COMPUTE_PGM_RSRC2:TGID_Z_EN: 0
; COMPUTE_PGM_RSRC2:TIDIG_COMP_CNT: 0
	.section	.text._ZN9rocsparseL20bsrxmvn_17_32_kernelILj26E21rocsparse_complex_numIfEllS2_S2_S2_EEvT2_20rocsparse_direction_NS_24const_host_device_scalarIT0_EES3_PKS3_PKT1_SC_S9_PKT3_PKT4_S7_PT5_21rocsparse_index_base_b,"axG",@progbits,_ZN9rocsparseL20bsrxmvn_17_32_kernelILj26E21rocsparse_complex_numIfEllS2_S2_S2_EEvT2_20rocsparse_direction_NS_24const_host_device_scalarIT0_EES3_PKS3_PKT1_SC_S9_PKT3_PKT4_S7_PT5_21rocsparse_index_base_b,comdat
	.globl	_ZN9rocsparseL20bsrxmvn_17_32_kernelILj26E21rocsparse_complex_numIfEllS2_S2_S2_EEvT2_20rocsparse_direction_NS_24const_host_device_scalarIT0_EES3_PKS3_PKT1_SC_S9_PKT3_PKT4_S7_PT5_21rocsparse_index_base_b ; -- Begin function _ZN9rocsparseL20bsrxmvn_17_32_kernelILj26E21rocsparse_complex_numIfEllS2_S2_S2_EEvT2_20rocsparse_direction_NS_24const_host_device_scalarIT0_EES3_PKS3_PKT1_SC_S9_PKT3_PKT4_S7_PT5_21rocsparse_index_base_b
	.p2align	8
	.type	_ZN9rocsparseL20bsrxmvn_17_32_kernelILj26E21rocsparse_complex_numIfEllS2_S2_S2_EEvT2_20rocsparse_direction_NS_24const_host_device_scalarIT0_EES3_PKS3_PKT1_SC_S9_PKT3_PKT4_S7_PT5_21rocsparse_index_base_b,@function
_ZN9rocsparseL20bsrxmvn_17_32_kernelILj26E21rocsparse_complex_numIfEllS2_S2_S2_EEvT2_20rocsparse_direction_NS_24const_host_device_scalarIT0_EES3_PKS3_PKT1_SC_S9_PKT3_PKT4_S7_PT5_21rocsparse_index_base_b: ; @_ZN9rocsparseL20bsrxmvn_17_32_kernelILj26E21rocsparse_complex_numIfEllS2_S2_S2_EEvT2_20rocsparse_direction_NS_24const_host_device_scalarIT0_EES3_PKS3_PKT1_SC_S9_PKT3_PKT4_S7_PT5_21rocsparse_index_base_b
; %bb.0:
	s_load_dwordx2 s[0:1], s[4:5], 0x10
	s_load_dwordx2 s[14:15], s[4:5], 0x60
	s_add_u32 s7, s4, 16
	s_addc_u32 s8, s5, 0
	s_add_u32 s9, s4, 0x50
	s_load_dwordx2 s[2:3], s[4:5], 0x50
	s_addc_u32 s10, s5, 0
	s_waitcnt lgkmcnt(0)
	s_bitcmp1_b32 s15, 0
	s_cselect_b32 s1, s8, s1
	s_cselect_b32 s0, s7, s0
	v_mov_b32_e32 v1, s0
	v_mov_b32_e32 v2, s1
	flat_load_dwordx2 v[3:4], v[1:2]
	s_cselect_b32 s0, s10, s3
	s_cselect_b32 s1, s9, s2
	v_mov_b32_e32 v1, s1
	v_mov_b32_e32 v2, s0
	flat_load_dwordx2 v[1:2], v[1:2]
	s_waitcnt vmcnt(0) lgkmcnt(0)
	v_cmp_eq_f32_e32 vcc, 0, v3
	v_cmp_eq_f32_e64 s[0:1], 0, v4
	s_and_b64 s[8:9], vcc, s[0:1]
	s_mov_b64 s[0:1], -1
	s_and_saveexec_b64 s[2:3], s[8:9]
; %bb.1:
	v_cmp_neq_f32_e32 vcc, 1.0, v1
	v_cmp_neq_f32_e64 s[0:1], 0, v2
	s_or_b64 s[0:1], vcc, s[0:1]
	s_orn2_b64 s[0:1], s[0:1], exec
; %bb.2:
	s_or_b64 exec, exec, s[2:3]
	s_and_saveexec_b64 s[2:3], s[0:1]
	s_cbranch_execz .LBB169_39
; %bb.3:
	s_load_dwordx4 s[0:3], s[4:5], 0x20
	s_load_dwordx2 s[8:9], s[4:5], 0x30
	s_mov_b32 s7, 0
	s_waitcnt lgkmcnt(0)
	s_cmp_eq_u64 s[0:1], 0
	s_cbranch_scc1 .LBB169_5
; %bb.4:
	s_lshl_b64 s[6:7], s[6:7], 3
	s_add_u32 s0, s0, s6
	s_addc_u32 s1, s1, s7
	s_load_dwordx2 s[0:1], s[0:1], 0x0
	s_waitcnt lgkmcnt(0)
	s_sub_u32 s6, s0, s14
	s_subb_u32 s7, s1, 0
.LBB169_5:
	s_load_dword s10, s[4:5], 0x8
	s_load_dwordx2 s[12:13], s[4:5], 0x58
	v_mul_u32_u24_e32 v7, 0x9d9, v0
	v_mov_b32_e32 v5, 26
	v_mul_lo_u16_sdwa v5, v7, v5 dst_sel:DWORD dst_unused:UNUSED_PAD src0_sel:WORD_1 src1_sel:DWORD
	s_waitcnt lgkmcnt(0)
	s_cmp_eq_u32 s10, 1
	s_cselect_b64 s[0:1], -1, 0
	s_cmp_lg_u32 s10, 1
	s_cselect_b64 s[16:17], -1, 0
	s_lshl_b64 s[10:11], s[6:7], 3
	s_add_u32 s20, s2, s10
	s_addc_u32 s21, s3, s11
	s_add_u32 s2, s20, 8
	s_addc_u32 s3, s21, 0
	;; [unrolled: 2-line block ×3, first 2 shown]
	s_cmp_eq_u64 s[8:9], 0
	s_cselect_b32 s9, s3, s11
	s_cselect_b32 s8, s2, s10
	s_load_dwordx2 s[2:3], s[8:9], 0x0
	s_load_dwordx2 s[18:19], s[20:21], 0x0
	v_sub_u16_e32 v16, v0, v5
	v_lshlrev_b32_e32 v15, 3, v0
	s_waitcnt lgkmcnt(0)
	v_mov_b32_e32 v6, s3
	v_mov_b32_e32 v5, s2
	v_cmp_ge_i64_e32 vcc, s[18:19], v[5:6]
	v_mov_b32_e32 v6, 0
	v_mov_b32_e32 v5, 0
	s_cbranch_vccnz .LBB169_10
; %bb.6:
	s_load_dwordx4 s[8:11], s[4:5], 0x38
	s_load_dwordx2 s[20:21], s[4:5], 0x48
	s_mov_b32 s4, 0xffff
	s_movk_i32 s5, 0x2a4
	v_and_b32_sdwa v5, s4, v7 dst_sel:DWORD dst_unused:UNUSED_PAD src0_sel:DWORD src1_sel:WORD_1
	s_sub_u32 s2, s2, s14
	v_subrev_u32_e32 v6, 26, v5
	v_cmp_gt_u32_e32 vcc, s5, v0
	s_subb_u32 s3, s3, 0
	v_cndmask_b32_e32 v5, v6, v5, vcc
	s_sub_u32 s4, s18, s14
	v_cndmask_b32_e64 v5, v16, v5, s[0:1]
	v_mov_b32_e32 v6, 0
	s_subb_u32 s5, s19, 0
	v_lshlrev_b64 v[7:8], 3, v[5:6]
	s_mul_i32 s0, s5, 0x1520
	s_mul_hi_u32 s1, s4, 0x1520
	s_add_i32 s1, s1, s0
	s_mul_i32 s0, s4, 0x1520
	s_waitcnt lgkmcnt(0)
	v_mov_b32_e32 v5, s21
	v_add_co_u32_e32 v7, vcc, s20, v7
	s_add_u32 s0, s10, s0
	v_addc_co_u32_e32 v8, vcc, v5, v8, vcc
	s_addc_u32 s1, s11, s1
	v_mov_b32_e32 v5, s1
	v_add_co_u32_e32 v9, vcc, s0, v15
	v_addc_co_u32_e32 v10, vcc, 0, v5, vcc
	s_movk_i32 s0, 0x2a3
	v_cmp_lt_u32_e32 vcc, s0, v0
	v_cndmask_b32_e64 v17, 0, 1, vcc
	v_mov_b32_e32 v5, s19
	v_add_co_u32_e32 v11, vcc, s18, v17
	v_addc_co_u32_e32 v5, vcc, 0, v5, vcc
	v_subrev_co_u32_e32 v11, vcc, s14, v11
	v_subbrev_co_u32_e32 v12, vcc, 0, v5, vcc
	v_lshlrev_b64 v[11:12], 3, v[11:12]
	v_mov_b32_e32 v5, s9
	v_add_co_u32_e32 v11, vcc, s8, v11
	v_mov_b32_e32 v14, s3
	v_addc_co_u32_e32 v12, vcc, v5, v12, vcc
	s_movk_i32 s8, 0xd0
	v_mov_b32_e32 v13, s2
	v_mov_b32_e32 v5, v6
	s_branch .LBB169_8
.LBB169_7:                              ;   in Loop: Header=BB169_8 Depth=1
	s_or_b64 exec, exec, s[0:1]
	s_add_u32 s4, s4, 1
	s_addc_u32 s5, s5, 0
	v_cmp_lt_i64_e32 vcc, s[4:5], v[13:14]
	v_add_co_u32_e64 v11, s[0:1], 8, v11
	v_addc_co_u32_e64 v12, s[0:1], 0, v12, s[0:1]
	s_cbranch_vccz .LBB169_10
.LBB169_8:                              ; =>This Inner Loop Header: Depth=1
	v_mov_b32_e32 v19, s5
	v_add_co_u32_e32 v18, vcc, s4, v17
	v_addc_co_u32_e32 v19, vcc, 0, v19, vcc
	v_cmp_gt_i64_e32 vcc, s[2:3], v[18:19]
	s_and_saveexec_b64 s[0:1], vcc
	s_cbranch_execz .LBB169_7
; %bb.9:                                ;   in Loop: Header=BB169_8 Depth=1
	global_load_dwordx2 v[18:19], v[11:12], off
	s_waitcnt vmcnt(0)
	v_subrev_co_u32_e32 v18, vcc, s14, v18
	v_subbrev_co_u32_e32 v20, vcc, 0, v19, vcc
	v_mad_u64_u32 v[18:19], s[10:11], v18, s8, v[7:8]
	v_mad_u64_u32 v[19:20], s[10:11], v20, s8, v[19:20]
	global_load_dwordx2 v[20:21], v[9:10], off
	s_nop 0
	global_load_dwordx2 v[18:19], v[18:19], off
	v_add_co_u32_e32 v9, vcc, 0x1520, v9
	v_addc_co_u32_e32 v10, vcc, 0, v10, vcc
	s_waitcnt vmcnt(0)
	v_fmac_f32_e32 v5, v20, v18
	v_fmac_f32_e32 v6, v21, v18
	v_fma_f32 v5, -v21, v19, v5
	v_fmac_f32_e32 v6, v20, v19
	s_branch .LBB169_7
.LBB169_10:
	s_and_b64 vcc, exec, s[16:17]
	ds_write_b64 v15, v[5:6]
	s_waitcnt lgkmcnt(0)
	s_barrier
	s_cbranch_vccz .LBB169_22
; %bb.11:
	v_cmp_gt_u16_e32 vcc, 10, v16
	s_and_saveexec_b64 s[0:1], vcc
	s_cbranch_execz .LBB169_13
; %bb.12:
	ds_read2_b64 v[7:10], v15 offset1:16
	s_waitcnt lgkmcnt(0)
	v_add_f32_e32 v7, v9, v7
	v_add_f32_e32 v8, v10, v8
	ds_write_b64 v15, v[7:8]
.LBB169_13:
	s_or_b64 exec, exec, s[0:1]
	v_cmp_gt_u16_e32 vcc, 8, v16
	s_waitcnt lgkmcnt(0)
	s_barrier
	s_and_saveexec_b64 s[0:1], vcc
	s_cbranch_execz .LBB169_15
; %bb.14:
	ds_read2_b64 v[7:10], v15 offset1:8
	s_waitcnt lgkmcnt(0)
	v_add_f32_e32 v7, v9, v7
	v_add_f32_e32 v8, v10, v8
	ds_write_b64 v15, v[7:8]
.LBB169_15:
	s_or_b64 exec, exec, s[0:1]
	v_cmp_gt_u16_e32 vcc, 4, v16
	s_waitcnt lgkmcnt(0)
	s_barrier
	;; [unrolled: 13-line block ×3, first 2 shown]
	s_and_saveexec_b64 s[0:1], vcc
	s_cbranch_execz .LBB169_19
; %bb.18:
	ds_read2_b64 v[7:10], v15 offset1:2
	s_waitcnt lgkmcnt(0)
	v_add_f32_e32 v7, v9, v7
	v_add_f32_e32 v8, v10, v8
	ds_write_b64 v15, v[7:8]
.LBB169_19:
	s_or_b64 exec, exec, s[0:1]
	v_cmp_gt_u32_e32 vcc, 26, v0
	v_mov_b32_e32 v8, v6
	v_mov_b32_e32 v7, v5
	s_waitcnt lgkmcnt(0)
	s_barrier
	s_and_saveexec_b64 s[0:1], vcc
	s_cbranch_execz .LBB169_21
; %bb.20:
	s_movk_i32 s2, 0xc8
	v_mad_u32_u24 v7, v0, s2, v15
	ds_read2_b64 v[7:10], v7 offset1:1
	s_waitcnt lgkmcnt(0)
	v_add_f32_e32 v7, v9, v7
	v_add_f32_e32 v8, v10, v8
.LBB169_21:
	s_or_b64 exec, exec, s[0:1]
	s_branch .LBB169_34
.LBB169_22:
                                        ; implicit-def: $vgpr8
                                        ; implicit-def: $vgpr7
	s_cbranch_execz .LBB169_34
; %bb.23:
	s_movk_i32 s0, 0x104
	v_cmp_gt_u32_e32 vcc, s0, v0
	s_and_saveexec_b64 s[0:1], vcc
	s_cbranch_execz .LBB169_25
; %bb.24:
	ds_read_b64 v[7:8], v15 offset:3328
	ds_read_b64 v[9:10], v15
	s_waitcnt lgkmcnt(0)
	v_add_f32_e32 v7, v7, v9
	v_add_f32_e32 v8, v8, v10
	ds_write_b64 v15, v[7:8]
.LBB169_25:
	s_or_b64 exec, exec, s[0:1]
	s_movk_i32 s0, 0xd0
	v_cmp_gt_u32_e32 vcc, s0, v0
	s_waitcnt lgkmcnt(0)
	s_barrier
	s_and_saveexec_b64 s[0:1], vcc
	s_cbranch_execz .LBB169_27
; %bb.26:
	ds_read2_b64 v[7:10], v15 offset1:208
	s_waitcnt lgkmcnt(0)
	v_add_f32_e32 v7, v9, v7
	v_add_f32_e32 v8, v10, v8
	ds_write_b64 v15, v[7:8]
.LBB169_27:
	s_or_b64 exec, exec, s[0:1]
	s_movk_i32 s0, 0x68
	v_cmp_gt_u32_e32 vcc, s0, v0
	s_waitcnt lgkmcnt(0)
	s_barrier
	s_and_saveexec_b64 s[0:1], vcc
	s_cbranch_execz .LBB169_29
; %bb.28:
	ds_read2_b64 v[7:10], v15 offset1:104
	s_waitcnt lgkmcnt(0)
	v_add_f32_e32 v7, v9, v7
	v_add_f32_e32 v8, v10, v8
	ds_write_b64 v15, v[7:8]
.LBB169_29:
	s_or_b64 exec, exec, s[0:1]
	v_cmp_gt_u32_e32 vcc, 52, v0
	s_waitcnt lgkmcnt(0)
	s_barrier
	s_and_saveexec_b64 s[0:1], vcc
	s_cbranch_execz .LBB169_31
; %bb.30:
	ds_read2_b64 v[7:10], v15 offset1:52
	s_waitcnt lgkmcnt(0)
	v_add_f32_e32 v7, v9, v7
	v_add_f32_e32 v8, v10, v8
	ds_write_b64 v15, v[7:8]
.LBB169_31:
	s_or_b64 exec, exec, s[0:1]
	v_cmp_gt_u32_e32 vcc, 26, v0
	s_waitcnt lgkmcnt(0)
	s_and_saveexec_b64 s[0:1], vcc
	s_cbranch_execz .LBB169_33
; %bb.32:
	ds_read2_b64 v[5:8], v15 offset1:26
	s_waitcnt lgkmcnt(0)
	v_add_f32_e32 v5, v7, v5
	v_add_f32_e32 v6, v8, v6
.LBB169_33:
	s_or_b64 exec, exec, s[0:1]
	v_mov_b32_e32 v8, v6
	v_mov_b32_e32 v7, v5
.LBB169_34:
	v_cmp_gt_u32_e32 vcc, 26, v0
	s_and_b64 exec, exec, vcc
	s_cbranch_execz .LBB169_39
; %bb.35:
	v_cmp_eq_f32_e32 vcc, 0, v1
	v_cmp_eq_f32_e64 s[0:1], 0, v2
	v_mul_f32_e64 v5, v8, -v4
	v_mul_f32_e32 v6, v3, v8
	s_and_b64 s[0:1], vcc, s[0:1]
	v_fmac_f32_e32 v5, v3, v7
	v_fmac_f32_e32 v6, v4, v7
	s_mul_i32 s2, s7, 0xd0
	s_mul_hi_u32 s3, s6, 0xd0
	s_mul_i32 s4, s6, 0xd0
	s_and_saveexec_b64 s[6:7], s[0:1]
	s_xor_b64 s[0:1], exec, s[6:7]
	s_cbranch_execz .LBB169_37
; %bb.36:
	s_add_i32 s5, s3, s2
	s_add_u32 s6, s12, s4
	s_addc_u32 s7, s13, s5
	global_store_dwordx2 v15, v[5:6], s[6:7]
                                        ; implicit-def: $vgpr15
                                        ; implicit-def: $vgpr1_vgpr2
                                        ; implicit-def: $vgpr5
.LBB169_37:
	s_andn2_saveexec_b64 s[0:1], s[0:1]
	s_cbranch_execz .LBB169_39
; %bb.38:
	s_add_i32 s3, s3, s2
	s_add_u32 s0, s12, s4
	s_addc_u32 s1, s13, s3
	global_load_dwordx2 v[3:4], v15, s[0:1]
	s_waitcnt vmcnt(0)
	v_fmac_f32_e32 v5, v1, v3
	v_fmac_f32_e32 v6, v2, v3
	v_fma_f32 v5, -v2, v4, v5
	v_fmac_f32_e32 v6, v1, v4
	global_store_dwordx2 v15, v[5:6], s[0:1]
.LBB169_39:
	s_endpgm
	.section	.rodata,"a",@progbits
	.p2align	6, 0x0
	.amdhsa_kernel _ZN9rocsparseL20bsrxmvn_17_32_kernelILj26E21rocsparse_complex_numIfEllS2_S2_S2_EEvT2_20rocsparse_direction_NS_24const_host_device_scalarIT0_EES3_PKS3_PKT1_SC_S9_PKT3_PKT4_S7_PT5_21rocsparse_index_base_b
		.amdhsa_group_segment_fixed_size 5408
		.amdhsa_private_segment_fixed_size 0
		.amdhsa_kernarg_size 104
		.amdhsa_user_sgpr_count 6
		.amdhsa_user_sgpr_private_segment_buffer 1
		.amdhsa_user_sgpr_dispatch_ptr 0
		.amdhsa_user_sgpr_queue_ptr 0
		.amdhsa_user_sgpr_kernarg_segment_ptr 1
		.amdhsa_user_sgpr_dispatch_id 0
		.amdhsa_user_sgpr_flat_scratch_init 0
		.amdhsa_user_sgpr_private_segment_size 0
		.amdhsa_uses_dynamic_stack 0
		.amdhsa_system_sgpr_private_segment_wavefront_offset 0
		.amdhsa_system_sgpr_workgroup_id_x 1
		.amdhsa_system_sgpr_workgroup_id_y 0
		.amdhsa_system_sgpr_workgroup_id_z 0
		.amdhsa_system_sgpr_workgroup_info 0
		.amdhsa_system_vgpr_workitem_id 0
		.amdhsa_next_free_vgpr 25
		.amdhsa_next_free_sgpr 61
		.amdhsa_reserve_vcc 1
		.amdhsa_reserve_flat_scratch 0
		.amdhsa_float_round_mode_32 0
		.amdhsa_float_round_mode_16_64 0
		.amdhsa_float_denorm_mode_32 3
		.amdhsa_float_denorm_mode_16_64 3
		.amdhsa_dx10_clamp 1
		.amdhsa_ieee_mode 1
		.amdhsa_fp16_overflow 0
		.amdhsa_exception_fp_ieee_invalid_op 0
		.amdhsa_exception_fp_denorm_src 0
		.amdhsa_exception_fp_ieee_div_zero 0
		.amdhsa_exception_fp_ieee_overflow 0
		.amdhsa_exception_fp_ieee_underflow 0
		.amdhsa_exception_fp_ieee_inexact 0
		.amdhsa_exception_int_div_zero 0
	.end_amdhsa_kernel
	.section	.text._ZN9rocsparseL20bsrxmvn_17_32_kernelILj26E21rocsparse_complex_numIfEllS2_S2_S2_EEvT2_20rocsparse_direction_NS_24const_host_device_scalarIT0_EES3_PKS3_PKT1_SC_S9_PKT3_PKT4_S7_PT5_21rocsparse_index_base_b,"axG",@progbits,_ZN9rocsparseL20bsrxmvn_17_32_kernelILj26E21rocsparse_complex_numIfEllS2_S2_S2_EEvT2_20rocsparse_direction_NS_24const_host_device_scalarIT0_EES3_PKS3_PKT1_SC_S9_PKT3_PKT4_S7_PT5_21rocsparse_index_base_b,comdat
.Lfunc_end169:
	.size	_ZN9rocsparseL20bsrxmvn_17_32_kernelILj26E21rocsparse_complex_numIfEllS2_S2_S2_EEvT2_20rocsparse_direction_NS_24const_host_device_scalarIT0_EES3_PKS3_PKT1_SC_S9_PKT3_PKT4_S7_PT5_21rocsparse_index_base_b, .Lfunc_end169-_ZN9rocsparseL20bsrxmvn_17_32_kernelILj26E21rocsparse_complex_numIfEllS2_S2_S2_EEvT2_20rocsparse_direction_NS_24const_host_device_scalarIT0_EES3_PKS3_PKT1_SC_S9_PKT3_PKT4_S7_PT5_21rocsparse_index_base_b
                                        ; -- End function
	.set _ZN9rocsparseL20bsrxmvn_17_32_kernelILj26E21rocsparse_complex_numIfEllS2_S2_S2_EEvT2_20rocsparse_direction_NS_24const_host_device_scalarIT0_EES3_PKS3_PKT1_SC_S9_PKT3_PKT4_S7_PT5_21rocsparse_index_base_b.num_vgpr, 22
	.set _ZN9rocsparseL20bsrxmvn_17_32_kernelILj26E21rocsparse_complex_numIfEllS2_S2_S2_EEvT2_20rocsparse_direction_NS_24const_host_device_scalarIT0_EES3_PKS3_PKT1_SC_S9_PKT3_PKT4_S7_PT5_21rocsparse_index_base_b.num_agpr, 0
	.set _ZN9rocsparseL20bsrxmvn_17_32_kernelILj26E21rocsparse_complex_numIfEllS2_S2_S2_EEvT2_20rocsparse_direction_NS_24const_host_device_scalarIT0_EES3_PKS3_PKT1_SC_S9_PKT3_PKT4_S7_PT5_21rocsparse_index_base_b.numbered_sgpr, 22
	.set _ZN9rocsparseL20bsrxmvn_17_32_kernelILj26E21rocsparse_complex_numIfEllS2_S2_S2_EEvT2_20rocsparse_direction_NS_24const_host_device_scalarIT0_EES3_PKS3_PKT1_SC_S9_PKT3_PKT4_S7_PT5_21rocsparse_index_base_b.num_named_barrier, 0
	.set _ZN9rocsparseL20bsrxmvn_17_32_kernelILj26E21rocsparse_complex_numIfEllS2_S2_S2_EEvT2_20rocsparse_direction_NS_24const_host_device_scalarIT0_EES3_PKS3_PKT1_SC_S9_PKT3_PKT4_S7_PT5_21rocsparse_index_base_b.private_seg_size, 0
	.set _ZN9rocsparseL20bsrxmvn_17_32_kernelILj26E21rocsparse_complex_numIfEllS2_S2_S2_EEvT2_20rocsparse_direction_NS_24const_host_device_scalarIT0_EES3_PKS3_PKT1_SC_S9_PKT3_PKT4_S7_PT5_21rocsparse_index_base_b.uses_vcc, 1
	.set _ZN9rocsparseL20bsrxmvn_17_32_kernelILj26E21rocsparse_complex_numIfEllS2_S2_S2_EEvT2_20rocsparse_direction_NS_24const_host_device_scalarIT0_EES3_PKS3_PKT1_SC_S9_PKT3_PKT4_S7_PT5_21rocsparse_index_base_b.uses_flat_scratch, 0
	.set _ZN9rocsparseL20bsrxmvn_17_32_kernelILj26E21rocsparse_complex_numIfEllS2_S2_S2_EEvT2_20rocsparse_direction_NS_24const_host_device_scalarIT0_EES3_PKS3_PKT1_SC_S9_PKT3_PKT4_S7_PT5_21rocsparse_index_base_b.has_dyn_sized_stack, 0
	.set _ZN9rocsparseL20bsrxmvn_17_32_kernelILj26E21rocsparse_complex_numIfEllS2_S2_S2_EEvT2_20rocsparse_direction_NS_24const_host_device_scalarIT0_EES3_PKS3_PKT1_SC_S9_PKT3_PKT4_S7_PT5_21rocsparse_index_base_b.has_recursion, 0
	.set _ZN9rocsparseL20bsrxmvn_17_32_kernelILj26E21rocsparse_complex_numIfEllS2_S2_S2_EEvT2_20rocsparse_direction_NS_24const_host_device_scalarIT0_EES3_PKS3_PKT1_SC_S9_PKT3_PKT4_S7_PT5_21rocsparse_index_base_b.has_indirect_call, 0
	.section	.AMDGPU.csdata,"",@progbits
; Kernel info:
; codeLenInByte = 1484
; TotalNumSgprs: 26
; NumVgprs: 22
; ScratchSize: 0
; MemoryBound: 0
; FloatMode: 240
; IeeeMode: 1
; LDSByteSize: 5408 bytes/workgroup (compile time only)
; SGPRBlocks: 8
; VGPRBlocks: 6
; NumSGPRsForWavesPerEU: 65
; NumVGPRsForWavesPerEU: 25
; Occupancy: 9
; WaveLimiterHint : 1
; COMPUTE_PGM_RSRC2:SCRATCH_EN: 0
; COMPUTE_PGM_RSRC2:USER_SGPR: 6
; COMPUTE_PGM_RSRC2:TRAP_HANDLER: 0
; COMPUTE_PGM_RSRC2:TGID_X_EN: 1
; COMPUTE_PGM_RSRC2:TGID_Y_EN: 0
; COMPUTE_PGM_RSRC2:TGID_Z_EN: 0
; COMPUTE_PGM_RSRC2:TIDIG_COMP_CNT: 0
	.section	.text._ZN9rocsparseL20bsrxmvn_17_32_kernelILj27E21rocsparse_complex_numIfEllS2_S2_S2_EEvT2_20rocsparse_direction_NS_24const_host_device_scalarIT0_EES3_PKS3_PKT1_SC_S9_PKT3_PKT4_S7_PT5_21rocsparse_index_base_b,"axG",@progbits,_ZN9rocsparseL20bsrxmvn_17_32_kernelILj27E21rocsparse_complex_numIfEllS2_S2_S2_EEvT2_20rocsparse_direction_NS_24const_host_device_scalarIT0_EES3_PKS3_PKT1_SC_S9_PKT3_PKT4_S7_PT5_21rocsparse_index_base_b,comdat
	.globl	_ZN9rocsparseL20bsrxmvn_17_32_kernelILj27E21rocsparse_complex_numIfEllS2_S2_S2_EEvT2_20rocsparse_direction_NS_24const_host_device_scalarIT0_EES3_PKS3_PKT1_SC_S9_PKT3_PKT4_S7_PT5_21rocsparse_index_base_b ; -- Begin function _ZN9rocsparseL20bsrxmvn_17_32_kernelILj27E21rocsparse_complex_numIfEllS2_S2_S2_EEvT2_20rocsparse_direction_NS_24const_host_device_scalarIT0_EES3_PKS3_PKT1_SC_S9_PKT3_PKT4_S7_PT5_21rocsparse_index_base_b
	.p2align	8
	.type	_ZN9rocsparseL20bsrxmvn_17_32_kernelILj27E21rocsparse_complex_numIfEllS2_S2_S2_EEvT2_20rocsparse_direction_NS_24const_host_device_scalarIT0_EES3_PKS3_PKT1_SC_S9_PKT3_PKT4_S7_PT5_21rocsparse_index_base_b,@function
_ZN9rocsparseL20bsrxmvn_17_32_kernelILj27E21rocsparse_complex_numIfEllS2_S2_S2_EEvT2_20rocsparse_direction_NS_24const_host_device_scalarIT0_EES3_PKS3_PKT1_SC_S9_PKT3_PKT4_S7_PT5_21rocsparse_index_base_b: ; @_ZN9rocsparseL20bsrxmvn_17_32_kernelILj27E21rocsparse_complex_numIfEllS2_S2_S2_EEvT2_20rocsparse_direction_NS_24const_host_device_scalarIT0_EES3_PKS3_PKT1_SC_S9_PKT3_PKT4_S7_PT5_21rocsparse_index_base_b
; %bb.0:
	s_load_dwordx2 s[0:1], s[4:5], 0x10
	s_load_dwordx2 s[14:15], s[4:5], 0x60
	s_add_u32 s7, s4, 16
	s_addc_u32 s8, s5, 0
	s_add_u32 s9, s4, 0x50
	s_load_dwordx2 s[2:3], s[4:5], 0x50
	s_addc_u32 s10, s5, 0
	s_waitcnt lgkmcnt(0)
	s_bitcmp1_b32 s15, 0
	s_cselect_b32 s1, s8, s1
	s_cselect_b32 s0, s7, s0
	v_mov_b32_e32 v1, s0
	v_mov_b32_e32 v2, s1
	flat_load_dwordx2 v[3:4], v[1:2]
	s_cselect_b32 s0, s10, s3
	s_cselect_b32 s1, s9, s2
	v_mov_b32_e32 v1, s1
	v_mov_b32_e32 v2, s0
	flat_load_dwordx2 v[1:2], v[1:2]
	s_waitcnt vmcnt(0) lgkmcnt(0)
	v_cmp_eq_f32_e32 vcc, 0, v3
	v_cmp_eq_f32_e64 s[0:1], 0, v4
	s_and_b64 s[8:9], vcc, s[0:1]
	s_mov_b64 s[0:1], -1
	s_and_saveexec_b64 s[2:3], s[8:9]
; %bb.1:
	v_cmp_neq_f32_e32 vcc, 1.0, v1
	v_cmp_neq_f32_e64 s[0:1], 0, v2
	s_or_b64 s[0:1], vcc, s[0:1]
	s_orn2_b64 s[0:1], s[0:1], exec
; %bb.2:
	s_or_b64 exec, exec, s[2:3]
	s_and_saveexec_b64 s[2:3], s[0:1]
	s_cbranch_execz .LBB170_39
; %bb.3:
	s_load_dwordx4 s[0:3], s[4:5], 0x20
	s_load_dwordx2 s[8:9], s[4:5], 0x30
	s_mov_b32 s7, 0
	s_waitcnt lgkmcnt(0)
	s_cmp_eq_u64 s[0:1], 0
	s_cbranch_scc1 .LBB170_5
; %bb.4:
	s_lshl_b64 s[6:7], s[6:7], 3
	s_add_u32 s0, s0, s6
	s_addc_u32 s1, s1, s7
	s_load_dwordx2 s[0:1], s[0:1], 0x0
	s_waitcnt lgkmcnt(0)
	s_sub_u32 s6, s0, s14
	s_subb_u32 s7, s1, 0
.LBB170_5:
	s_load_dword s10, s[4:5], 0x8
	s_load_dwordx2 s[12:13], s[4:5], 0x58
	v_mul_u32_u24_e32 v7, 0x97c, v0
	v_mov_b32_e32 v5, 27
	v_mul_lo_u16_sdwa v5, v7, v5 dst_sel:DWORD dst_unused:UNUSED_PAD src0_sel:WORD_1 src1_sel:DWORD
	s_waitcnt lgkmcnt(0)
	s_cmp_eq_u32 s10, 1
	s_cselect_b64 s[0:1], -1, 0
	s_cmp_lg_u32 s10, 1
	s_cselect_b64 s[16:17], -1, 0
	s_lshl_b64 s[10:11], s[6:7], 3
	s_add_u32 s20, s2, s10
	s_addc_u32 s21, s3, s11
	s_add_u32 s2, s20, 8
	s_addc_u32 s3, s21, 0
	;; [unrolled: 2-line block ×3, first 2 shown]
	s_cmp_eq_u64 s[8:9], 0
	s_cselect_b32 s9, s3, s11
	s_cselect_b32 s8, s2, s10
	s_load_dwordx2 s[2:3], s[8:9], 0x0
	s_load_dwordx2 s[18:19], s[20:21], 0x0
	v_sub_u16_e32 v16, v0, v5
	v_lshlrev_b32_e32 v15, 3, v0
	s_waitcnt lgkmcnt(0)
	v_mov_b32_e32 v6, s3
	v_mov_b32_e32 v5, s2
	v_cmp_ge_i64_e32 vcc, s[18:19], v[5:6]
	v_mov_b32_e32 v6, 0
	v_mov_b32_e32 v5, 0
	s_cbranch_vccnz .LBB170_10
; %bb.6:
	s_load_dwordx4 s[8:11], s[4:5], 0x38
	s_load_dwordx2 s[20:21], s[4:5], 0x48
	s_mov_b32 s4, 0xffff
	s_movk_i32 s5, 0x2d9
	v_and_b32_sdwa v5, s4, v7 dst_sel:DWORD dst_unused:UNUSED_PAD src0_sel:DWORD src1_sel:WORD_1
	s_sub_u32 s2, s2, s14
	v_subrev_u32_e32 v6, 27, v5
	v_cmp_gt_u32_e32 vcc, s5, v0
	s_subb_u32 s3, s3, 0
	v_cndmask_b32_e32 v5, v6, v5, vcc
	s_sub_u32 s4, s18, s14
	v_cndmask_b32_e64 v5, v16, v5, s[0:1]
	v_mov_b32_e32 v6, 0
	s_subb_u32 s5, s19, 0
	v_lshlrev_b64 v[7:8], 3, v[5:6]
	s_mul_i32 s0, s5, 0x16c8
	s_mul_hi_u32 s1, s4, 0x16c8
	s_add_i32 s1, s1, s0
	s_mul_i32 s0, s4, 0x16c8
	s_waitcnt lgkmcnt(0)
	v_mov_b32_e32 v5, s21
	v_add_co_u32_e32 v7, vcc, s20, v7
	s_add_u32 s0, s10, s0
	v_addc_co_u32_e32 v8, vcc, v5, v8, vcc
	s_addc_u32 s1, s11, s1
	v_mov_b32_e32 v5, s1
	v_add_co_u32_e32 v9, vcc, s0, v15
	v_addc_co_u32_e32 v10, vcc, 0, v5, vcc
	s_movk_i32 s0, 0x2d8
	v_cmp_lt_u32_e32 vcc, s0, v0
	v_cndmask_b32_e64 v17, 0, 1, vcc
	v_mov_b32_e32 v5, s19
	v_add_co_u32_e32 v11, vcc, s18, v17
	v_addc_co_u32_e32 v5, vcc, 0, v5, vcc
	v_subrev_co_u32_e32 v11, vcc, s14, v11
	v_subbrev_co_u32_e32 v12, vcc, 0, v5, vcc
	v_lshlrev_b64 v[11:12], 3, v[11:12]
	v_mov_b32_e32 v5, s9
	v_add_co_u32_e32 v11, vcc, s8, v11
	v_mov_b32_e32 v14, s3
	v_addc_co_u32_e32 v12, vcc, v5, v12, vcc
	s_movk_i32 s8, 0xd8
	v_mov_b32_e32 v13, s2
	v_mov_b32_e32 v5, v6
	s_branch .LBB170_8
.LBB170_7:                              ;   in Loop: Header=BB170_8 Depth=1
	s_or_b64 exec, exec, s[0:1]
	s_add_u32 s4, s4, 1
	s_addc_u32 s5, s5, 0
	v_cmp_lt_i64_e32 vcc, s[4:5], v[13:14]
	v_add_co_u32_e64 v11, s[0:1], 8, v11
	v_addc_co_u32_e64 v12, s[0:1], 0, v12, s[0:1]
	s_cbranch_vccz .LBB170_10
.LBB170_8:                              ; =>This Inner Loop Header: Depth=1
	v_mov_b32_e32 v19, s5
	v_add_co_u32_e32 v18, vcc, s4, v17
	v_addc_co_u32_e32 v19, vcc, 0, v19, vcc
	v_cmp_gt_i64_e32 vcc, s[2:3], v[18:19]
	s_and_saveexec_b64 s[0:1], vcc
	s_cbranch_execz .LBB170_7
; %bb.9:                                ;   in Loop: Header=BB170_8 Depth=1
	global_load_dwordx2 v[18:19], v[11:12], off
	s_waitcnt vmcnt(0)
	v_subrev_co_u32_e32 v18, vcc, s14, v18
	v_subbrev_co_u32_e32 v20, vcc, 0, v19, vcc
	v_mad_u64_u32 v[18:19], s[10:11], v18, s8, v[7:8]
	v_mad_u64_u32 v[19:20], s[10:11], v20, s8, v[19:20]
	global_load_dwordx2 v[20:21], v[9:10], off
	s_nop 0
	global_load_dwordx2 v[18:19], v[18:19], off
	v_add_co_u32_e32 v9, vcc, 0x16c8, v9
	v_addc_co_u32_e32 v10, vcc, 0, v10, vcc
	s_waitcnt vmcnt(0)
	v_fmac_f32_e32 v5, v20, v18
	v_fmac_f32_e32 v6, v21, v18
	v_fma_f32 v5, -v21, v19, v5
	v_fmac_f32_e32 v6, v20, v19
	s_branch .LBB170_7
.LBB170_10:
	s_and_b64 vcc, exec, s[16:17]
	ds_write_b64 v15, v[5:6]
	s_waitcnt lgkmcnt(0)
	s_barrier
	s_cbranch_vccz .LBB170_22
; %bb.11:
	v_cmp_gt_u16_e32 vcc, 11, v16
	s_and_saveexec_b64 s[0:1], vcc
	s_cbranch_execz .LBB170_13
; %bb.12:
	ds_read2_b64 v[7:10], v15 offset1:16
	s_waitcnt lgkmcnt(0)
	v_add_f32_e32 v7, v9, v7
	v_add_f32_e32 v8, v10, v8
	ds_write_b64 v15, v[7:8]
.LBB170_13:
	s_or_b64 exec, exec, s[0:1]
	v_cmp_gt_u16_e32 vcc, 8, v16
	s_waitcnt lgkmcnt(0)
	s_barrier
	s_and_saveexec_b64 s[0:1], vcc
	s_cbranch_execz .LBB170_15
; %bb.14:
	ds_read2_b64 v[7:10], v15 offset1:8
	s_waitcnt lgkmcnt(0)
	v_add_f32_e32 v7, v9, v7
	v_add_f32_e32 v8, v10, v8
	ds_write_b64 v15, v[7:8]
.LBB170_15:
	s_or_b64 exec, exec, s[0:1]
	v_cmp_gt_u16_e32 vcc, 4, v16
	s_waitcnt lgkmcnt(0)
	s_barrier
	;; [unrolled: 13-line block ×3, first 2 shown]
	s_and_saveexec_b64 s[0:1], vcc
	s_cbranch_execz .LBB170_19
; %bb.18:
	ds_read2_b64 v[7:10], v15 offset1:2
	s_waitcnt lgkmcnt(0)
	v_add_f32_e32 v7, v9, v7
	v_add_f32_e32 v8, v10, v8
	ds_write_b64 v15, v[7:8]
.LBB170_19:
	s_or_b64 exec, exec, s[0:1]
	v_cmp_gt_u32_e32 vcc, 27, v0
	v_mov_b32_e32 v8, v6
	v_mov_b32_e32 v7, v5
	s_waitcnt lgkmcnt(0)
	s_barrier
	s_and_saveexec_b64 s[0:1], vcc
	s_cbranch_execz .LBB170_21
; %bb.20:
	s_movk_i32 s2, 0xd0
	v_mad_u32_u24 v7, v0, s2, v15
	ds_read2_b64 v[7:10], v7 offset1:1
	s_waitcnt lgkmcnt(0)
	v_add_f32_e32 v7, v9, v7
	v_add_f32_e32 v8, v10, v8
.LBB170_21:
	s_or_b64 exec, exec, s[0:1]
	s_branch .LBB170_34
.LBB170_22:
                                        ; implicit-def: $vgpr8
                                        ; implicit-def: $vgpr7
	s_cbranch_execz .LBB170_34
; %bb.23:
	s_movk_i32 s0, 0x129
	v_cmp_gt_u32_e32 vcc, s0, v0
	s_and_saveexec_b64 s[0:1], vcc
	s_cbranch_execz .LBB170_25
; %bb.24:
	ds_read_b64 v[7:8], v15 offset:3456
	ds_read_b64 v[9:10], v15
	s_waitcnt lgkmcnt(0)
	v_add_f32_e32 v7, v7, v9
	v_add_f32_e32 v8, v8, v10
	ds_write_b64 v15, v[7:8]
.LBB170_25:
	s_or_b64 exec, exec, s[0:1]
	s_movk_i32 s0, 0xd8
	v_cmp_gt_u32_e32 vcc, s0, v0
	s_waitcnt lgkmcnt(0)
	s_barrier
	s_and_saveexec_b64 s[0:1], vcc
	s_cbranch_execz .LBB170_27
; %bb.26:
	ds_read2_b64 v[7:10], v15 offset1:216
	s_waitcnt lgkmcnt(0)
	v_add_f32_e32 v7, v9, v7
	v_add_f32_e32 v8, v10, v8
	ds_write_b64 v15, v[7:8]
.LBB170_27:
	s_or_b64 exec, exec, s[0:1]
	s_movk_i32 s0, 0x6c
	v_cmp_gt_u32_e32 vcc, s0, v0
	s_waitcnt lgkmcnt(0)
	s_barrier
	s_and_saveexec_b64 s[0:1], vcc
	s_cbranch_execz .LBB170_29
; %bb.28:
	ds_read2_b64 v[7:10], v15 offset1:108
	s_waitcnt lgkmcnt(0)
	v_add_f32_e32 v7, v9, v7
	v_add_f32_e32 v8, v10, v8
	ds_write_b64 v15, v[7:8]
.LBB170_29:
	s_or_b64 exec, exec, s[0:1]
	v_cmp_gt_u32_e32 vcc, 54, v0
	s_waitcnt lgkmcnt(0)
	s_barrier
	s_and_saveexec_b64 s[0:1], vcc
	s_cbranch_execz .LBB170_31
; %bb.30:
	ds_read2_b64 v[7:10], v15 offset1:54
	s_waitcnt lgkmcnt(0)
	v_add_f32_e32 v7, v9, v7
	v_add_f32_e32 v8, v10, v8
	ds_write_b64 v15, v[7:8]
.LBB170_31:
	s_or_b64 exec, exec, s[0:1]
	v_cmp_gt_u32_e32 vcc, 27, v0
	s_waitcnt lgkmcnt(0)
	s_and_saveexec_b64 s[0:1], vcc
	s_cbranch_execz .LBB170_33
; %bb.32:
	ds_read2_b64 v[5:8], v15 offset1:27
	s_waitcnt lgkmcnt(0)
	v_add_f32_e32 v5, v7, v5
	v_add_f32_e32 v6, v8, v6
.LBB170_33:
	s_or_b64 exec, exec, s[0:1]
	v_mov_b32_e32 v8, v6
	v_mov_b32_e32 v7, v5
.LBB170_34:
	v_cmp_gt_u32_e32 vcc, 27, v0
	s_and_b64 exec, exec, vcc
	s_cbranch_execz .LBB170_39
; %bb.35:
	v_cmp_eq_f32_e32 vcc, 0, v1
	v_cmp_eq_f32_e64 s[0:1], 0, v2
	v_mul_f32_e64 v5, v8, -v4
	v_mul_f32_e32 v6, v3, v8
	s_and_b64 s[0:1], vcc, s[0:1]
	v_fmac_f32_e32 v5, v3, v7
	v_fmac_f32_e32 v6, v4, v7
	s_mul_i32 s2, s7, 0xd8
	s_mul_hi_u32 s3, s6, 0xd8
	s_mul_i32 s4, s6, 0xd8
	s_and_saveexec_b64 s[6:7], s[0:1]
	s_xor_b64 s[0:1], exec, s[6:7]
	s_cbranch_execz .LBB170_37
; %bb.36:
	s_add_i32 s5, s3, s2
	s_add_u32 s6, s12, s4
	s_addc_u32 s7, s13, s5
	global_store_dwordx2 v15, v[5:6], s[6:7]
                                        ; implicit-def: $vgpr15
                                        ; implicit-def: $vgpr1_vgpr2
                                        ; implicit-def: $vgpr5
.LBB170_37:
	s_andn2_saveexec_b64 s[0:1], s[0:1]
	s_cbranch_execz .LBB170_39
; %bb.38:
	s_add_i32 s3, s3, s2
	s_add_u32 s0, s12, s4
	s_addc_u32 s1, s13, s3
	global_load_dwordx2 v[3:4], v15, s[0:1]
	s_waitcnt vmcnt(0)
	v_fmac_f32_e32 v5, v1, v3
	v_fmac_f32_e32 v6, v2, v3
	v_fma_f32 v5, -v2, v4, v5
	v_fmac_f32_e32 v6, v1, v4
	global_store_dwordx2 v15, v[5:6], s[0:1]
.LBB170_39:
	s_endpgm
	.section	.rodata,"a",@progbits
	.p2align	6, 0x0
	.amdhsa_kernel _ZN9rocsparseL20bsrxmvn_17_32_kernelILj27E21rocsparse_complex_numIfEllS2_S2_S2_EEvT2_20rocsparse_direction_NS_24const_host_device_scalarIT0_EES3_PKS3_PKT1_SC_S9_PKT3_PKT4_S7_PT5_21rocsparse_index_base_b
		.amdhsa_group_segment_fixed_size 5832
		.amdhsa_private_segment_fixed_size 0
		.amdhsa_kernarg_size 104
		.amdhsa_user_sgpr_count 6
		.amdhsa_user_sgpr_private_segment_buffer 1
		.amdhsa_user_sgpr_dispatch_ptr 0
		.amdhsa_user_sgpr_queue_ptr 0
		.amdhsa_user_sgpr_kernarg_segment_ptr 1
		.amdhsa_user_sgpr_dispatch_id 0
		.amdhsa_user_sgpr_flat_scratch_init 0
		.amdhsa_user_sgpr_private_segment_size 0
		.amdhsa_uses_dynamic_stack 0
		.amdhsa_system_sgpr_private_segment_wavefront_offset 0
		.amdhsa_system_sgpr_workgroup_id_x 1
		.amdhsa_system_sgpr_workgroup_id_y 0
		.amdhsa_system_sgpr_workgroup_id_z 0
		.amdhsa_system_sgpr_workgroup_info 0
		.amdhsa_system_vgpr_workitem_id 0
		.amdhsa_next_free_vgpr 25
		.amdhsa_next_free_sgpr 61
		.amdhsa_reserve_vcc 1
		.amdhsa_reserve_flat_scratch 0
		.amdhsa_float_round_mode_32 0
		.amdhsa_float_round_mode_16_64 0
		.amdhsa_float_denorm_mode_32 3
		.amdhsa_float_denorm_mode_16_64 3
		.amdhsa_dx10_clamp 1
		.amdhsa_ieee_mode 1
		.amdhsa_fp16_overflow 0
		.amdhsa_exception_fp_ieee_invalid_op 0
		.amdhsa_exception_fp_denorm_src 0
		.amdhsa_exception_fp_ieee_div_zero 0
		.amdhsa_exception_fp_ieee_overflow 0
		.amdhsa_exception_fp_ieee_underflow 0
		.amdhsa_exception_fp_ieee_inexact 0
		.amdhsa_exception_int_div_zero 0
	.end_amdhsa_kernel
	.section	.text._ZN9rocsparseL20bsrxmvn_17_32_kernelILj27E21rocsparse_complex_numIfEllS2_S2_S2_EEvT2_20rocsparse_direction_NS_24const_host_device_scalarIT0_EES3_PKS3_PKT1_SC_S9_PKT3_PKT4_S7_PT5_21rocsparse_index_base_b,"axG",@progbits,_ZN9rocsparseL20bsrxmvn_17_32_kernelILj27E21rocsparse_complex_numIfEllS2_S2_S2_EEvT2_20rocsparse_direction_NS_24const_host_device_scalarIT0_EES3_PKS3_PKT1_SC_S9_PKT3_PKT4_S7_PT5_21rocsparse_index_base_b,comdat
.Lfunc_end170:
	.size	_ZN9rocsparseL20bsrxmvn_17_32_kernelILj27E21rocsparse_complex_numIfEllS2_S2_S2_EEvT2_20rocsparse_direction_NS_24const_host_device_scalarIT0_EES3_PKS3_PKT1_SC_S9_PKT3_PKT4_S7_PT5_21rocsparse_index_base_b, .Lfunc_end170-_ZN9rocsparseL20bsrxmvn_17_32_kernelILj27E21rocsparse_complex_numIfEllS2_S2_S2_EEvT2_20rocsparse_direction_NS_24const_host_device_scalarIT0_EES3_PKS3_PKT1_SC_S9_PKT3_PKT4_S7_PT5_21rocsparse_index_base_b
                                        ; -- End function
	.set _ZN9rocsparseL20bsrxmvn_17_32_kernelILj27E21rocsparse_complex_numIfEllS2_S2_S2_EEvT2_20rocsparse_direction_NS_24const_host_device_scalarIT0_EES3_PKS3_PKT1_SC_S9_PKT3_PKT4_S7_PT5_21rocsparse_index_base_b.num_vgpr, 22
	.set _ZN9rocsparseL20bsrxmvn_17_32_kernelILj27E21rocsparse_complex_numIfEllS2_S2_S2_EEvT2_20rocsparse_direction_NS_24const_host_device_scalarIT0_EES3_PKS3_PKT1_SC_S9_PKT3_PKT4_S7_PT5_21rocsparse_index_base_b.num_agpr, 0
	.set _ZN9rocsparseL20bsrxmvn_17_32_kernelILj27E21rocsparse_complex_numIfEllS2_S2_S2_EEvT2_20rocsparse_direction_NS_24const_host_device_scalarIT0_EES3_PKS3_PKT1_SC_S9_PKT3_PKT4_S7_PT5_21rocsparse_index_base_b.numbered_sgpr, 22
	.set _ZN9rocsparseL20bsrxmvn_17_32_kernelILj27E21rocsparse_complex_numIfEllS2_S2_S2_EEvT2_20rocsparse_direction_NS_24const_host_device_scalarIT0_EES3_PKS3_PKT1_SC_S9_PKT3_PKT4_S7_PT5_21rocsparse_index_base_b.num_named_barrier, 0
	.set _ZN9rocsparseL20bsrxmvn_17_32_kernelILj27E21rocsparse_complex_numIfEllS2_S2_S2_EEvT2_20rocsparse_direction_NS_24const_host_device_scalarIT0_EES3_PKS3_PKT1_SC_S9_PKT3_PKT4_S7_PT5_21rocsparse_index_base_b.private_seg_size, 0
	.set _ZN9rocsparseL20bsrxmvn_17_32_kernelILj27E21rocsparse_complex_numIfEllS2_S2_S2_EEvT2_20rocsparse_direction_NS_24const_host_device_scalarIT0_EES3_PKS3_PKT1_SC_S9_PKT3_PKT4_S7_PT5_21rocsparse_index_base_b.uses_vcc, 1
	.set _ZN9rocsparseL20bsrxmvn_17_32_kernelILj27E21rocsparse_complex_numIfEllS2_S2_S2_EEvT2_20rocsparse_direction_NS_24const_host_device_scalarIT0_EES3_PKS3_PKT1_SC_S9_PKT3_PKT4_S7_PT5_21rocsparse_index_base_b.uses_flat_scratch, 0
	.set _ZN9rocsparseL20bsrxmvn_17_32_kernelILj27E21rocsparse_complex_numIfEllS2_S2_S2_EEvT2_20rocsparse_direction_NS_24const_host_device_scalarIT0_EES3_PKS3_PKT1_SC_S9_PKT3_PKT4_S7_PT5_21rocsparse_index_base_b.has_dyn_sized_stack, 0
	.set _ZN9rocsparseL20bsrxmvn_17_32_kernelILj27E21rocsparse_complex_numIfEllS2_S2_S2_EEvT2_20rocsparse_direction_NS_24const_host_device_scalarIT0_EES3_PKS3_PKT1_SC_S9_PKT3_PKT4_S7_PT5_21rocsparse_index_base_b.has_recursion, 0
	.set _ZN9rocsparseL20bsrxmvn_17_32_kernelILj27E21rocsparse_complex_numIfEllS2_S2_S2_EEvT2_20rocsparse_direction_NS_24const_host_device_scalarIT0_EES3_PKS3_PKT1_SC_S9_PKT3_PKT4_S7_PT5_21rocsparse_index_base_b.has_indirect_call, 0
	.section	.AMDGPU.csdata,"",@progbits
; Kernel info:
; codeLenInByte = 1484
; TotalNumSgprs: 26
; NumVgprs: 22
; ScratchSize: 0
; MemoryBound: 0
; FloatMode: 240
; IeeeMode: 1
; LDSByteSize: 5832 bytes/workgroup (compile time only)
; SGPRBlocks: 8
; VGPRBlocks: 6
; NumSGPRsForWavesPerEU: 65
; NumVGPRsForWavesPerEU: 25
; Occupancy: 9
; WaveLimiterHint : 1
; COMPUTE_PGM_RSRC2:SCRATCH_EN: 0
; COMPUTE_PGM_RSRC2:USER_SGPR: 6
; COMPUTE_PGM_RSRC2:TRAP_HANDLER: 0
; COMPUTE_PGM_RSRC2:TGID_X_EN: 1
; COMPUTE_PGM_RSRC2:TGID_Y_EN: 0
; COMPUTE_PGM_RSRC2:TGID_Z_EN: 0
; COMPUTE_PGM_RSRC2:TIDIG_COMP_CNT: 0
	.section	.text._ZN9rocsparseL20bsrxmvn_17_32_kernelILj28E21rocsparse_complex_numIfEllS2_S2_S2_EEvT2_20rocsparse_direction_NS_24const_host_device_scalarIT0_EES3_PKS3_PKT1_SC_S9_PKT3_PKT4_S7_PT5_21rocsparse_index_base_b,"axG",@progbits,_ZN9rocsparseL20bsrxmvn_17_32_kernelILj28E21rocsparse_complex_numIfEllS2_S2_S2_EEvT2_20rocsparse_direction_NS_24const_host_device_scalarIT0_EES3_PKS3_PKT1_SC_S9_PKT3_PKT4_S7_PT5_21rocsparse_index_base_b,comdat
	.globl	_ZN9rocsparseL20bsrxmvn_17_32_kernelILj28E21rocsparse_complex_numIfEllS2_S2_S2_EEvT2_20rocsparse_direction_NS_24const_host_device_scalarIT0_EES3_PKS3_PKT1_SC_S9_PKT3_PKT4_S7_PT5_21rocsparse_index_base_b ; -- Begin function _ZN9rocsparseL20bsrxmvn_17_32_kernelILj28E21rocsparse_complex_numIfEllS2_S2_S2_EEvT2_20rocsparse_direction_NS_24const_host_device_scalarIT0_EES3_PKS3_PKT1_SC_S9_PKT3_PKT4_S7_PT5_21rocsparse_index_base_b
	.p2align	8
	.type	_ZN9rocsparseL20bsrxmvn_17_32_kernelILj28E21rocsparse_complex_numIfEllS2_S2_S2_EEvT2_20rocsparse_direction_NS_24const_host_device_scalarIT0_EES3_PKS3_PKT1_SC_S9_PKT3_PKT4_S7_PT5_21rocsparse_index_base_b,@function
_ZN9rocsparseL20bsrxmvn_17_32_kernelILj28E21rocsparse_complex_numIfEllS2_S2_S2_EEvT2_20rocsparse_direction_NS_24const_host_device_scalarIT0_EES3_PKS3_PKT1_SC_S9_PKT3_PKT4_S7_PT5_21rocsparse_index_base_b: ; @_ZN9rocsparseL20bsrxmvn_17_32_kernelILj28E21rocsparse_complex_numIfEllS2_S2_S2_EEvT2_20rocsparse_direction_NS_24const_host_device_scalarIT0_EES3_PKS3_PKT1_SC_S9_PKT3_PKT4_S7_PT5_21rocsparse_index_base_b
; %bb.0:
	s_load_dwordx2 s[0:1], s[4:5], 0x10
	s_load_dwordx2 s[14:15], s[4:5], 0x60
	s_add_u32 s7, s4, 16
	s_addc_u32 s8, s5, 0
	s_add_u32 s9, s4, 0x50
	s_load_dwordx2 s[2:3], s[4:5], 0x50
	s_addc_u32 s10, s5, 0
	s_waitcnt lgkmcnt(0)
	s_bitcmp1_b32 s15, 0
	s_cselect_b32 s1, s8, s1
	s_cselect_b32 s0, s7, s0
	v_mov_b32_e32 v1, s0
	v_mov_b32_e32 v2, s1
	flat_load_dwordx2 v[3:4], v[1:2]
	s_cselect_b32 s0, s10, s3
	s_cselect_b32 s1, s9, s2
	v_mov_b32_e32 v1, s1
	v_mov_b32_e32 v2, s0
	flat_load_dwordx2 v[1:2], v[1:2]
	s_waitcnt vmcnt(0) lgkmcnt(0)
	v_cmp_eq_f32_e32 vcc, 0, v3
	v_cmp_eq_f32_e64 s[0:1], 0, v4
	s_and_b64 s[8:9], vcc, s[0:1]
	s_mov_b64 s[0:1], -1
	s_and_saveexec_b64 s[2:3], s[8:9]
; %bb.1:
	v_cmp_neq_f32_e32 vcc, 1.0, v1
	v_cmp_neq_f32_e64 s[0:1], 0, v2
	s_or_b64 s[0:1], vcc, s[0:1]
	s_orn2_b64 s[0:1], s[0:1], exec
; %bb.2:
	s_or_b64 exec, exec, s[2:3]
	s_and_saveexec_b64 s[2:3], s[0:1]
	s_cbranch_execz .LBB171_39
; %bb.3:
	s_load_dwordx4 s[0:3], s[4:5], 0x20
	s_load_dwordx2 s[8:9], s[4:5], 0x30
	s_mov_b32 s7, 0
	s_waitcnt lgkmcnt(0)
	s_cmp_eq_u64 s[0:1], 0
	s_cbranch_scc1 .LBB171_5
; %bb.4:
	s_lshl_b64 s[6:7], s[6:7], 3
	s_add_u32 s0, s0, s6
	s_addc_u32 s1, s1, s7
	s_load_dwordx2 s[0:1], s[0:1], 0x0
	s_waitcnt lgkmcnt(0)
	s_sub_u32 s6, s0, s14
	s_subb_u32 s7, s1, 0
.LBB171_5:
	s_load_dword s10, s[4:5], 0x8
	s_load_dwordx2 s[12:13], s[4:5], 0x58
	v_mul_u32_u24_e32 v7, 0x925, v0
	v_mov_b32_e32 v5, 28
	v_mul_lo_u16_sdwa v5, v7, v5 dst_sel:DWORD dst_unused:UNUSED_PAD src0_sel:WORD_1 src1_sel:DWORD
	s_waitcnt lgkmcnt(0)
	s_cmp_eq_u32 s10, 1
	s_cselect_b64 s[0:1], -1, 0
	s_cmp_lg_u32 s10, 1
	s_cselect_b64 s[16:17], -1, 0
	s_lshl_b64 s[10:11], s[6:7], 3
	s_add_u32 s20, s2, s10
	s_addc_u32 s21, s3, s11
	s_add_u32 s2, s20, 8
	s_addc_u32 s3, s21, 0
	;; [unrolled: 2-line block ×3, first 2 shown]
	s_cmp_eq_u64 s[8:9], 0
	s_cselect_b32 s9, s3, s11
	s_cselect_b32 s8, s2, s10
	s_load_dwordx2 s[2:3], s[8:9], 0x0
	s_load_dwordx2 s[18:19], s[20:21], 0x0
	v_sub_u16_e32 v16, v0, v5
	v_lshlrev_b32_e32 v15, 3, v0
	s_waitcnt lgkmcnt(0)
	v_mov_b32_e32 v6, s3
	v_mov_b32_e32 v5, s2
	v_cmp_ge_i64_e32 vcc, s[18:19], v[5:6]
	v_mov_b32_e32 v6, 0
	v_mov_b32_e32 v5, 0
	s_cbranch_vccnz .LBB171_10
; %bb.6:
	s_load_dwordx4 s[8:11], s[4:5], 0x38
	s_load_dwordx2 s[20:21], s[4:5], 0x48
	s_mov_b32 s4, 0xffff
	s_movk_i32 s5, 0x310
	v_and_b32_sdwa v5, s4, v7 dst_sel:DWORD dst_unused:UNUSED_PAD src0_sel:DWORD src1_sel:WORD_1
	s_sub_u32 s2, s2, s14
	v_subrev_u32_e32 v6, 28, v5
	v_cmp_gt_u32_e32 vcc, s5, v0
	s_subb_u32 s3, s3, 0
	v_cndmask_b32_e32 v5, v6, v5, vcc
	s_sub_u32 s4, s18, s14
	v_cndmask_b32_e64 v5, v16, v5, s[0:1]
	v_mov_b32_e32 v6, 0
	s_subb_u32 s5, s19, 0
	v_lshlrev_b64 v[7:8], 3, v[5:6]
	s_mul_i32 s0, s5, 0x1880
	s_mul_hi_u32 s1, s4, 0x1880
	s_add_i32 s1, s1, s0
	s_mul_i32 s0, s4, 0x1880
	s_waitcnt lgkmcnt(0)
	v_mov_b32_e32 v5, s21
	v_add_co_u32_e32 v7, vcc, s20, v7
	s_add_u32 s0, s10, s0
	v_addc_co_u32_e32 v8, vcc, v5, v8, vcc
	s_addc_u32 s1, s11, s1
	v_mov_b32_e32 v5, s1
	v_add_co_u32_e32 v9, vcc, s0, v15
	v_addc_co_u32_e32 v10, vcc, 0, v5, vcc
	s_movk_i32 s0, 0x30f
	v_cmp_lt_u32_e32 vcc, s0, v0
	v_cndmask_b32_e64 v17, 0, 1, vcc
	v_mov_b32_e32 v5, s19
	v_add_co_u32_e32 v11, vcc, s18, v17
	v_addc_co_u32_e32 v5, vcc, 0, v5, vcc
	v_subrev_co_u32_e32 v11, vcc, s14, v11
	v_subbrev_co_u32_e32 v12, vcc, 0, v5, vcc
	v_lshlrev_b64 v[11:12], 3, v[11:12]
	v_mov_b32_e32 v5, s9
	v_add_co_u32_e32 v11, vcc, s8, v11
	v_mov_b32_e32 v14, s3
	v_addc_co_u32_e32 v12, vcc, v5, v12, vcc
	s_movk_i32 s8, 0xe0
	v_mov_b32_e32 v13, s2
	v_mov_b32_e32 v5, v6
	s_branch .LBB171_8
.LBB171_7:                              ;   in Loop: Header=BB171_8 Depth=1
	s_or_b64 exec, exec, s[0:1]
	s_add_u32 s4, s4, 1
	s_addc_u32 s5, s5, 0
	v_cmp_lt_i64_e32 vcc, s[4:5], v[13:14]
	v_add_co_u32_e64 v11, s[0:1], 8, v11
	v_addc_co_u32_e64 v12, s[0:1], 0, v12, s[0:1]
	s_cbranch_vccz .LBB171_10
.LBB171_8:                              ; =>This Inner Loop Header: Depth=1
	v_mov_b32_e32 v19, s5
	v_add_co_u32_e32 v18, vcc, s4, v17
	v_addc_co_u32_e32 v19, vcc, 0, v19, vcc
	v_cmp_gt_i64_e32 vcc, s[2:3], v[18:19]
	s_and_saveexec_b64 s[0:1], vcc
	s_cbranch_execz .LBB171_7
; %bb.9:                                ;   in Loop: Header=BB171_8 Depth=1
	global_load_dwordx2 v[18:19], v[11:12], off
	s_waitcnt vmcnt(0)
	v_subrev_co_u32_e32 v18, vcc, s14, v18
	v_subbrev_co_u32_e32 v20, vcc, 0, v19, vcc
	v_mad_u64_u32 v[18:19], s[10:11], v18, s8, v[7:8]
	v_mad_u64_u32 v[19:20], s[10:11], v20, s8, v[19:20]
	global_load_dwordx2 v[20:21], v[9:10], off
	s_nop 0
	global_load_dwordx2 v[18:19], v[18:19], off
	v_add_co_u32_e32 v9, vcc, 0x1880, v9
	v_addc_co_u32_e32 v10, vcc, 0, v10, vcc
	s_waitcnt vmcnt(0)
	v_fmac_f32_e32 v5, v20, v18
	v_fmac_f32_e32 v6, v21, v18
	v_fma_f32 v5, -v21, v19, v5
	v_fmac_f32_e32 v6, v20, v19
	s_branch .LBB171_7
.LBB171_10:
	s_and_b64 vcc, exec, s[16:17]
	ds_write_b64 v15, v[5:6]
	s_waitcnt lgkmcnt(0)
	s_barrier
	s_cbranch_vccz .LBB171_22
; %bb.11:
	v_cmp_gt_u16_e32 vcc, 12, v16
	s_and_saveexec_b64 s[0:1], vcc
	s_cbranch_execz .LBB171_13
; %bb.12:
	ds_read2_b64 v[7:10], v15 offset1:16
	s_waitcnt lgkmcnt(0)
	v_add_f32_e32 v7, v9, v7
	v_add_f32_e32 v8, v10, v8
	ds_write_b64 v15, v[7:8]
.LBB171_13:
	s_or_b64 exec, exec, s[0:1]
	v_cmp_gt_u16_e32 vcc, 8, v16
	s_waitcnt lgkmcnt(0)
	s_barrier
	s_and_saveexec_b64 s[0:1], vcc
	s_cbranch_execz .LBB171_15
; %bb.14:
	ds_read2_b64 v[7:10], v15 offset1:8
	s_waitcnt lgkmcnt(0)
	v_add_f32_e32 v7, v9, v7
	v_add_f32_e32 v8, v10, v8
	ds_write_b64 v15, v[7:8]
.LBB171_15:
	s_or_b64 exec, exec, s[0:1]
	v_cmp_gt_u16_e32 vcc, 4, v16
	s_waitcnt lgkmcnt(0)
	s_barrier
	;; [unrolled: 13-line block ×3, first 2 shown]
	s_and_saveexec_b64 s[0:1], vcc
	s_cbranch_execz .LBB171_19
; %bb.18:
	ds_read2_b64 v[7:10], v15 offset1:2
	s_waitcnt lgkmcnt(0)
	v_add_f32_e32 v7, v9, v7
	v_add_f32_e32 v8, v10, v8
	ds_write_b64 v15, v[7:8]
.LBB171_19:
	s_or_b64 exec, exec, s[0:1]
	v_cmp_gt_u32_e32 vcc, 28, v0
	v_mov_b32_e32 v8, v6
	v_mov_b32_e32 v7, v5
	s_waitcnt lgkmcnt(0)
	s_barrier
	s_and_saveexec_b64 s[0:1], vcc
	s_cbranch_execz .LBB171_21
; %bb.20:
	s_movk_i32 s2, 0xd8
	v_mad_u32_u24 v7, v0, s2, v15
	ds_read2_b64 v[7:10], v7 offset1:1
	s_waitcnt lgkmcnt(0)
	v_add_f32_e32 v7, v9, v7
	v_add_f32_e32 v8, v10, v8
.LBB171_21:
	s_or_b64 exec, exec, s[0:1]
	s_branch .LBB171_34
.LBB171_22:
                                        ; implicit-def: $vgpr8
                                        ; implicit-def: $vgpr7
	s_cbranch_execz .LBB171_34
; %bb.23:
	s_movk_i32 s0, 0x150
	v_cmp_gt_u32_e32 vcc, s0, v0
	s_and_saveexec_b64 s[0:1], vcc
	s_cbranch_execz .LBB171_25
; %bb.24:
	ds_read2st64_b64 v[7:10], v15 offset1:7
	s_waitcnt lgkmcnt(0)
	v_add_f32_e32 v7, v9, v7
	v_add_f32_e32 v8, v10, v8
	ds_write_b64 v15, v[7:8]
.LBB171_25:
	s_or_b64 exec, exec, s[0:1]
	s_movk_i32 s0, 0xe0
	v_cmp_gt_u32_e32 vcc, s0, v0
	s_waitcnt lgkmcnt(0)
	s_barrier
	s_and_saveexec_b64 s[0:1], vcc
	s_cbranch_execz .LBB171_27
; %bb.26:
	ds_read2_b64 v[7:10], v15 offset1:224
	s_waitcnt lgkmcnt(0)
	v_add_f32_e32 v7, v9, v7
	v_add_f32_e32 v8, v10, v8
	ds_write_b64 v15, v[7:8]
.LBB171_27:
	s_or_b64 exec, exec, s[0:1]
	s_movk_i32 s0, 0x70
	v_cmp_gt_u32_e32 vcc, s0, v0
	s_waitcnt lgkmcnt(0)
	s_barrier
	s_and_saveexec_b64 s[0:1], vcc
	s_cbranch_execz .LBB171_29
; %bb.28:
	ds_read2_b64 v[7:10], v15 offset1:112
	s_waitcnt lgkmcnt(0)
	v_add_f32_e32 v7, v9, v7
	v_add_f32_e32 v8, v10, v8
	ds_write_b64 v15, v[7:8]
.LBB171_29:
	s_or_b64 exec, exec, s[0:1]
	v_cmp_gt_u32_e32 vcc, 56, v0
	s_waitcnt lgkmcnt(0)
	s_barrier
	s_and_saveexec_b64 s[0:1], vcc
	s_cbranch_execz .LBB171_31
; %bb.30:
	ds_read2_b64 v[7:10], v15 offset1:56
	s_waitcnt lgkmcnt(0)
	v_add_f32_e32 v7, v9, v7
	v_add_f32_e32 v8, v10, v8
	ds_write_b64 v15, v[7:8]
.LBB171_31:
	s_or_b64 exec, exec, s[0:1]
	v_cmp_gt_u32_e32 vcc, 28, v0
	s_waitcnt lgkmcnt(0)
	s_and_saveexec_b64 s[0:1], vcc
	s_cbranch_execz .LBB171_33
; %bb.32:
	ds_read2_b64 v[5:8], v15 offset1:28
	s_waitcnt lgkmcnt(0)
	v_add_f32_e32 v5, v7, v5
	v_add_f32_e32 v6, v8, v6
.LBB171_33:
	s_or_b64 exec, exec, s[0:1]
	v_mov_b32_e32 v8, v6
	v_mov_b32_e32 v7, v5
.LBB171_34:
	v_cmp_gt_u32_e32 vcc, 28, v0
	s_and_b64 exec, exec, vcc
	s_cbranch_execz .LBB171_39
; %bb.35:
	v_cmp_eq_f32_e32 vcc, 0, v1
	v_cmp_eq_f32_e64 s[0:1], 0, v2
	v_mul_f32_e64 v5, v8, -v4
	v_mul_f32_e32 v6, v3, v8
	s_and_b64 s[0:1], vcc, s[0:1]
	v_fmac_f32_e32 v5, v3, v7
	v_fmac_f32_e32 v6, v4, v7
	s_mul_i32 s2, s7, 0xe0
	s_mul_hi_u32 s3, s6, 0xe0
	s_mul_i32 s4, s6, 0xe0
	s_and_saveexec_b64 s[6:7], s[0:1]
	s_xor_b64 s[0:1], exec, s[6:7]
	s_cbranch_execz .LBB171_37
; %bb.36:
	s_add_i32 s5, s3, s2
	s_add_u32 s6, s12, s4
	s_addc_u32 s7, s13, s5
	global_store_dwordx2 v15, v[5:6], s[6:7]
                                        ; implicit-def: $vgpr15
                                        ; implicit-def: $vgpr1_vgpr2
                                        ; implicit-def: $vgpr5
.LBB171_37:
	s_andn2_saveexec_b64 s[0:1], s[0:1]
	s_cbranch_execz .LBB171_39
; %bb.38:
	s_add_i32 s3, s3, s2
	s_add_u32 s0, s12, s4
	s_addc_u32 s1, s13, s3
	global_load_dwordx2 v[3:4], v15, s[0:1]
	s_waitcnt vmcnt(0)
	v_fmac_f32_e32 v5, v1, v3
	v_fmac_f32_e32 v6, v2, v3
	v_fma_f32 v5, -v2, v4, v5
	v_fmac_f32_e32 v6, v1, v4
	global_store_dwordx2 v15, v[5:6], s[0:1]
.LBB171_39:
	s_endpgm
	.section	.rodata,"a",@progbits
	.p2align	6, 0x0
	.amdhsa_kernel _ZN9rocsparseL20bsrxmvn_17_32_kernelILj28E21rocsparse_complex_numIfEllS2_S2_S2_EEvT2_20rocsparse_direction_NS_24const_host_device_scalarIT0_EES3_PKS3_PKT1_SC_S9_PKT3_PKT4_S7_PT5_21rocsparse_index_base_b
		.amdhsa_group_segment_fixed_size 6272
		.amdhsa_private_segment_fixed_size 0
		.amdhsa_kernarg_size 104
		.amdhsa_user_sgpr_count 6
		.amdhsa_user_sgpr_private_segment_buffer 1
		.amdhsa_user_sgpr_dispatch_ptr 0
		.amdhsa_user_sgpr_queue_ptr 0
		.amdhsa_user_sgpr_kernarg_segment_ptr 1
		.amdhsa_user_sgpr_dispatch_id 0
		.amdhsa_user_sgpr_flat_scratch_init 0
		.amdhsa_user_sgpr_private_segment_size 0
		.amdhsa_uses_dynamic_stack 0
		.amdhsa_system_sgpr_private_segment_wavefront_offset 0
		.amdhsa_system_sgpr_workgroup_id_x 1
		.amdhsa_system_sgpr_workgroup_id_y 0
		.amdhsa_system_sgpr_workgroup_id_z 0
		.amdhsa_system_sgpr_workgroup_info 0
		.amdhsa_system_vgpr_workitem_id 0
		.amdhsa_next_free_vgpr 22
		.amdhsa_next_free_sgpr 22
		.amdhsa_reserve_vcc 1
		.amdhsa_reserve_flat_scratch 0
		.amdhsa_float_round_mode_32 0
		.amdhsa_float_round_mode_16_64 0
		.amdhsa_float_denorm_mode_32 3
		.amdhsa_float_denorm_mode_16_64 3
		.amdhsa_dx10_clamp 1
		.amdhsa_ieee_mode 1
		.amdhsa_fp16_overflow 0
		.amdhsa_exception_fp_ieee_invalid_op 0
		.amdhsa_exception_fp_denorm_src 0
		.amdhsa_exception_fp_ieee_div_zero 0
		.amdhsa_exception_fp_ieee_overflow 0
		.amdhsa_exception_fp_ieee_underflow 0
		.amdhsa_exception_fp_ieee_inexact 0
		.amdhsa_exception_int_div_zero 0
	.end_amdhsa_kernel
	.section	.text._ZN9rocsparseL20bsrxmvn_17_32_kernelILj28E21rocsparse_complex_numIfEllS2_S2_S2_EEvT2_20rocsparse_direction_NS_24const_host_device_scalarIT0_EES3_PKS3_PKT1_SC_S9_PKT3_PKT4_S7_PT5_21rocsparse_index_base_b,"axG",@progbits,_ZN9rocsparseL20bsrxmvn_17_32_kernelILj28E21rocsparse_complex_numIfEllS2_S2_S2_EEvT2_20rocsparse_direction_NS_24const_host_device_scalarIT0_EES3_PKS3_PKT1_SC_S9_PKT3_PKT4_S7_PT5_21rocsparse_index_base_b,comdat
.Lfunc_end171:
	.size	_ZN9rocsparseL20bsrxmvn_17_32_kernelILj28E21rocsparse_complex_numIfEllS2_S2_S2_EEvT2_20rocsparse_direction_NS_24const_host_device_scalarIT0_EES3_PKS3_PKT1_SC_S9_PKT3_PKT4_S7_PT5_21rocsparse_index_base_b, .Lfunc_end171-_ZN9rocsparseL20bsrxmvn_17_32_kernelILj28E21rocsparse_complex_numIfEllS2_S2_S2_EEvT2_20rocsparse_direction_NS_24const_host_device_scalarIT0_EES3_PKS3_PKT1_SC_S9_PKT3_PKT4_S7_PT5_21rocsparse_index_base_b
                                        ; -- End function
	.set _ZN9rocsparseL20bsrxmvn_17_32_kernelILj28E21rocsparse_complex_numIfEllS2_S2_S2_EEvT2_20rocsparse_direction_NS_24const_host_device_scalarIT0_EES3_PKS3_PKT1_SC_S9_PKT3_PKT4_S7_PT5_21rocsparse_index_base_b.num_vgpr, 22
	.set _ZN9rocsparseL20bsrxmvn_17_32_kernelILj28E21rocsparse_complex_numIfEllS2_S2_S2_EEvT2_20rocsparse_direction_NS_24const_host_device_scalarIT0_EES3_PKS3_PKT1_SC_S9_PKT3_PKT4_S7_PT5_21rocsparse_index_base_b.num_agpr, 0
	.set _ZN9rocsparseL20bsrxmvn_17_32_kernelILj28E21rocsparse_complex_numIfEllS2_S2_S2_EEvT2_20rocsparse_direction_NS_24const_host_device_scalarIT0_EES3_PKS3_PKT1_SC_S9_PKT3_PKT4_S7_PT5_21rocsparse_index_base_b.numbered_sgpr, 22
	.set _ZN9rocsparseL20bsrxmvn_17_32_kernelILj28E21rocsparse_complex_numIfEllS2_S2_S2_EEvT2_20rocsparse_direction_NS_24const_host_device_scalarIT0_EES3_PKS3_PKT1_SC_S9_PKT3_PKT4_S7_PT5_21rocsparse_index_base_b.num_named_barrier, 0
	.set _ZN9rocsparseL20bsrxmvn_17_32_kernelILj28E21rocsparse_complex_numIfEllS2_S2_S2_EEvT2_20rocsparse_direction_NS_24const_host_device_scalarIT0_EES3_PKS3_PKT1_SC_S9_PKT3_PKT4_S7_PT5_21rocsparse_index_base_b.private_seg_size, 0
	.set _ZN9rocsparseL20bsrxmvn_17_32_kernelILj28E21rocsparse_complex_numIfEllS2_S2_S2_EEvT2_20rocsparse_direction_NS_24const_host_device_scalarIT0_EES3_PKS3_PKT1_SC_S9_PKT3_PKT4_S7_PT5_21rocsparse_index_base_b.uses_vcc, 1
	.set _ZN9rocsparseL20bsrxmvn_17_32_kernelILj28E21rocsparse_complex_numIfEllS2_S2_S2_EEvT2_20rocsparse_direction_NS_24const_host_device_scalarIT0_EES3_PKS3_PKT1_SC_S9_PKT3_PKT4_S7_PT5_21rocsparse_index_base_b.uses_flat_scratch, 0
	.set _ZN9rocsparseL20bsrxmvn_17_32_kernelILj28E21rocsparse_complex_numIfEllS2_S2_S2_EEvT2_20rocsparse_direction_NS_24const_host_device_scalarIT0_EES3_PKS3_PKT1_SC_S9_PKT3_PKT4_S7_PT5_21rocsparse_index_base_b.has_dyn_sized_stack, 0
	.set _ZN9rocsparseL20bsrxmvn_17_32_kernelILj28E21rocsparse_complex_numIfEllS2_S2_S2_EEvT2_20rocsparse_direction_NS_24const_host_device_scalarIT0_EES3_PKS3_PKT1_SC_S9_PKT3_PKT4_S7_PT5_21rocsparse_index_base_b.has_recursion, 0
	.set _ZN9rocsparseL20bsrxmvn_17_32_kernelILj28E21rocsparse_complex_numIfEllS2_S2_S2_EEvT2_20rocsparse_direction_NS_24const_host_device_scalarIT0_EES3_PKS3_PKT1_SC_S9_PKT3_PKT4_S7_PT5_21rocsparse_index_base_b.has_indirect_call, 0
	.section	.AMDGPU.csdata,"",@progbits
; Kernel info:
; codeLenInByte = 1476
; TotalNumSgprs: 26
; NumVgprs: 22
; ScratchSize: 0
; MemoryBound: 0
; FloatMode: 240
; IeeeMode: 1
; LDSByteSize: 6272 bytes/workgroup (compile time only)
; SGPRBlocks: 3
; VGPRBlocks: 5
; NumSGPRsForWavesPerEU: 26
; NumVGPRsForWavesPerEU: 22
; Occupancy: 10
; WaveLimiterHint : 1
; COMPUTE_PGM_RSRC2:SCRATCH_EN: 0
; COMPUTE_PGM_RSRC2:USER_SGPR: 6
; COMPUTE_PGM_RSRC2:TRAP_HANDLER: 0
; COMPUTE_PGM_RSRC2:TGID_X_EN: 1
; COMPUTE_PGM_RSRC2:TGID_Y_EN: 0
; COMPUTE_PGM_RSRC2:TGID_Z_EN: 0
; COMPUTE_PGM_RSRC2:TIDIG_COMP_CNT: 0
	.section	.text._ZN9rocsparseL20bsrxmvn_17_32_kernelILj29E21rocsparse_complex_numIfEllS2_S2_S2_EEvT2_20rocsparse_direction_NS_24const_host_device_scalarIT0_EES3_PKS3_PKT1_SC_S9_PKT3_PKT4_S7_PT5_21rocsparse_index_base_b,"axG",@progbits,_ZN9rocsparseL20bsrxmvn_17_32_kernelILj29E21rocsparse_complex_numIfEllS2_S2_S2_EEvT2_20rocsparse_direction_NS_24const_host_device_scalarIT0_EES3_PKS3_PKT1_SC_S9_PKT3_PKT4_S7_PT5_21rocsparse_index_base_b,comdat
	.globl	_ZN9rocsparseL20bsrxmvn_17_32_kernelILj29E21rocsparse_complex_numIfEllS2_S2_S2_EEvT2_20rocsparse_direction_NS_24const_host_device_scalarIT0_EES3_PKS3_PKT1_SC_S9_PKT3_PKT4_S7_PT5_21rocsparse_index_base_b ; -- Begin function _ZN9rocsparseL20bsrxmvn_17_32_kernelILj29E21rocsparse_complex_numIfEllS2_S2_S2_EEvT2_20rocsparse_direction_NS_24const_host_device_scalarIT0_EES3_PKS3_PKT1_SC_S9_PKT3_PKT4_S7_PT5_21rocsparse_index_base_b
	.p2align	8
	.type	_ZN9rocsparseL20bsrxmvn_17_32_kernelILj29E21rocsparse_complex_numIfEllS2_S2_S2_EEvT2_20rocsparse_direction_NS_24const_host_device_scalarIT0_EES3_PKS3_PKT1_SC_S9_PKT3_PKT4_S7_PT5_21rocsparse_index_base_b,@function
_ZN9rocsparseL20bsrxmvn_17_32_kernelILj29E21rocsparse_complex_numIfEllS2_S2_S2_EEvT2_20rocsparse_direction_NS_24const_host_device_scalarIT0_EES3_PKS3_PKT1_SC_S9_PKT3_PKT4_S7_PT5_21rocsparse_index_base_b: ; @_ZN9rocsparseL20bsrxmvn_17_32_kernelILj29E21rocsparse_complex_numIfEllS2_S2_S2_EEvT2_20rocsparse_direction_NS_24const_host_device_scalarIT0_EES3_PKS3_PKT1_SC_S9_PKT3_PKT4_S7_PT5_21rocsparse_index_base_b
; %bb.0:
	s_load_dwordx2 s[0:1], s[4:5], 0x10
	s_load_dwordx2 s[14:15], s[4:5], 0x60
	s_add_u32 s7, s4, 16
	s_addc_u32 s8, s5, 0
	s_add_u32 s9, s4, 0x50
	s_load_dwordx2 s[2:3], s[4:5], 0x50
	s_addc_u32 s10, s5, 0
	s_waitcnt lgkmcnt(0)
	s_bitcmp1_b32 s15, 0
	s_cselect_b32 s1, s8, s1
	s_cselect_b32 s0, s7, s0
	v_mov_b32_e32 v1, s0
	v_mov_b32_e32 v2, s1
	flat_load_dwordx2 v[3:4], v[1:2]
	s_cselect_b32 s0, s10, s3
	s_cselect_b32 s1, s9, s2
	v_mov_b32_e32 v1, s1
	v_mov_b32_e32 v2, s0
	flat_load_dwordx2 v[1:2], v[1:2]
	s_waitcnt vmcnt(0) lgkmcnt(0)
	v_cmp_eq_f32_e32 vcc, 0, v3
	v_cmp_eq_f32_e64 s[0:1], 0, v4
	s_and_b64 s[8:9], vcc, s[0:1]
	s_mov_b64 s[0:1], -1
	s_and_saveexec_b64 s[2:3], s[8:9]
; %bb.1:
	v_cmp_neq_f32_e32 vcc, 1.0, v1
	v_cmp_neq_f32_e64 s[0:1], 0, v2
	s_or_b64 s[0:1], vcc, s[0:1]
	s_orn2_b64 s[0:1], s[0:1], exec
; %bb.2:
	s_or_b64 exec, exec, s[2:3]
	s_and_saveexec_b64 s[2:3], s[0:1]
	s_cbranch_execz .LBB172_39
; %bb.3:
	s_load_dwordx4 s[0:3], s[4:5], 0x20
	s_load_dwordx2 s[8:9], s[4:5], 0x30
	s_mov_b32 s7, 0
	s_waitcnt lgkmcnt(0)
	s_cmp_eq_u64 s[0:1], 0
	s_cbranch_scc1 .LBB172_5
; %bb.4:
	s_lshl_b64 s[6:7], s[6:7], 3
	s_add_u32 s0, s0, s6
	s_addc_u32 s1, s1, s7
	s_load_dwordx2 s[0:1], s[0:1], 0x0
	s_waitcnt lgkmcnt(0)
	s_sub_u32 s6, s0, s14
	s_subb_u32 s7, s1, 0
.LBB172_5:
	s_load_dword s10, s[4:5], 0x8
	s_load_dwordx2 s[12:13], s[4:5], 0x58
	v_mul_u32_u24_e32 v7, 0x8d4, v0
	v_mov_b32_e32 v5, 29
	v_mul_lo_u16_sdwa v5, v7, v5 dst_sel:DWORD dst_unused:UNUSED_PAD src0_sel:WORD_1 src1_sel:DWORD
	s_waitcnt lgkmcnt(0)
	s_cmp_eq_u32 s10, 1
	s_cselect_b64 s[0:1], -1, 0
	s_cmp_lg_u32 s10, 1
	s_cselect_b64 s[16:17], -1, 0
	s_lshl_b64 s[10:11], s[6:7], 3
	s_add_u32 s20, s2, s10
	s_addc_u32 s21, s3, s11
	s_add_u32 s2, s20, 8
	s_addc_u32 s3, s21, 0
	;; [unrolled: 2-line block ×3, first 2 shown]
	s_cmp_eq_u64 s[8:9], 0
	s_cselect_b32 s9, s3, s11
	s_cselect_b32 s8, s2, s10
	s_load_dwordx2 s[2:3], s[8:9], 0x0
	s_load_dwordx2 s[18:19], s[20:21], 0x0
	v_sub_u16_e32 v16, v0, v5
	v_lshlrev_b32_e32 v15, 3, v0
	s_waitcnt lgkmcnt(0)
	v_mov_b32_e32 v6, s3
	v_mov_b32_e32 v5, s2
	v_cmp_ge_i64_e32 vcc, s[18:19], v[5:6]
	v_mov_b32_e32 v6, 0
	v_mov_b32_e32 v5, 0
	s_cbranch_vccnz .LBB172_10
; %bb.6:
	s_load_dwordx4 s[8:11], s[4:5], 0x38
	s_load_dwordx2 s[20:21], s[4:5], 0x48
	s_mov_b32 s4, 0xffff
	s_movk_i32 s5, 0x349
	v_and_b32_sdwa v5, s4, v7 dst_sel:DWORD dst_unused:UNUSED_PAD src0_sel:DWORD src1_sel:WORD_1
	s_sub_u32 s2, s2, s14
	v_subrev_u32_e32 v6, 29, v5
	v_cmp_gt_u32_e32 vcc, s5, v0
	s_subb_u32 s3, s3, 0
	v_cndmask_b32_e32 v5, v6, v5, vcc
	s_sub_u32 s4, s18, s14
	v_cndmask_b32_e64 v5, v16, v5, s[0:1]
	v_mov_b32_e32 v6, 0
	s_subb_u32 s5, s19, 0
	v_lshlrev_b64 v[7:8], 3, v[5:6]
	s_mul_i32 s0, s5, 0x1a48
	s_mul_hi_u32 s1, s4, 0x1a48
	s_add_i32 s1, s1, s0
	s_mul_i32 s0, s4, 0x1a48
	s_waitcnt lgkmcnt(0)
	v_mov_b32_e32 v5, s21
	v_add_co_u32_e32 v7, vcc, s20, v7
	s_add_u32 s0, s10, s0
	v_addc_co_u32_e32 v8, vcc, v5, v8, vcc
	s_addc_u32 s1, s11, s1
	v_mov_b32_e32 v5, s1
	v_add_co_u32_e32 v9, vcc, s0, v15
	v_addc_co_u32_e32 v10, vcc, 0, v5, vcc
	s_movk_i32 s0, 0x348
	v_cmp_lt_u32_e32 vcc, s0, v0
	v_cndmask_b32_e64 v17, 0, 1, vcc
	v_mov_b32_e32 v5, s19
	v_add_co_u32_e32 v11, vcc, s18, v17
	v_addc_co_u32_e32 v5, vcc, 0, v5, vcc
	v_subrev_co_u32_e32 v11, vcc, s14, v11
	v_subbrev_co_u32_e32 v12, vcc, 0, v5, vcc
	v_lshlrev_b64 v[11:12], 3, v[11:12]
	v_mov_b32_e32 v5, s9
	v_add_co_u32_e32 v11, vcc, s8, v11
	v_mov_b32_e32 v14, s3
	v_addc_co_u32_e32 v12, vcc, v5, v12, vcc
	s_movk_i32 s8, 0xe8
	v_mov_b32_e32 v13, s2
	v_mov_b32_e32 v5, v6
	s_branch .LBB172_8
.LBB172_7:                              ;   in Loop: Header=BB172_8 Depth=1
	s_or_b64 exec, exec, s[0:1]
	s_add_u32 s4, s4, 1
	s_addc_u32 s5, s5, 0
	v_cmp_lt_i64_e32 vcc, s[4:5], v[13:14]
	v_add_co_u32_e64 v11, s[0:1], 8, v11
	v_addc_co_u32_e64 v12, s[0:1], 0, v12, s[0:1]
	s_cbranch_vccz .LBB172_10
.LBB172_8:                              ; =>This Inner Loop Header: Depth=1
	v_mov_b32_e32 v19, s5
	v_add_co_u32_e32 v18, vcc, s4, v17
	v_addc_co_u32_e32 v19, vcc, 0, v19, vcc
	v_cmp_gt_i64_e32 vcc, s[2:3], v[18:19]
	s_and_saveexec_b64 s[0:1], vcc
	s_cbranch_execz .LBB172_7
; %bb.9:                                ;   in Loop: Header=BB172_8 Depth=1
	global_load_dwordx2 v[18:19], v[11:12], off
	s_waitcnt vmcnt(0)
	v_subrev_co_u32_e32 v18, vcc, s14, v18
	v_subbrev_co_u32_e32 v20, vcc, 0, v19, vcc
	v_mad_u64_u32 v[18:19], s[10:11], v18, s8, v[7:8]
	v_mad_u64_u32 v[19:20], s[10:11], v20, s8, v[19:20]
	global_load_dwordx2 v[20:21], v[9:10], off
	s_nop 0
	global_load_dwordx2 v[18:19], v[18:19], off
	v_add_co_u32_e32 v9, vcc, 0x1a48, v9
	v_addc_co_u32_e32 v10, vcc, 0, v10, vcc
	s_waitcnt vmcnt(0)
	v_fmac_f32_e32 v5, v20, v18
	v_fmac_f32_e32 v6, v21, v18
	v_fma_f32 v5, -v21, v19, v5
	v_fmac_f32_e32 v6, v20, v19
	s_branch .LBB172_7
.LBB172_10:
	s_and_b64 vcc, exec, s[16:17]
	ds_write_b64 v15, v[5:6]
	s_waitcnt lgkmcnt(0)
	s_barrier
	s_cbranch_vccz .LBB172_22
; %bb.11:
	v_cmp_gt_u16_e32 vcc, 13, v16
	s_and_saveexec_b64 s[0:1], vcc
	s_cbranch_execz .LBB172_13
; %bb.12:
	ds_read2_b64 v[7:10], v15 offset1:16
	s_waitcnt lgkmcnt(0)
	v_add_f32_e32 v7, v9, v7
	v_add_f32_e32 v8, v10, v8
	ds_write_b64 v15, v[7:8]
.LBB172_13:
	s_or_b64 exec, exec, s[0:1]
	v_cmp_gt_u16_e32 vcc, 8, v16
	s_waitcnt lgkmcnt(0)
	s_barrier
	s_and_saveexec_b64 s[0:1], vcc
	s_cbranch_execz .LBB172_15
; %bb.14:
	ds_read2_b64 v[7:10], v15 offset1:8
	s_waitcnt lgkmcnt(0)
	v_add_f32_e32 v7, v9, v7
	v_add_f32_e32 v8, v10, v8
	ds_write_b64 v15, v[7:8]
.LBB172_15:
	s_or_b64 exec, exec, s[0:1]
	v_cmp_gt_u16_e32 vcc, 4, v16
	s_waitcnt lgkmcnt(0)
	s_barrier
	;; [unrolled: 13-line block ×3, first 2 shown]
	s_and_saveexec_b64 s[0:1], vcc
	s_cbranch_execz .LBB172_19
; %bb.18:
	ds_read2_b64 v[7:10], v15 offset1:2
	s_waitcnt lgkmcnt(0)
	v_add_f32_e32 v7, v9, v7
	v_add_f32_e32 v8, v10, v8
	ds_write_b64 v15, v[7:8]
.LBB172_19:
	s_or_b64 exec, exec, s[0:1]
	v_cmp_gt_u32_e32 vcc, 29, v0
	v_mov_b32_e32 v8, v6
	v_mov_b32_e32 v7, v5
	s_waitcnt lgkmcnt(0)
	s_barrier
	s_and_saveexec_b64 s[0:1], vcc
	s_cbranch_execz .LBB172_21
; %bb.20:
	s_movk_i32 s2, 0xe0
	v_mad_u32_u24 v7, v0, s2, v15
	ds_read2_b64 v[7:10], v7 offset1:1
	s_waitcnt lgkmcnt(0)
	v_add_f32_e32 v7, v9, v7
	v_add_f32_e32 v8, v10, v8
.LBB172_21:
	s_or_b64 exec, exec, s[0:1]
	s_branch .LBB172_34
.LBB172_22:
                                        ; implicit-def: $vgpr8
                                        ; implicit-def: $vgpr7
	s_cbranch_execz .LBB172_34
; %bb.23:
	s_movk_i32 s0, 0x179
	v_cmp_gt_u32_e32 vcc, s0, v0
	s_and_saveexec_b64 s[0:1], vcc
	s_cbranch_execz .LBB172_25
; %bb.24:
	ds_read_b64 v[7:8], v15 offset:3712
	ds_read_b64 v[9:10], v15
	s_waitcnt lgkmcnt(0)
	v_add_f32_e32 v7, v7, v9
	v_add_f32_e32 v8, v8, v10
	ds_write_b64 v15, v[7:8]
.LBB172_25:
	s_or_b64 exec, exec, s[0:1]
	s_movk_i32 s0, 0xe8
	v_cmp_gt_u32_e32 vcc, s0, v0
	s_waitcnt lgkmcnt(0)
	s_barrier
	s_and_saveexec_b64 s[0:1], vcc
	s_cbranch_execz .LBB172_27
; %bb.26:
	ds_read2_b64 v[7:10], v15 offset1:232
	s_waitcnt lgkmcnt(0)
	v_add_f32_e32 v7, v9, v7
	v_add_f32_e32 v8, v10, v8
	ds_write_b64 v15, v[7:8]
.LBB172_27:
	s_or_b64 exec, exec, s[0:1]
	s_movk_i32 s0, 0x74
	v_cmp_gt_u32_e32 vcc, s0, v0
	s_waitcnt lgkmcnt(0)
	s_barrier
	s_and_saveexec_b64 s[0:1], vcc
	s_cbranch_execz .LBB172_29
; %bb.28:
	ds_read2_b64 v[7:10], v15 offset1:116
	s_waitcnt lgkmcnt(0)
	v_add_f32_e32 v7, v9, v7
	v_add_f32_e32 v8, v10, v8
	ds_write_b64 v15, v[7:8]
.LBB172_29:
	s_or_b64 exec, exec, s[0:1]
	v_cmp_gt_u32_e32 vcc, 58, v0
	s_waitcnt lgkmcnt(0)
	s_barrier
	s_and_saveexec_b64 s[0:1], vcc
	s_cbranch_execz .LBB172_31
; %bb.30:
	ds_read2_b64 v[7:10], v15 offset1:58
	s_waitcnt lgkmcnt(0)
	v_add_f32_e32 v7, v9, v7
	v_add_f32_e32 v8, v10, v8
	ds_write_b64 v15, v[7:8]
.LBB172_31:
	s_or_b64 exec, exec, s[0:1]
	v_cmp_gt_u32_e32 vcc, 29, v0
	s_waitcnt lgkmcnt(0)
	s_and_saveexec_b64 s[0:1], vcc
	s_cbranch_execz .LBB172_33
; %bb.32:
	ds_read2_b64 v[5:8], v15 offset1:29
	s_waitcnt lgkmcnt(0)
	v_add_f32_e32 v5, v7, v5
	v_add_f32_e32 v6, v8, v6
.LBB172_33:
	s_or_b64 exec, exec, s[0:1]
	v_mov_b32_e32 v8, v6
	v_mov_b32_e32 v7, v5
.LBB172_34:
	v_cmp_gt_u32_e32 vcc, 29, v0
	s_and_b64 exec, exec, vcc
	s_cbranch_execz .LBB172_39
; %bb.35:
	v_cmp_eq_f32_e32 vcc, 0, v1
	v_cmp_eq_f32_e64 s[0:1], 0, v2
	v_mul_f32_e64 v5, v8, -v4
	v_mul_f32_e32 v6, v3, v8
	s_and_b64 s[0:1], vcc, s[0:1]
	v_fmac_f32_e32 v5, v3, v7
	v_fmac_f32_e32 v6, v4, v7
	s_mul_i32 s2, s7, 0xe8
	s_mul_hi_u32 s3, s6, 0xe8
	s_mul_i32 s4, s6, 0xe8
	s_and_saveexec_b64 s[6:7], s[0:1]
	s_xor_b64 s[0:1], exec, s[6:7]
	s_cbranch_execz .LBB172_37
; %bb.36:
	s_add_i32 s5, s3, s2
	s_add_u32 s6, s12, s4
	s_addc_u32 s7, s13, s5
	global_store_dwordx2 v15, v[5:6], s[6:7]
                                        ; implicit-def: $vgpr15
                                        ; implicit-def: $vgpr1_vgpr2
                                        ; implicit-def: $vgpr5
.LBB172_37:
	s_andn2_saveexec_b64 s[0:1], s[0:1]
	s_cbranch_execz .LBB172_39
; %bb.38:
	s_add_i32 s3, s3, s2
	s_add_u32 s0, s12, s4
	s_addc_u32 s1, s13, s3
	global_load_dwordx2 v[3:4], v15, s[0:1]
	s_waitcnt vmcnt(0)
	v_fmac_f32_e32 v5, v1, v3
	v_fmac_f32_e32 v6, v2, v3
	v_fma_f32 v5, -v2, v4, v5
	v_fmac_f32_e32 v6, v1, v4
	global_store_dwordx2 v15, v[5:6], s[0:1]
.LBB172_39:
	s_endpgm
	.section	.rodata,"a",@progbits
	.p2align	6, 0x0
	.amdhsa_kernel _ZN9rocsparseL20bsrxmvn_17_32_kernelILj29E21rocsparse_complex_numIfEllS2_S2_S2_EEvT2_20rocsparse_direction_NS_24const_host_device_scalarIT0_EES3_PKS3_PKT1_SC_S9_PKT3_PKT4_S7_PT5_21rocsparse_index_base_b
		.amdhsa_group_segment_fixed_size 6728
		.amdhsa_private_segment_fixed_size 0
		.amdhsa_kernarg_size 104
		.amdhsa_user_sgpr_count 6
		.amdhsa_user_sgpr_private_segment_buffer 1
		.amdhsa_user_sgpr_dispatch_ptr 0
		.amdhsa_user_sgpr_queue_ptr 0
		.amdhsa_user_sgpr_kernarg_segment_ptr 1
		.amdhsa_user_sgpr_dispatch_id 0
		.amdhsa_user_sgpr_flat_scratch_init 0
		.amdhsa_user_sgpr_private_segment_size 0
		.amdhsa_uses_dynamic_stack 0
		.amdhsa_system_sgpr_private_segment_wavefront_offset 0
		.amdhsa_system_sgpr_workgroup_id_x 1
		.amdhsa_system_sgpr_workgroup_id_y 0
		.amdhsa_system_sgpr_workgroup_id_z 0
		.amdhsa_system_sgpr_workgroup_info 0
		.amdhsa_system_vgpr_workitem_id 0
		.amdhsa_next_free_vgpr 33
		.amdhsa_next_free_sgpr 77
		.amdhsa_reserve_vcc 1
		.amdhsa_reserve_flat_scratch 0
		.amdhsa_float_round_mode_32 0
		.amdhsa_float_round_mode_16_64 0
		.amdhsa_float_denorm_mode_32 3
		.amdhsa_float_denorm_mode_16_64 3
		.amdhsa_dx10_clamp 1
		.amdhsa_ieee_mode 1
		.amdhsa_fp16_overflow 0
		.amdhsa_exception_fp_ieee_invalid_op 0
		.amdhsa_exception_fp_denorm_src 0
		.amdhsa_exception_fp_ieee_div_zero 0
		.amdhsa_exception_fp_ieee_overflow 0
		.amdhsa_exception_fp_ieee_underflow 0
		.amdhsa_exception_fp_ieee_inexact 0
		.amdhsa_exception_int_div_zero 0
	.end_amdhsa_kernel
	.section	.text._ZN9rocsparseL20bsrxmvn_17_32_kernelILj29E21rocsparse_complex_numIfEllS2_S2_S2_EEvT2_20rocsparse_direction_NS_24const_host_device_scalarIT0_EES3_PKS3_PKT1_SC_S9_PKT3_PKT4_S7_PT5_21rocsparse_index_base_b,"axG",@progbits,_ZN9rocsparseL20bsrxmvn_17_32_kernelILj29E21rocsparse_complex_numIfEllS2_S2_S2_EEvT2_20rocsparse_direction_NS_24const_host_device_scalarIT0_EES3_PKS3_PKT1_SC_S9_PKT3_PKT4_S7_PT5_21rocsparse_index_base_b,comdat
.Lfunc_end172:
	.size	_ZN9rocsparseL20bsrxmvn_17_32_kernelILj29E21rocsparse_complex_numIfEllS2_S2_S2_EEvT2_20rocsparse_direction_NS_24const_host_device_scalarIT0_EES3_PKS3_PKT1_SC_S9_PKT3_PKT4_S7_PT5_21rocsparse_index_base_b, .Lfunc_end172-_ZN9rocsparseL20bsrxmvn_17_32_kernelILj29E21rocsparse_complex_numIfEllS2_S2_S2_EEvT2_20rocsparse_direction_NS_24const_host_device_scalarIT0_EES3_PKS3_PKT1_SC_S9_PKT3_PKT4_S7_PT5_21rocsparse_index_base_b
                                        ; -- End function
	.set _ZN9rocsparseL20bsrxmvn_17_32_kernelILj29E21rocsparse_complex_numIfEllS2_S2_S2_EEvT2_20rocsparse_direction_NS_24const_host_device_scalarIT0_EES3_PKS3_PKT1_SC_S9_PKT3_PKT4_S7_PT5_21rocsparse_index_base_b.num_vgpr, 22
	.set _ZN9rocsparseL20bsrxmvn_17_32_kernelILj29E21rocsparse_complex_numIfEllS2_S2_S2_EEvT2_20rocsparse_direction_NS_24const_host_device_scalarIT0_EES3_PKS3_PKT1_SC_S9_PKT3_PKT4_S7_PT5_21rocsparse_index_base_b.num_agpr, 0
	.set _ZN9rocsparseL20bsrxmvn_17_32_kernelILj29E21rocsparse_complex_numIfEllS2_S2_S2_EEvT2_20rocsparse_direction_NS_24const_host_device_scalarIT0_EES3_PKS3_PKT1_SC_S9_PKT3_PKT4_S7_PT5_21rocsparse_index_base_b.numbered_sgpr, 22
	.set _ZN9rocsparseL20bsrxmvn_17_32_kernelILj29E21rocsparse_complex_numIfEllS2_S2_S2_EEvT2_20rocsparse_direction_NS_24const_host_device_scalarIT0_EES3_PKS3_PKT1_SC_S9_PKT3_PKT4_S7_PT5_21rocsparse_index_base_b.num_named_barrier, 0
	.set _ZN9rocsparseL20bsrxmvn_17_32_kernelILj29E21rocsparse_complex_numIfEllS2_S2_S2_EEvT2_20rocsparse_direction_NS_24const_host_device_scalarIT0_EES3_PKS3_PKT1_SC_S9_PKT3_PKT4_S7_PT5_21rocsparse_index_base_b.private_seg_size, 0
	.set _ZN9rocsparseL20bsrxmvn_17_32_kernelILj29E21rocsparse_complex_numIfEllS2_S2_S2_EEvT2_20rocsparse_direction_NS_24const_host_device_scalarIT0_EES3_PKS3_PKT1_SC_S9_PKT3_PKT4_S7_PT5_21rocsparse_index_base_b.uses_vcc, 1
	.set _ZN9rocsparseL20bsrxmvn_17_32_kernelILj29E21rocsparse_complex_numIfEllS2_S2_S2_EEvT2_20rocsparse_direction_NS_24const_host_device_scalarIT0_EES3_PKS3_PKT1_SC_S9_PKT3_PKT4_S7_PT5_21rocsparse_index_base_b.uses_flat_scratch, 0
	.set _ZN9rocsparseL20bsrxmvn_17_32_kernelILj29E21rocsparse_complex_numIfEllS2_S2_S2_EEvT2_20rocsparse_direction_NS_24const_host_device_scalarIT0_EES3_PKS3_PKT1_SC_S9_PKT3_PKT4_S7_PT5_21rocsparse_index_base_b.has_dyn_sized_stack, 0
	.set _ZN9rocsparseL20bsrxmvn_17_32_kernelILj29E21rocsparse_complex_numIfEllS2_S2_S2_EEvT2_20rocsparse_direction_NS_24const_host_device_scalarIT0_EES3_PKS3_PKT1_SC_S9_PKT3_PKT4_S7_PT5_21rocsparse_index_base_b.has_recursion, 0
	.set _ZN9rocsparseL20bsrxmvn_17_32_kernelILj29E21rocsparse_complex_numIfEllS2_S2_S2_EEvT2_20rocsparse_direction_NS_24const_host_device_scalarIT0_EES3_PKS3_PKT1_SC_S9_PKT3_PKT4_S7_PT5_21rocsparse_index_base_b.has_indirect_call, 0
	.section	.AMDGPU.csdata,"",@progbits
; Kernel info:
; codeLenInByte = 1484
; TotalNumSgprs: 26
; NumVgprs: 22
; ScratchSize: 0
; MemoryBound: 0
; FloatMode: 240
; IeeeMode: 1
; LDSByteSize: 6728 bytes/workgroup (compile time only)
; SGPRBlocks: 10
; VGPRBlocks: 8
; NumSGPRsForWavesPerEU: 81
; NumVGPRsForWavesPerEU: 33
; Occupancy: 7
; WaveLimiterHint : 1
; COMPUTE_PGM_RSRC2:SCRATCH_EN: 0
; COMPUTE_PGM_RSRC2:USER_SGPR: 6
; COMPUTE_PGM_RSRC2:TRAP_HANDLER: 0
; COMPUTE_PGM_RSRC2:TGID_X_EN: 1
; COMPUTE_PGM_RSRC2:TGID_Y_EN: 0
; COMPUTE_PGM_RSRC2:TGID_Z_EN: 0
; COMPUTE_PGM_RSRC2:TIDIG_COMP_CNT: 0
	.section	.text._ZN9rocsparseL20bsrxmvn_17_32_kernelILj30E21rocsparse_complex_numIfEllS2_S2_S2_EEvT2_20rocsparse_direction_NS_24const_host_device_scalarIT0_EES3_PKS3_PKT1_SC_S9_PKT3_PKT4_S7_PT5_21rocsparse_index_base_b,"axG",@progbits,_ZN9rocsparseL20bsrxmvn_17_32_kernelILj30E21rocsparse_complex_numIfEllS2_S2_S2_EEvT2_20rocsparse_direction_NS_24const_host_device_scalarIT0_EES3_PKS3_PKT1_SC_S9_PKT3_PKT4_S7_PT5_21rocsparse_index_base_b,comdat
	.globl	_ZN9rocsparseL20bsrxmvn_17_32_kernelILj30E21rocsparse_complex_numIfEllS2_S2_S2_EEvT2_20rocsparse_direction_NS_24const_host_device_scalarIT0_EES3_PKS3_PKT1_SC_S9_PKT3_PKT4_S7_PT5_21rocsparse_index_base_b ; -- Begin function _ZN9rocsparseL20bsrxmvn_17_32_kernelILj30E21rocsparse_complex_numIfEllS2_S2_S2_EEvT2_20rocsparse_direction_NS_24const_host_device_scalarIT0_EES3_PKS3_PKT1_SC_S9_PKT3_PKT4_S7_PT5_21rocsparse_index_base_b
	.p2align	8
	.type	_ZN9rocsparseL20bsrxmvn_17_32_kernelILj30E21rocsparse_complex_numIfEllS2_S2_S2_EEvT2_20rocsparse_direction_NS_24const_host_device_scalarIT0_EES3_PKS3_PKT1_SC_S9_PKT3_PKT4_S7_PT5_21rocsparse_index_base_b,@function
_ZN9rocsparseL20bsrxmvn_17_32_kernelILj30E21rocsparse_complex_numIfEllS2_S2_S2_EEvT2_20rocsparse_direction_NS_24const_host_device_scalarIT0_EES3_PKS3_PKT1_SC_S9_PKT3_PKT4_S7_PT5_21rocsparse_index_base_b: ; @_ZN9rocsparseL20bsrxmvn_17_32_kernelILj30E21rocsparse_complex_numIfEllS2_S2_S2_EEvT2_20rocsparse_direction_NS_24const_host_device_scalarIT0_EES3_PKS3_PKT1_SC_S9_PKT3_PKT4_S7_PT5_21rocsparse_index_base_b
; %bb.0:
	s_load_dwordx2 s[0:1], s[4:5], 0x10
	s_load_dwordx2 s[14:15], s[4:5], 0x60
	s_add_u32 s7, s4, 16
	s_addc_u32 s8, s5, 0
	s_add_u32 s9, s4, 0x50
	s_load_dwordx2 s[2:3], s[4:5], 0x50
	s_addc_u32 s10, s5, 0
	s_waitcnt lgkmcnt(0)
	s_bitcmp1_b32 s15, 0
	s_cselect_b32 s1, s8, s1
	s_cselect_b32 s0, s7, s0
	v_mov_b32_e32 v1, s0
	v_mov_b32_e32 v2, s1
	flat_load_dwordx2 v[3:4], v[1:2]
	s_cselect_b32 s0, s10, s3
	s_cselect_b32 s1, s9, s2
	v_mov_b32_e32 v1, s1
	v_mov_b32_e32 v2, s0
	flat_load_dwordx2 v[1:2], v[1:2]
	s_waitcnt vmcnt(0) lgkmcnt(0)
	v_cmp_eq_f32_e32 vcc, 0, v3
	v_cmp_eq_f32_e64 s[0:1], 0, v4
	s_and_b64 s[8:9], vcc, s[0:1]
	s_mov_b64 s[0:1], -1
	s_and_saveexec_b64 s[2:3], s[8:9]
; %bb.1:
	v_cmp_neq_f32_e32 vcc, 1.0, v1
	v_cmp_neq_f32_e64 s[0:1], 0, v2
	s_or_b64 s[0:1], vcc, s[0:1]
	s_orn2_b64 s[0:1], s[0:1], exec
; %bb.2:
	s_or_b64 exec, exec, s[2:3]
	s_and_saveexec_b64 s[2:3], s[0:1]
	s_cbranch_execz .LBB173_39
; %bb.3:
	s_load_dwordx4 s[0:3], s[4:5], 0x20
	s_load_dwordx2 s[8:9], s[4:5], 0x30
	s_mov_b32 s7, 0
	s_waitcnt lgkmcnt(0)
	s_cmp_eq_u64 s[0:1], 0
	s_cbranch_scc1 .LBB173_5
; %bb.4:
	s_lshl_b64 s[6:7], s[6:7], 3
	s_add_u32 s0, s0, s6
	s_addc_u32 s1, s1, s7
	s_load_dwordx2 s[0:1], s[0:1], 0x0
	s_waitcnt lgkmcnt(0)
	s_sub_u32 s6, s0, s14
	s_subb_u32 s7, s1, 0
.LBB173_5:
	s_load_dword s10, s[4:5], 0x8
	s_load_dwordx2 s[12:13], s[4:5], 0x58
	v_mul_u32_u24_e32 v7, 0x889, v0
	v_mov_b32_e32 v5, 30
	v_mul_lo_u16_sdwa v5, v7, v5 dst_sel:DWORD dst_unused:UNUSED_PAD src0_sel:WORD_1 src1_sel:DWORD
	s_waitcnt lgkmcnt(0)
	s_cmp_eq_u32 s10, 1
	s_cselect_b64 s[0:1], -1, 0
	s_cmp_lg_u32 s10, 1
	s_cselect_b64 s[16:17], -1, 0
	s_lshl_b64 s[10:11], s[6:7], 3
	s_add_u32 s20, s2, s10
	s_addc_u32 s21, s3, s11
	s_add_u32 s2, s20, 8
	s_addc_u32 s3, s21, 0
	;; [unrolled: 2-line block ×3, first 2 shown]
	s_cmp_eq_u64 s[8:9], 0
	s_cselect_b32 s9, s3, s11
	s_cselect_b32 s8, s2, s10
	s_load_dwordx2 s[2:3], s[8:9], 0x0
	s_load_dwordx2 s[18:19], s[20:21], 0x0
	v_sub_u16_e32 v16, v0, v5
	v_lshlrev_b32_e32 v15, 3, v0
	s_waitcnt lgkmcnt(0)
	v_mov_b32_e32 v6, s3
	v_mov_b32_e32 v5, s2
	v_cmp_ge_i64_e32 vcc, s[18:19], v[5:6]
	v_mov_b32_e32 v6, 0
	v_mov_b32_e32 v5, 0
	s_cbranch_vccnz .LBB173_10
; %bb.6:
	s_load_dwordx4 s[8:11], s[4:5], 0x38
	s_load_dwordx2 s[20:21], s[4:5], 0x48
	s_mov_b32 s4, 0xffff
	s_movk_i32 s5, 0x384
	v_and_b32_sdwa v5, s4, v7 dst_sel:DWORD dst_unused:UNUSED_PAD src0_sel:DWORD src1_sel:WORD_1
	s_sub_u32 s2, s2, s14
	v_subrev_u32_e32 v6, 30, v5
	v_cmp_gt_u32_e32 vcc, s5, v0
	s_subb_u32 s3, s3, 0
	v_cndmask_b32_e32 v5, v6, v5, vcc
	s_sub_u32 s4, s18, s14
	v_cndmask_b32_e64 v5, v16, v5, s[0:1]
	v_mov_b32_e32 v6, 0
	s_subb_u32 s5, s19, 0
	v_lshlrev_b64 v[7:8], 3, v[5:6]
	s_mul_i32 s0, s5, 0x1c20
	s_mul_hi_u32 s1, s4, 0x1c20
	s_add_i32 s1, s1, s0
	s_mul_i32 s0, s4, 0x1c20
	s_waitcnt lgkmcnt(0)
	v_mov_b32_e32 v5, s21
	v_add_co_u32_e32 v7, vcc, s20, v7
	s_add_u32 s0, s10, s0
	v_addc_co_u32_e32 v8, vcc, v5, v8, vcc
	s_addc_u32 s1, s11, s1
	v_mov_b32_e32 v5, s1
	v_add_co_u32_e32 v9, vcc, s0, v15
	v_addc_co_u32_e32 v10, vcc, 0, v5, vcc
	s_movk_i32 s0, 0x383
	v_cmp_lt_u32_e32 vcc, s0, v0
	v_cndmask_b32_e64 v17, 0, 1, vcc
	v_mov_b32_e32 v5, s19
	v_add_co_u32_e32 v11, vcc, s18, v17
	v_addc_co_u32_e32 v5, vcc, 0, v5, vcc
	v_subrev_co_u32_e32 v11, vcc, s14, v11
	v_subbrev_co_u32_e32 v12, vcc, 0, v5, vcc
	v_lshlrev_b64 v[11:12], 3, v[11:12]
	v_mov_b32_e32 v5, s9
	v_add_co_u32_e32 v11, vcc, s8, v11
	v_mov_b32_e32 v14, s3
	v_addc_co_u32_e32 v12, vcc, v5, v12, vcc
	s_movk_i32 s8, 0xf0
	v_mov_b32_e32 v13, s2
	v_mov_b32_e32 v5, v6
	s_branch .LBB173_8
.LBB173_7:                              ;   in Loop: Header=BB173_8 Depth=1
	s_or_b64 exec, exec, s[0:1]
	s_add_u32 s4, s4, 1
	s_addc_u32 s5, s5, 0
	v_cmp_lt_i64_e32 vcc, s[4:5], v[13:14]
	v_add_co_u32_e64 v11, s[0:1], 8, v11
	v_addc_co_u32_e64 v12, s[0:1], 0, v12, s[0:1]
	s_cbranch_vccz .LBB173_10
.LBB173_8:                              ; =>This Inner Loop Header: Depth=1
	v_mov_b32_e32 v19, s5
	v_add_co_u32_e32 v18, vcc, s4, v17
	v_addc_co_u32_e32 v19, vcc, 0, v19, vcc
	v_cmp_gt_i64_e32 vcc, s[2:3], v[18:19]
	s_and_saveexec_b64 s[0:1], vcc
	s_cbranch_execz .LBB173_7
; %bb.9:                                ;   in Loop: Header=BB173_8 Depth=1
	global_load_dwordx2 v[18:19], v[11:12], off
	s_waitcnt vmcnt(0)
	v_subrev_co_u32_e32 v18, vcc, s14, v18
	v_subbrev_co_u32_e32 v20, vcc, 0, v19, vcc
	v_mad_u64_u32 v[18:19], s[10:11], v18, s8, v[7:8]
	v_mad_u64_u32 v[19:20], s[10:11], v20, s8, v[19:20]
	global_load_dwordx2 v[20:21], v[9:10], off
	s_nop 0
	global_load_dwordx2 v[18:19], v[18:19], off
	v_add_co_u32_e32 v9, vcc, 0x1c20, v9
	v_addc_co_u32_e32 v10, vcc, 0, v10, vcc
	s_waitcnt vmcnt(0)
	v_fmac_f32_e32 v5, v20, v18
	v_fmac_f32_e32 v6, v21, v18
	v_fma_f32 v5, -v21, v19, v5
	v_fmac_f32_e32 v6, v20, v19
	s_branch .LBB173_7
.LBB173_10:
	s_and_b64 vcc, exec, s[16:17]
	ds_write_b64 v15, v[5:6]
	s_waitcnt lgkmcnt(0)
	s_barrier
	s_cbranch_vccz .LBB173_22
; %bb.11:
	v_cmp_gt_u16_e32 vcc, 14, v16
	s_and_saveexec_b64 s[0:1], vcc
	s_cbranch_execz .LBB173_13
; %bb.12:
	ds_read2_b64 v[7:10], v15 offset1:16
	s_waitcnt lgkmcnt(0)
	v_add_f32_e32 v7, v9, v7
	v_add_f32_e32 v8, v10, v8
	ds_write_b64 v15, v[7:8]
.LBB173_13:
	s_or_b64 exec, exec, s[0:1]
	v_cmp_gt_u16_e32 vcc, 8, v16
	s_waitcnt lgkmcnt(0)
	s_barrier
	s_and_saveexec_b64 s[0:1], vcc
	s_cbranch_execz .LBB173_15
; %bb.14:
	ds_read2_b64 v[7:10], v15 offset1:8
	s_waitcnt lgkmcnt(0)
	v_add_f32_e32 v7, v9, v7
	v_add_f32_e32 v8, v10, v8
	ds_write_b64 v15, v[7:8]
.LBB173_15:
	s_or_b64 exec, exec, s[0:1]
	v_cmp_gt_u16_e32 vcc, 4, v16
	s_waitcnt lgkmcnt(0)
	s_barrier
	s_and_saveexec_b64 s[0:1], vcc
	s_cbranch_execz .LBB173_17
; %bb.16:
	ds_read2_b64 v[7:10], v15 offset1:4
	s_waitcnt lgkmcnt(0)
	v_add_f32_e32 v7, v9, v7
	v_add_f32_e32 v8, v10, v8
	ds_write_b64 v15, v[7:8]
.LBB173_17:
	s_or_b64 exec, exec, s[0:1]
	v_cmp_gt_u16_e32 vcc, 2, v16
	s_waitcnt lgkmcnt(0)
	s_barrier
	s_and_saveexec_b64 s[0:1], vcc
	s_cbranch_execz .LBB173_19
; %bb.18:
	ds_read2_b64 v[7:10], v15 offset1:2
	s_waitcnt lgkmcnt(0)
	v_add_f32_e32 v7, v9, v7
	v_add_f32_e32 v8, v10, v8
	ds_write_b64 v15, v[7:8]
.LBB173_19:
	s_or_b64 exec, exec, s[0:1]
	v_cmp_gt_u32_e32 vcc, 30, v0
	v_mov_b32_e32 v8, v6
	v_mov_b32_e32 v7, v5
	s_waitcnt lgkmcnt(0)
	s_barrier
	s_and_saveexec_b64 s[0:1], vcc
	s_cbranch_execz .LBB173_21
; %bb.20:
	s_movk_i32 s2, 0xe8
	v_mad_u32_u24 v7, v0, s2, v15
	ds_read2_b64 v[7:10], v7 offset1:1
	s_waitcnt lgkmcnt(0)
	v_add_f32_e32 v7, v9, v7
	v_add_f32_e32 v8, v10, v8
.LBB173_21:
	s_or_b64 exec, exec, s[0:1]
	s_branch .LBB173_34
.LBB173_22:
                                        ; implicit-def: $vgpr8
                                        ; implicit-def: $vgpr7
	s_cbranch_execz .LBB173_34
; %bb.23:
	s_movk_i32 s0, 0x1a4
	v_cmp_gt_u32_e32 vcc, s0, v0
	s_and_saveexec_b64 s[0:1], vcc
	s_cbranch_execz .LBB173_25
; %bb.24:
	ds_read_b64 v[7:8], v15 offset:3840
	ds_read_b64 v[9:10], v15
	s_waitcnt lgkmcnt(0)
	v_add_f32_e32 v7, v7, v9
	v_add_f32_e32 v8, v8, v10
	ds_write_b64 v15, v[7:8]
.LBB173_25:
	s_or_b64 exec, exec, s[0:1]
	s_movk_i32 s0, 0xf0
	v_cmp_gt_u32_e32 vcc, s0, v0
	s_waitcnt lgkmcnt(0)
	s_barrier
	s_and_saveexec_b64 s[0:1], vcc
	s_cbranch_execz .LBB173_27
; %bb.26:
	ds_read2_b64 v[7:10], v15 offset1:240
	s_waitcnt lgkmcnt(0)
	v_add_f32_e32 v7, v9, v7
	v_add_f32_e32 v8, v10, v8
	ds_write_b64 v15, v[7:8]
.LBB173_27:
	s_or_b64 exec, exec, s[0:1]
	s_movk_i32 s0, 0x78
	v_cmp_gt_u32_e32 vcc, s0, v0
	s_waitcnt lgkmcnt(0)
	s_barrier
	s_and_saveexec_b64 s[0:1], vcc
	s_cbranch_execz .LBB173_29
; %bb.28:
	ds_read2_b64 v[7:10], v15 offset1:120
	s_waitcnt lgkmcnt(0)
	v_add_f32_e32 v7, v9, v7
	v_add_f32_e32 v8, v10, v8
	ds_write_b64 v15, v[7:8]
.LBB173_29:
	s_or_b64 exec, exec, s[0:1]
	v_cmp_gt_u32_e32 vcc, 60, v0
	s_waitcnt lgkmcnt(0)
	s_barrier
	s_and_saveexec_b64 s[0:1], vcc
	s_cbranch_execz .LBB173_31
; %bb.30:
	ds_read2_b64 v[7:10], v15 offset1:60
	s_waitcnt lgkmcnt(0)
	v_add_f32_e32 v7, v9, v7
	v_add_f32_e32 v8, v10, v8
	ds_write_b64 v15, v[7:8]
.LBB173_31:
	s_or_b64 exec, exec, s[0:1]
	v_cmp_gt_u32_e32 vcc, 30, v0
	s_waitcnt lgkmcnt(0)
	s_and_saveexec_b64 s[0:1], vcc
	s_cbranch_execz .LBB173_33
; %bb.32:
	ds_read2_b64 v[5:8], v15 offset1:30
	s_waitcnt lgkmcnt(0)
	v_add_f32_e32 v5, v7, v5
	v_add_f32_e32 v6, v8, v6
.LBB173_33:
	s_or_b64 exec, exec, s[0:1]
	v_mov_b32_e32 v8, v6
	v_mov_b32_e32 v7, v5
.LBB173_34:
	v_cmp_gt_u32_e32 vcc, 30, v0
	s_and_b64 exec, exec, vcc
	s_cbranch_execz .LBB173_39
; %bb.35:
	v_cmp_eq_f32_e32 vcc, 0, v1
	v_cmp_eq_f32_e64 s[0:1], 0, v2
	v_mul_f32_e64 v5, v8, -v4
	v_mul_f32_e32 v6, v3, v8
	s_and_b64 s[0:1], vcc, s[0:1]
	v_fmac_f32_e32 v5, v3, v7
	v_fmac_f32_e32 v6, v4, v7
	s_mul_i32 s2, s7, 0xf0
	s_mul_hi_u32 s3, s6, 0xf0
	s_mul_i32 s4, s6, 0xf0
	s_and_saveexec_b64 s[6:7], s[0:1]
	s_xor_b64 s[0:1], exec, s[6:7]
	s_cbranch_execz .LBB173_37
; %bb.36:
	s_add_i32 s5, s3, s2
	s_add_u32 s6, s12, s4
	s_addc_u32 s7, s13, s5
	global_store_dwordx2 v15, v[5:6], s[6:7]
                                        ; implicit-def: $vgpr15
                                        ; implicit-def: $vgpr1_vgpr2
                                        ; implicit-def: $vgpr5
.LBB173_37:
	s_andn2_saveexec_b64 s[0:1], s[0:1]
	s_cbranch_execz .LBB173_39
; %bb.38:
	s_add_i32 s3, s3, s2
	s_add_u32 s0, s12, s4
	s_addc_u32 s1, s13, s3
	global_load_dwordx2 v[3:4], v15, s[0:1]
	s_waitcnt vmcnt(0)
	v_fmac_f32_e32 v5, v1, v3
	v_fmac_f32_e32 v6, v2, v3
	v_fma_f32 v5, -v2, v4, v5
	v_fmac_f32_e32 v6, v1, v4
	global_store_dwordx2 v15, v[5:6], s[0:1]
.LBB173_39:
	s_endpgm
	.section	.rodata,"a",@progbits
	.p2align	6, 0x0
	.amdhsa_kernel _ZN9rocsparseL20bsrxmvn_17_32_kernelILj30E21rocsparse_complex_numIfEllS2_S2_S2_EEvT2_20rocsparse_direction_NS_24const_host_device_scalarIT0_EES3_PKS3_PKT1_SC_S9_PKT3_PKT4_S7_PT5_21rocsparse_index_base_b
		.amdhsa_group_segment_fixed_size 7200
		.amdhsa_private_segment_fixed_size 0
		.amdhsa_kernarg_size 104
		.amdhsa_user_sgpr_count 6
		.amdhsa_user_sgpr_private_segment_buffer 1
		.amdhsa_user_sgpr_dispatch_ptr 0
		.amdhsa_user_sgpr_queue_ptr 0
		.amdhsa_user_sgpr_kernarg_segment_ptr 1
		.amdhsa_user_sgpr_dispatch_id 0
		.amdhsa_user_sgpr_flat_scratch_init 0
		.amdhsa_user_sgpr_private_segment_size 0
		.amdhsa_uses_dynamic_stack 0
		.amdhsa_system_sgpr_private_segment_wavefront_offset 0
		.amdhsa_system_sgpr_workgroup_id_x 1
		.amdhsa_system_sgpr_workgroup_id_y 0
		.amdhsa_system_sgpr_workgroup_id_z 0
		.amdhsa_system_sgpr_workgroup_info 0
		.amdhsa_system_vgpr_workitem_id 0
		.amdhsa_next_free_vgpr 29
		.amdhsa_next_free_sgpr 61
		.amdhsa_reserve_vcc 1
		.amdhsa_reserve_flat_scratch 0
		.amdhsa_float_round_mode_32 0
		.amdhsa_float_round_mode_16_64 0
		.amdhsa_float_denorm_mode_32 3
		.amdhsa_float_denorm_mode_16_64 3
		.amdhsa_dx10_clamp 1
		.amdhsa_ieee_mode 1
		.amdhsa_fp16_overflow 0
		.amdhsa_exception_fp_ieee_invalid_op 0
		.amdhsa_exception_fp_denorm_src 0
		.amdhsa_exception_fp_ieee_div_zero 0
		.amdhsa_exception_fp_ieee_overflow 0
		.amdhsa_exception_fp_ieee_underflow 0
		.amdhsa_exception_fp_ieee_inexact 0
		.amdhsa_exception_int_div_zero 0
	.end_amdhsa_kernel
	.section	.text._ZN9rocsparseL20bsrxmvn_17_32_kernelILj30E21rocsparse_complex_numIfEllS2_S2_S2_EEvT2_20rocsparse_direction_NS_24const_host_device_scalarIT0_EES3_PKS3_PKT1_SC_S9_PKT3_PKT4_S7_PT5_21rocsparse_index_base_b,"axG",@progbits,_ZN9rocsparseL20bsrxmvn_17_32_kernelILj30E21rocsparse_complex_numIfEllS2_S2_S2_EEvT2_20rocsparse_direction_NS_24const_host_device_scalarIT0_EES3_PKS3_PKT1_SC_S9_PKT3_PKT4_S7_PT5_21rocsparse_index_base_b,comdat
.Lfunc_end173:
	.size	_ZN9rocsparseL20bsrxmvn_17_32_kernelILj30E21rocsparse_complex_numIfEllS2_S2_S2_EEvT2_20rocsparse_direction_NS_24const_host_device_scalarIT0_EES3_PKS3_PKT1_SC_S9_PKT3_PKT4_S7_PT5_21rocsparse_index_base_b, .Lfunc_end173-_ZN9rocsparseL20bsrxmvn_17_32_kernelILj30E21rocsparse_complex_numIfEllS2_S2_S2_EEvT2_20rocsparse_direction_NS_24const_host_device_scalarIT0_EES3_PKS3_PKT1_SC_S9_PKT3_PKT4_S7_PT5_21rocsparse_index_base_b
                                        ; -- End function
	.set _ZN9rocsparseL20bsrxmvn_17_32_kernelILj30E21rocsparse_complex_numIfEllS2_S2_S2_EEvT2_20rocsparse_direction_NS_24const_host_device_scalarIT0_EES3_PKS3_PKT1_SC_S9_PKT3_PKT4_S7_PT5_21rocsparse_index_base_b.num_vgpr, 22
	.set _ZN9rocsparseL20bsrxmvn_17_32_kernelILj30E21rocsparse_complex_numIfEllS2_S2_S2_EEvT2_20rocsparse_direction_NS_24const_host_device_scalarIT0_EES3_PKS3_PKT1_SC_S9_PKT3_PKT4_S7_PT5_21rocsparse_index_base_b.num_agpr, 0
	.set _ZN9rocsparseL20bsrxmvn_17_32_kernelILj30E21rocsparse_complex_numIfEllS2_S2_S2_EEvT2_20rocsparse_direction_NS_24const_host_device_scalarIT0_EES3_PKS3_PKT1_SC_S9_PKT3_PKT4_S7_PT5_21rocsparse_index_base_b.numbered_sgpr, 22
	.set _ZN9rocsparseL20bsrxmvn_17_32_kernelILj30E21rocsparse_complex_numIfEllS2_S2_S2_EEvT2_20rocsparse_direction_NS_24const_host_device_scalarIT0_EES3_PKS3_PKT1_SC_S9_PKT3_PKT4_S7_PT5_21rocsparse_index_base_b.num_named_barrier, 0
	.set _ZN9rocsparseL20bsrxmvn_17_32_kernelILj30E21rocsparse_complex_numIfEllS2_S2_S2_EEvT2_20rocsparse_direction_NS_24const_host_device_scalarIT0_EES3_PKS3_PKT1_SC_S9_PKT3_PKT4_S7_PT5_21rocsparse_index_base_b.private_seg_size, 0
	.set _ZN9rocsparseL20bsrxmvn_17_32_kernelILj30E21rocsparse_complex_numIfEllS2_S2_S2_EEvT2_20rocsparse_direction_NS_24const_host_device_scalarIT0_EES3_PKS3_PKT1_SC_S9_PKT3_PKT4_S7_PT5_21rocsparse_index_base_b.uses_vcc, 1
	.set _ZN9rocsparseL20bsrxmvn_17_32_kernelILj30E21rocsparse_complex_numIfEllS2_S2_S2_EEvT2_20rocsparse_direction_NS_24const_host_device_scalarIT0_EES3_PKS3_PKT1_SC_S9_PKT3_PKT4_S7_PT5_21rocsparse_index_base_b.uses_flat_scratch, 0
	.set _ZN9rocsparseL20bsrxmvn_17_32_kernelILj30E21rocsparse_complex_numIfEllS2_S2_S2_EEvT2_20rocsparse_direction_NS_24const_host_device_scalarIT0_EES3_PKS3_PKT1_SC_S9_PKT3_PKT4_S7_PT5_21rocsparse_index_base_b.has_dyn_sized_stack, 0
	.set _ZN9rocsparseL20bsrxmvn_17_32_kernelILj30E21rocsparse_complex_numIfEllS2_S2_S2_EEvT2_20rocsparse_direction_NS_24const_host_device_scalarIT0_EES3_PKS3_PKT1_SC_S9_PKT3_PKT4_S7_PT5_21rocsparse_index_base_b.has_recursion, 0
	.set _ZN9rocsparseL20bsrxmvn_17_32_kernelILj30E21rocsparse_complex_numIfEllS2_S2_S2_EEvT2_20rocsparse_direction_NS_24const_host_device_scalarIT0_EES3_PKS3_PKT1_SC_S9_PKT3_PKT4_S7_PT5_21rocsparse_index_base_b.has_indirect_call, 0
	.section	.AMDGPU.csdata,"",@progbits
; Kernel info:
; codeLenInByte = 1484
; TotalNumSgprs: 26
; NumVgprs: 22
; ScratchSize: 0
; MemoryBound: 0
; FloatMode: 240
; IeeeMode: 1
; LDSByteSize: 7200 bytes/workgroup (compile time only)
; SGPRBlocks: 8
; VGPRBlocks: 7
; NumSGPRsForWavesPerEU: 65
; NumVGPRsForWavesPerEU: 29
; Occupancy: 8
; WaveLimiterHint : 1
; COMPUTE_PGM_RSRC2:SCRATCH_EN: 0
; COMPUTE_PGM_RSRC2:USER_SGPR: 6
; COMPUTE_PGM_RSRC2:TRAP_HANDLER: 0
; COMPUTE_PGM_RSRC2:TGID_X_EN: 1
; COMPUTE_PGM_RSRC2:TGID_Y_EN: 0
; COMPUTE_PGM_RSRC2:TGID_Z_EN: 0
; COMPUTE_PGM_RSRC2:TIDIG_COMP_CNT: 0
	.section	.text._ZN9rocsparseL20bsrxmvn_17_32_kernelILj31E21rocsparse_complex_numIfEllS2_S2_S2_EEvT2_20rocsparse_direction_NS_24const_host_device_scalarIT0_EES3_PKS3_PKT1_SC_S9_PKT3_PKT4_S7_PT5_21rocsparse_index_base_b,"axG",@progbits,_ZN9rocsparseL20bsrxmvn_17_32_kernelILj31E21rocsparse_complex_numIfEllS2_S2_S2_EEvT2_20rocsparse_direction_NS_24const_host_device_scalarIT0_EES3_PKS3_PKT1_SC_S9_PKT3_PKT4_S7_PT5_21rocsparse_index_base_b,comdat
	.globl	_ZN9rocsparseL20bsrxmvn_17_32_kernelILj31E21rocsparse_complex_numIfEllS2_S2_S2_EEvT2_20rocsparse_direction_NS_24const_host_device_scalarIT0_EES3_PKS3_PKT1_SC_S9_PKT3_PKT4_S7_PT5_21rocsparse_index_base_b ; -- Begin function _ZN9rocsparseL20bsrxmvn_17_32_kernelILj31E21rocsparse_complex_numIfEllS2_S2_S2_EEvT2_20rocsparse_direction_NS_24const_host_device_scalarIT0_EES3_PKS3_PKT1_SC_S9_PKT3_PKT4_S7_PT5_21rocsparse_index_base_b
	.p2align	8
	.type	_ZN9rocsparseL20bsrxmvn_17_32_kernelILj31E21rocsparse_complex_numIfEllS2_S2_S2_EEvT2_20rocsparse_direction_NS_24const_host_device_scalarIT0_EES3_PKS3_PKT1_SC_S9_PKT3_PKT4_S7_PT5_21rocsparse_index_base_b,@function
_ZN9rocsparseL20bsrxmvn_17_32_kernelILj31E21rocsparse_complex_numIfEllS2_S2_S2_EEvT2_20rocsparse_direction_NS_24const_host_device_scalarIT0_EES3_PKS3_PKT1_SC_S9_PKT3_PKT4_S7_PT5_21rocsparse_index_base_b: ; @_ZN9rocsparseL20bsrxmvn_17_32_kernelILj31E21rocsparse_complex_numIfEllS2_S2_S2_EEvT2_20rocsparse_direction_NS_24const_host_device_scalarIT0_EES3_PKS3_PKT1_SC_S9_PKT3_PKT4_S7_PT5_21rocsparse_index_base_b
; %bb.0:
	s_load_dwordx2 s[0:1], s[4:5], 0x10
	s_load_dwordx2 s[14:15], s[4:5], 0x60
	s_add_u32 s7, s4, 16
	s_addc_u32 s8, s5, 0
	s_add_u32 s9, s4, 0x50
	s_load_dwordx2 s[2:3], s[4:5], 0x50
	s_addc_u32 s10, s5, 0
	s_waitcnt lgkmcnt(0)
	s_bitcmp1_b32 s15, 0
	s_cselect_b32 s1, s8, s1
	s_cselect_b32 s0, s7, s0
	v_mov_b32_e32 v1, s0
	v_mov_b32_e32 v2, s1
	flat_load_dwordx2 v[3:4], v[1:2]
	s_cselect_b32 s0, s10, s3
	s_cselect_b32 s1, s9, s2
	v_mov_b32_e32 v1, s1
	v_mov_b32_e32 v2, s0
	flat_load_dwordx2 v[1:2], v[1:2]
	s_waitcnt vmcnt(0) lgkmcnt(0)
	v_cmp_eq_f32_e32 vcc, 0, v3
	v_cmp_eq_f32_e64 s[0:1], 0, v4
	s_and_b64 s[8:9], vcc, s[0:1]
	s_mov_b64 s[0:1], -1
	s_and_saveexec_b64 s[2:3], s[8:9]
; %bb.1:
	v_cmp_neq_f32_e32 vcc, 1.0, v1
	v_cmp_neq_f32_e64 s[0:1], 0, v2
	s_or_b64 s[0:1], vcc, s[0:1]
	s_orn2_b64 s[0:1], s[0:1], exec
; %bb.2:
	s_or_b64 exec, exec, s[2:3]
	s_and_saveexec_b64 s[2:3], s[0:1]
	s_cbranch_execz .LBB174_39
; %bb.3:
	s_load_dwordx4 s[0:3], s[4:5], 0x20
	s_load_dwordx2 s[8:9], s[4:5], 0x30
	s_mov_b32 s7, 0
	s_waitcnt lgkmcnt(0)
	s_cmp_eq_u64 s[0:1], 0
	s_cbranch_scc1 .LBB174_5
; %bb.4:
	s_lshl_b64 s[6:7], s[6:7], 3
	s_add_u32 s0, s0, s6
	s_addc_u32 s1, s1, s7
	s_load_dwordx2 s[0:1], s[0:1], 0x0
	s_waitcnt lgkmcnt(0)
	s_sub_u32 s6, s0, s14
	s_subb_u32 s7, s1, 0
.LBB174_5:
	s_load_dword s10, s[4:5], 0x8
	s_load_dwordx2 s[12:13], s[4:5], 0x58
	v_mul_u32_u24_e32 v7, 0x843, v0
	v_mov_b32_e32 v5, 31
	v_mul_lo_u16_sdwa v5, v7, v5 dst_sel:DWORD dst_unused:UNUSED_PAD src0_sel:WORD_1 src1_sel:DWORD
	s_waitcnt lgkmcnt(0)
	s_cmp_eq_u32 s10, 1
	s_cselect_b64 s[0:1], -1, 0
	s_cmp_lg_u32 s10, 1
	s_cselect_b64 s[16:17], -1, 0
	s_lshl_b64 s[10:11], s[6:7], 3
	s_add_u32 s20, s2, s10
	s_addc_u32 s21, s3, s11
	s_add_u32 s2, s20, 8
	s_addc_u32 s3, s21, 0
	;; [unrolled: 2-line block ×3, first 2 shown]
	s_cmp_eq_u64 s[8:9], 0
	s_cselect_b32 s9, s3, s11
	s_cselect_b32 s8, s2, s10
	s_load_dwordx2 s[2:3], s[8:9], 0x0
	s_load_dwordx2 s[18:19], s[20:21], 0x0
	v_sub_u16_e32 v16, v0, v5
	v_lshlrev_b32_e32 v15, 3, v0
	s_waitcnt lgkmcnt(0)
	v_mov_b32_e32 v6, s3
	v_mov_b32_e32 v5, s2
	v_cmp_ge_i64_e32 vcc, s[18:19], v[5:6]
	v_mov_b32_e32 v6, 0
	v_mov_b32_e32 v5, 0
	s_cbranch_vccnz .LBB174_10
; %bb.6:
	s_load_dwordx4 s[8:11], s[4:5], 0x38
	s_load_dwordx2 s[20:21], s[4:5], 0x48
	s_mov_b32 s4, 0xffff
	s_movk_i32 s5, 0x3c1
	v_and_b32_sdwa v5, s4, v7 dst_sel:DWORD dst_unused:UNUSED_PAD src0_sel:DWORD src1_sel:WORD_1
	s_sub_u32 s2, s2, s14
	v_subrev_u32_e32 v6, 31, v5
	v_cmp_gt_u32_e32 vcc, s5, v0
	s_subb_u32 s3, s3, 0
	v_cndmask_b32_e32 v5, v6, v5, vcc
	s_sub_u32 s4, s18, s14
	v_cndmask_b32_e64 v5, v16, v5, s[0:1]
	v_mov_b32_e32 v6, 0
	s_subb_u32 s5, s19, 0
	v_lshlrev_b64 v[7:8], 3, v[5:6]
	s_mul_i32 s0, s5, 0x1e08
	s_mul_hi_u32 s1, s4, 0x1e08
	s_add_i32 s1, s1, s0
	s_mul_i32 s0, s4, 0x1e08
	s_waitcnt lgkmcnt(0)
	v_mov_b32_e32 v5, s21
	v_add_co_u32_e32 v7, vcc, s20, v7
	s_add_u32 s0, s10, s0
	v_addc_co_u32_e32 v8, vcc, v5, v8, vcc
	s_addc_u32 s1, s11, s1
	v_mov_b32_e32 v5, s1
	v_add_co_u32_e32 v9, vcc, s0, v15
	v_addc_co_u32_e32 v10, vcc, 0, v5, vcc
	s_movk_i32 s0, 0x3c0
	v_cmp_lt_u32_e32 vcc, s0, v0
	v_cndmask_b32_e64 v17, 0, 1, vcc
	v_mov_b32_e32 v5, s19
	v_add_co_u32_e32 v11, vcc, s18, v17
	v_addc_co_u32_e32 v5, vcc, 0, v5, vcc
	v_subrev_co_u32_e32 v11, vcc, s14, v11
	v_subbrev_co_u32_e32 v12, vcc, 0, v5, vcc
	v_lshlrev_b64 v[11:12], 3, v[11:12]
	v_mov_b32_e32 v5, s9
	v_add_co_u32_e32 v11, vcc, s8, v11
	v_mov_b32_e32 v14, s3
	v_addc_co_u32_e32 v12, vcc, v5, v12, vcc
	s_movk_i32 s8, 0xf8
	v_mov_b32_e32 v13, s2
	v_mov_b32_e32 v5, v6
	s_branch .LBB174_8
.LBB174_7:                              ;   in Loop: Header=BB174_8 Depth=1
	s_or_b64 exec, exec, s[0:1]
	s_add_u32 s4, s4, 1
	s_addc_u32 s5, s5, 0
	v_cmp_lt_i64_e32 vcc, s[4:5], v[13:14]
	v_add_co_u32_e64 v11, s[0:1], 8, v11
	v_addc_co_u32_e64 v12, s[0:1], 0, v12, s[0:1]
	s_cbranch_vccz .LBB174_10
.LBB174_8:                              ; =>This Inner Loop Header: Depth=1
	v_mov_b32_e32 v19, s5
	v_add_co_u32_e32 v18, vcc, s4, v17
	v_addc_co_u32_e32 v19, vcc, 0, v19, vcc
	v_cmp_gt_i64_e32 vcc, s[2:3], v[18:19]
	s_and_saveexec_b64 s[0:1], vcc
	s_cbranch_execz .LBB174_7
; %bb.9:                                ;   in Loop: Header=BB174_8 Depth=1
	global_load_dwordx2 v[18:19], v[11:12], off
	s_waitcnt vmcnt(0)
	v_subrev_co_u32_e32 v18, vcc, s14, v18
	v_subbrev_co_u32_e32 v20, vcc, 0, v19, vcc
	v_mad_u64_u32 v[18:19], s[10:11], v18, s8, v[7:8]
	v_mad_u64_u32 v[19:20], s[10:11], v20, s8, v[19:20]
	global_load_dwordx2 v[20:21], v[9:10], off
	s_nop 0
	global_load_dwordx2 v[18:19], v[18:19], off
	v_add_co_u32_e32 v9, vcc, 0x1e08, v9
	v_addc_co_u32_e32 v10, vcc, 0, v10, vcc
	s_waitcnt vmcnt(0)
	v_fmac_f32_e32 v5, v20, v18
	v_fmac_f32_e32 v6, v21, v18
	v_fma_f32 v5, -v21, v19, v5
	v_fmac_f32_e32 v6, v20, v19
	s_branch .LBB174_7
.LBB174_10:
	s_and_b64 vcc, exec, s[16:17]
	ds_write_b64 v15, v[5:6]
	s_waitcnt lgkmcnt(0)
	s_barrier
	s_cbranch_vccz .LBB174_22
; %bb.11:
	v_cmp_gt_u16_e32 vcc, 15, v16
	s_and_saveexec_b64 s[0:1], vcc
	s_cbranch_execz .LBB174_13
; %bb.12:
	ds_read2_b64 v[7:10], v15 offset1:16
	s_waitcnt lgkmcnt(0)
	v_add_f32_e32 v7, v9, v7
	v_add_f32_e32 v8, v10, v8
	ds_write_b64 v15, v[7:8]
.LBB174_13:
	s_or_b64 exec, exec, s[0:1]
	v_cmp_gt_u16_e32 vcc, 8, v16
	s_waitcnt lgkmcnt(0)
	s_barrier
	s_and_saveexec_b64 s[0:1], vcc
	s_cbranch_execz .LBB174_15
; %bb.14:
	ds_read2_b64 v[7:10], v15 offset1:8
	s_waitcnt lgkmcnt(0)
	v_add_f32_e32 v7, v9, v7
	v_add_f32_e32 v8, v10, v8
	ds_write_b64 v15, v[7:8]
.LBB174_15:
	s_or_b64 exec, exec, s[0:1]
	v_cmp_gt_u16_e32 vcc, 4, v16
	s_waitcnt lgkmcnt(0)
	s_barrier
	;; [unrolled: 13-line block ×3, first 2 shown]
	s_and_saveexec_b64 s[0:1], vcc
	s_cbranch_execz .LBB174_19
; %bb.18:
	ds_read2_b64 v[7:10], v15 offset1:2
	s_waitcnt lgkmcnt(0)
	v_add_f32_e32 v7, v9, v7
	v_add_f32_e32 v8, v10, v8
	ds_write_b64 v15, v[7:8]
.LBB174_19:
	s_or_b64 exec, exec, s[0:1]
	v_cmp_gt_u32_e32 vcc, 31, v0
	v_mov_b32_e32 v8, v6
	v_mov_b32_e32 v7, v5
	s_waitcnt lgkmcnt(0)
	s_barrier
	s_and_saveexec_b64 s[0:1], vcc
	s_cbranch_execz .LBB174_21
; %bb.20:
	s_movk_i32 s2, 0xf0
	v_mad_u32_u24 v7, v0, s2, v15
	ds_read2_b64 v[7:10], v7 offset1:1
	s_waitcnt lgkmcnt(0)
	v_add_f32_e32 v7, v9, v7
	v_add_f32_e32 v8, v10, v8
.LBB174_21:
	s_or_b64 exec, exec, s[0:1]
	s_branch .LBB174_34
.LBB174_22:
                                        ; implicit-def: $vgpr8
                                        ; implicit-def: $vgpr7
	s_cbranch_execz .LBB174_34
; %bb.23:
	s_movk_i32 s0, 0x1d1
	v_cmp_gt_u32_e32 vcc, s0, v0
	s_and_saveexec_b64 s[0:1], vcc
	s_cbranch_execz .LBB174_25
; %bb.24:
	ds_read_b64 v[7:8], v15 offset:3968
	ds_read_b64 v[9:10], v15
	s_waitcnt lgkmcnt(0)
	v_add_f32_e32 v7, v7, v9
	v_add_f32_e32 v8, v8, v10
	ds_write_b64 v15, v[7:8]
.LBB174_25:
	s_or_b64 exec, exec, s[0:1]
	s_movk_i32 s0, 0xf8
	v_cmp_gt_u32_e32 vcc, s0, v0
	s_waitcnt lgkmcnt(0)
	s_barrier
	s_and_saveexec_b64 s[0:1], vcc
	s_cbranch_execz .LBB174_27
; %bb.26:
	ds_read2_b64 v[7:10], v15 offset1:248
	s_waitcnt lgkmcnt(0)
	v_add_f32_e32 v7, v9, v7
	v_add_f32_e32 v8, v10, v8
	ds_write_b64 v15, v[7:8]
.LBB174_27:
	s_or_b64 exec, exec, s[0:1]
	s_movk_i32 s0, 0x7c
	v_cmp_gt_u32_e32 vcc, s0, v0
	s_waitcnt lgkmcnt(0)
	s_barrier
	s_and_saveexec_b64 s[0:1], vcc
	s_cbranch_execz .LBB174_29
; %bb.28:
	ds_read2_b64 v[7:10], v15 offset1:124
	s_waitcnt lgkmcnt(0)
	v_add_f32_e32 v7, v9, v7
	v_add_f32_e32 v8, v10, v8
	ds_write_b64 v15, v[7:8]
.LBB174_29:
	s_or_b64 exec, exec, s[0:1]
	v_cmp_gt_u32_e32 vcc, 62, v0
	s_waitcnt lgkmcnt(0)
	s_barrier
	s_and_saveexec_b64 s[0:1], vcc
	s_cbranch_execz .LBB174_31
; %bb.30:
	ds_read2_b64 v[7:10], v15 offset1:62
	s_waitcnt lgkmcnt(0)
	v_add_f32_e32 v7, v9, v7
	v_add_f32_e32 v8, v10, v8
	ds_write_b64 v15, v[7:8]
.LBB174_31:
	s_or_b64 exec, exec, s[0:1]
	v_cmp_gt_u32_e32 vcc, 31, v0
	s_waitcnt lgkmcnt(0)
	s_and_saveexec_b64 s[0:1], vcc
	s_cbranch_execz .LBB174_33
; %bb.32:
	ds_read2_b64 v[5:8], v15 offset1:31
	s_waitcnt lgkmcnt(0)
	v_add_f32_e32 v5, v7, v5
	v_add_f32_e32 v6, v8, v6
.LBB174_33:
	s_or_b64 exec, exec, s[0:1]
	v_mov_b32_e32 v8, v6
	v_mov_b32_e32 v7, v5
.LBB174_34:
	v_cmp_gt_u32_e32 vcc, 31, v0
	s_and_b64 exec, exec, vcc
	s_cbranch_execz .LBB174_39
; %bb.35:
	v_cmp_eq_f32_e32 vcc, 0, v1
	v_cmp_eq_f32_e64 s[0:1], 0, v2
	v_mul_f32_e64 v5, v8, -v4
	v_mul_f32_e32 v6, v3, v8
	s_and_b64 s[0:1], vcc, s[0:1]
	v_fmac_f32_e32 v5, v3, v7
	v_fmac_f32_e32 v6, v4, v7
	s_mul_i32 s2, s7, 0xf8
	s_mul_hi_u32 s3, s6, 0xf8
	s_mul_i32 s4, s6, 0xf8
	s_and_saveexec_b64 s[6:7], s[0:1]
	s_xor_b64 s[0:1], exec, s[6:7]
	s_cbranch_execz .LBB174_37
; %bb.36:
	s_add_i32 s5, s3, s2
	s_add_u32 s6, s12, s4
	s_addc_u32 s7, s13, s5
	global_store_dwordx2 v15, v[5:6], s[6:7]
                                        ; implicit-def: $vgpr15
                                        ; implicit-def: $vgpr1_vgpr2
                                        ; implicit-def: $vgpr5
.LBB174_37:
	s_andn2_saveexec_b64 s[0:1], s[0:1]
	s_cbranch_execz .LBB174_39
; %bb.38:
	s_add_i32 s3, s3, s2
	s_add_u32 s0, s12, s4
	s_addc_u32 s1, s13, s3
	global_load_dwordx2 v[3:4], v15, s[0:1]
	s_waitcnt vmcnt(0)
	v_fmac_f32_e32 v5, v1, v3
	v_fmac_f32_e32 v6, v2, v3
	v_fma_f32 v5, -v2, v4, v5
	v_fmac_f32_e32 v6, v1, v4
	global_store_dwordx2 v15, v[5:6], s[0:1]
.LBB174_39:
	s_endpgm
	.section	.rodata,"a",@progbits
	.p2align	6, 0x0
	.amdhsa_kernel _ZN9rocsparseL20bsrxmvn_17_32_kernelILj31E21rocsparse_complex_numIfEllS2_S2_S2_EEvT2_20rocsparse_direction_NS_24const_host_device_scalarIT0_EES3_PKS3_PKT1_SC_S9_PKT3_PKT4_S7_PT5_21rocsparse_index_base_b
		.amdhsa_group_segment_fixed_size 7688
		.amdhsa_private_segment_fixed_size 0
		.amdhsa_kernarg_size 104
		.amdhsa_user_sgpr_count 6
		.amdhsa_user_sgpr_private_segment_buffer 1
		.amdhsa_user_sgpr_dispatch_ptr 0
		.amdhsa_user_sgpr_queue_ptr 0
		.amdhsa_user_sgpr_kernarg_segment_ptr 1
		.amdhsa_user_sgpr_dispatch_id 0
		.amdhsa_user_sgpr_flat_scratch_init 0
		.amdhsa_user_sgpr_private_segment_size 0
		.amdhsa_uses_dynamic_stack 0
		.amdhsa_system_sgpr_private_segment_wavefront_offset 0
		.amdhsa_system_sgpr_workgroup_id_x 1
		.amdhsa_system_sgpr_workgroup_id_y 0
		.amdhsa_system_sgpr_workgroup_id_z 0
		.amdhsa_system_sgpr_workgroup_info 0
		.amdhsa_system_vgpr_workitem_id 0
		.amdhsa_next_free_vgpr 29
		.amdhsa_next_free_sgpr 61
		.amdhsa_reserve_vcc 1
		.amdhsa_reserve_flat_scratch 0
		.amdhsa_float_round_mode_32 0
		.amdhsa_float_round_mode_16_64 0
		.amdhsa_float_denorm_mode_32 3
		.amdhsa_float_denorm_mode_16_64 3
		.amdhsa_dx10_clamp 1
		.amdhsa_ieee_mode 1
		.amdhsa_fp16_overflow 0
		.amdhsa_exception_fp_ieee_invalid_op 0
		.amdhsa_exception_fp_denorm_src 0
		.amdhsa_exception_fp_ieee_div_zero 0
		.amdhsa_exception_fp_ieee_overflow 0
		.amdhsa_exception_fp_ieee_underflow 0
		.amdhsa_exception_fp_ieee_inexact 0
		.amdhsa_exception_int_div_zero 0
	.end_amdhsa_kernel
	.section	.text._ZN9rocsparseL20bsrxmvn_17_32_kernelILj31E21rocsparse_complex_numIfEllS2_S2_S2_EEvT2_20rocsparse_direction_NS_24const_host_device_scalarIT0_EES3_PKS3_PKT1_SC_S9_PKT3_PKT4_S7_PT5_21rocsparse_index_base_b,"axG",@progbits,_ZN9rocsparseL20bsrxmvn_17_32_kernelILj31E21rocsparse_complex_numIfEllS2_S2_S2_EEvT2_20rocsparse_direction_NS_24const_host_device_scalarIT0_EES3_PKS3_PKT1_SC_S9_PKT3_PKT4_S7_PT5_21rocsparse_index_base_b,comdat
.Lfunc_end174:
	.size	_ZN9rocsparseL20bsrxmvn_17_32_kernelILj31E21rocsparse_complex_numIfEllS2_S2_S2_EEvT2_20rocsparse_direction_NS_24const_host_device_scalarIT0_EES3_PKS3_PKT1_SC_S9_PKT3_PKT4_S7_PT5_21rocsparse_index_base_b, .Lfunc_end174-_ZN9rocsparseL20bsrxmvn_17_32_kernelILj31E21rocsparse_complex_numIfEllS2_S2_S2_EEvT2_20rocsparse_direction_NS_24const_host_device_scalarIT0_EES3_PKS3_PKT1_SC_S9_PKT3_PKT4_S7_PT5_21rocsparse_index_base_b
                                        ; -- End function
	.set _ZN9rocsparseL20bsrxmvn_17_32_kernelILj31E21rocsparse_complex_numIfEllS2_S2_S2_EEvT2_20rocsparse_direction_NS_24const_host_device_scalarIT0_EES3_PKS3_PKT1_SC_S9_PKT3_PKT4_S7_PT5_21rocsparse_index_base_b.num_vgpr, 22
	.set _ZN9rocsparseL20bsrxmvn_17_32_kernelILj31E21rocsparse_complex_numIfEllS2_S2_S2_EEvT2_20rocsparse_direction_NS_24const_host_device_scalarIT0_EES3_PKS3_PKT1_SC_S9_PKT3_PKT4_S7_PT5_21rocsparse_index_base_b.num_agpr, 0
	.set _ZN9rocsparseL20bsrxmvn_17_32_kernelILj31E21rocsparse_complex_numIfEllS2_S2_S2_EEvT2_20rocsparse_direction_NS_24const_host_device_scalarIT0_EES3_PKS3_PKT1_SC_S9_PKT3_PKT4_S7_PT5_21rocsparse_index_base_b.numbered_sgpr, 22
	.set _ZN9rocsparseL20bsrxmvn_17_32_kernelILj31E21rocsparse_complex_numIfEllS2_S2_S2_EEvT2_20rocsparse_direction_NS_24const_host_device_scalarIT0_EES3_PKS3_PKT1_SC_S9_PKT3_PKT4_S7_PT5_21rocsparse_index_base_b.num_named_barrier, 0
	.set _ZN9rocsparseL20bsrxmvn_17_32_kernelILj31E21rocsparse_complex_numIfEllS2_S2_S2_EEvT2_20rocsparse_direction_NS_24const_host_device_scalarIT0_EES3_PKS3_PKT1_SC_S9_PKT3_PKT4_S7_PT5_21rocsparse_index_base_b.private_seg_size, 0
	.set _ZN9rocsparseL20bsrxmvn_17_32_kernelILj31E21rocsparse_complex_numIfEllS2_S2_S2_EEvT2_20rocsparse_direction_NS_24const_host_device_scalarIT0_EES3_PKS3_PKT1_SC_S9_PKT3_PKT4_S7_PT5_21rocsparse_index_base_b.uses_vcc, 1
	.set _ZN9rocsparseL20bsrxmvn_17_32_kernelILj31E21rocsparse_complex_numIfEllS2_S2_S2_EEvT2_20rocsparse_direction_NS_24const_host_device_scalarIT0_EES3_PKS3_PKT1_SC_S9_PKT3_PKT4_S7_PT5_21rocsparse_index_base_b.uses_flat_scratch, 0
	.set _ZN9rocsparseL20bsrxmvn_17_32_kernelILj31E21rocsparse_complex_numIfEllS2_S2_S2_EEvT2_20rocsparse_direction_NS_24const_host_device_scalarIT0_EES3_PKS3_PKT1_SC_S9_PKT3_PKT4_S7_PT5_21rocsparse_index_base_b.has_dyn_sized_stack, 0
	.set _ZN9rocsparseL20bsrxmvn_17_32_kernelILj31E21rocsparse_complex_numIfEllS2_S2_S2_EEvT2_20rocsparse_direction_NS_24const_host_device_scalarIT0_EES3_PKS3_PKT1_SC_S9_PKT3_PKT4_S7_PT5_21rocsparse_index_base_b.has_recursion, 0
	.set _ZN9rocsparseL20bsrxmvn_17_32_kernelILj31E21rocsparse_complex_numIfEllS2_S2_S2_EEvT2_20rocsparse_direction_NS_24const_host_device_scalarIT0_EES3_PKS3_PKT1_SC_S9_PKT3_PKT4_S7_PT5_21rocsparse_index_base_b.has_indirect_call, 0
	.section	.AMDGPU.csdata,"",@progbits
; Kernel info:
; codeLenInByte = 1484
; TotalNumSgprs: 26
; NumVgprs: 22
; ScratchSize: 0
; MemoryBound: 0
; FloatMode: 240
; IeeeMode: 1
; LDSByteSize: 7688 bytes/workgroup (compile time only)
; SGPRBlocks: 8
; VGPRBlocks: 7
; NumSGPRsForWavesPerEU: 65
; NumVGPRsForWavesPerEU: 29
; Occupancy: 8
; WaveLimiterHint : 1
; COMPUTE_PGM_RSRC2:SCRATCH_EN: 0
; COMPUTE_PGM_RSRC2:USER_SGPR: 6
; COMPUTE_PGM_RSRC2:TRAP_HANDLER: 0
; COMPUTE_PGM_RSRC2:TGID_X_EN: 1
; COMPUTE_PGM_RSRC2:TGID_Y_EN: 0
; COMPUTE_PGM_RSRC2:TGID_Z_EN: 0
; COMPUTE_PGM_RSRC2:TIDIG_COMP_CNT: 0
	.section	.text._ZN9rocsparseL20bsrxmvn_17_32_kernelILj32E21rocsparse_complex_numIfEllS2_S2_S2_EEvT2_20rocsparse_direction_NS_24const_host_device_scalarIT0_EES3_PKS3_PKT1_SC_S9_PKT3_PKT4_S7_PT5_21rocsparse_index_base_b,"axG",@progbits,_ZN9rocsparseL20bsrxmvn_17_32_kernelILj32E21rocsparse_complex_numIfEllS2_S2_S2_EEvT2_20rocsparse_direction_NS_24const_host_device_scalarIT0_EES3_PKS3_PKT1_SC_S9_PKT3_PKT4_S7_PT5_21rocsparse_index_base_b,comdat
	.globl	_ZN9rocsparseL20bsrxmvn_17_32_kernelILj32E21rocsparse_complex_numIfEllS2_S2_S2_EEvT2_20rocsparse_direction_NS_24const_host_device_scalarIT0_EES3_PKS3_PKT1_SC_S9_PKT3_PKT4_S7_PT5_21rocsparse_index_base_b ; -- Begin function _ZN9rocsparseL20bsrxmvn_17_32_kernelILj32E21rocsparse_complex_numIfEllS2_S2_S2_EEvT2_20rocsparse_direction_NS_24const_host_device_scalarIT0_EES3_PKS3_PKT1_SC_S9_PKT3_PKT4_S7_PT5_21rocsparse_index_base_b
	.p2align	8
	.type	_ZN9rocsparseL20bsrxmvn_17_32_kernelILj32E21rocsparse_complex_numIfEllS2_S2_S2_EEvT2_20rocsparse_direction_NS_24const_host_device_scalarIT0_EES3_PKS3_PKT1_SC_S9_PKT3_PKT4_S7_PT5_21rocsparse_index_base_b,@function
_ZN9rocsparseL20bsrxmvn_17_32_kernelILj32E21rocsparse_complex_numIfEllS2_S2_S2_EEvT2_20rocsparse_direction_NS_24const_host_device_scalarIT0_EES3_PKS3_PKT1_SC_S9_PKT3_PKT4_S7_PT5_21rocsparse_index_base_b: ; @_ZN9rocsparseL20bsrxmvn_17_32_kernelILj32E21rocsparse_complex_numIfEllS2_S2_S2_EEvT2_20rocsparse_direction_NS_24const_host_device_scalarIT0_EES3_PKS3_PKT1_SC_S9_PKT3_PKT4_S7_PT5_21rocsparse_index_base_b
; %bb.0:
	s_load_dwordx2 s[0:1], s[4:5], 0x10
	s_load_dwordx2 s[8:9], s[4:5], 0x60
	s_add_u32 s7, s4, 16
	s_addc_u32 s10, s5, 0
	s_add_u32 s11, s4, 0x50
	s_load_dwordx2 s[2:3], s[4:5], 0x50
	s_addc_u32 s12, s5, 0
	s_waitcnt lgkmcnt(0)
	s_bitcmp1_b32 s9, 0
	s_cselect_b32 s1, s10, s1
	s_cselect_b32 s0, s7, s0
	v_mov_b32_e32 v1, s0
	v_mov_b32_e32 v2, s1
	flat_load_dwordx2 v[3:4], v[1:2]
	s_cselect_b32 s0, s12, s3
	s_cselect_b32 s1, s11, s2
	v_mov_b32_e32 v1, s1
	v_mov_b32_e32 v2, s0
	flat_load_dwordx2 v[1:2], v[1:2]
	s_waitcnt vmcnt(0) lgkmcnt(0)
	v_cmp_eq_f32_e32 vcc, 0, v3
	v_cmp_eq_f32_e64 s[0:1], 0, v4
	s_and_b64 s[10:11], vcc, s[0:1]
	s_mov_b64 s[0:1], -1
	s_and_saveexec_b64 s[2:3], s[10:11]
; %bb.1:
	v_cmp_neq_f32_e32 vcc, 1.0, v1
	v_cmp_neq_f32_e64 s[0:1], 0, v2
	s_or_b64 s[0:1], vcc, s[0:1]
	s_orn2_b64 s[0:1], s[0:1], exec
; %bb.2:
	s_or_b64 exec, exec, s[2:3]
	s_and_saveexec_b64 s[2:3], s[0:1]
	s_cbranch_execz .LBB175_37
; %bb.3:
	s_load_dwordx4 s[0:3], s[4:5], 0x20
	s_load_dwordx2 s[12:13], s[4:5], 0x30
	s_mov_b32 s7, 0
	s_mov_b32 s9, s7
	s_waitcnt lgkmcnt(0)
	s_cmp_eq_u64 s[0:1], 0
	s_cbranch_scc1 .LBB175_5
; %bb.4:
	s_lshl_b64 s[6:7], s[6:7], 3
	s_add_u32 s0, s0, s6
	s_addc_u32 s1, s1, s7
	s_load_dwordx2 s[0:1], s[0:1], 0x0
	s_waitcnt lgkmcnt(0)
	s_sub_u32 s6, s0, s8
	s_subb_u32 s7, s1, 0
.LBB175_5:
	s_load_dword s10, s[4:5], 0x8
	v_and_b32_e32 v12, 31, v0
	v_mov_b32_e32 v6, 0
	v_lshlrev_b32_e32 v11, 3, v0
	v_mov_b32_e32 v5, 0
	s_waitcnt lgkmcnt(0)
	s_cmp_eq_u32 s10, 1
	s_cselect_b64 s[0:1], -1, 0
	s_cmp_lg_u32 s10, 1
	s_cselect_b64 s[10:11], -1, 0
	s_lshl_b64 s[14:15], s[6:7], 3
	s_add_u32 s16, s2, s14
	s_addc_u32 s17, s3, s15
	s_add_u32 s2, s16, 8
	s_addc_u32 s3, s17, 0
	;; [unrolled: 2-line block ×3, first 2 shown]
	s_cmp_eq_u64 s[12:13], 0
	s_cselect_b32 s19, s3, s15
	s_cselect_b32 s18, s2, s14
	s_load_dwordx2 s[14:15], s[18:19], 0x0
	s_load_dwordx2 s[12:13], s[16:17], 0x0
	s_load_dwordx2 s[2:3], s[4:5], 0x58
	s_waitcnt lgkmcnt(0)
	v_mov_b32_e32 v7, s14
	v_mov_b32_e32 v8, s15
	v_cmp_ge_i64_e32 vcc, s[12:13], v[7:8]
	s_cbranch_vccnz .LBB175_8
; %bb.6:
	s_load_dwordx4 s[16:19], s[4:5], 0x38
	s_load_dwordx2 s[20:21], s[4:5], 0x48
	s_sub_u32 s14, s14, s8
	v_lshrrev_b32_e32 v5, 5, v0
	s_subb_u32 s15, s15, 0
	v_cndmask_b32_e64 v5, v12, v5, s[0:1]
	s_sub_u32 s0, s12, s8
	s_subb_u32 s1, s13, 0
	v_lshlrev_b32_e32 v5, 3, v5
	s_lshl_b64 s[4:5], s[0:1], 13
	s_waitcnt lgkmcnt(0)
	v_mov_b32_e32 v7, s21
	v_add_co_u32_e32 v13, vcc, s20, v5
	s_add_u32 s4, s18, s4
	v_addc_co_u32_e32 v14, vcc, 0, v7, vcc
	s_addc_u32 s5, s19, s5
	v_mov_b32_e32 v5, s5
	v_add_co_u32_e32 v7, vcc, s4, v11
	s_lshl_b64 s[4:5], s[12:13], 3
	s_lshl_b64 s[12:13], s[8:9], 3
	s_sub_u32 s4, s4, s12
	s_subb_u32 s5, s5, s13
	v_mov_b32_e32 v6, 0
	s_add_u32 s4, s16, s4
	v_mov_b32_e32 v9, s14
	v_addc_co_u32_e32 v8, vcc, 0, v5, vcc
	s_addc_u32 s5, s17, s5
	v_mov_b32_e32 v10, s15
	v_mov_b32_e32 v5, v6
.LBB175_7:                              ; =>This Inner Loop Header: Depth=1
	s_load_dwordx2 s[12:13], s[4:5], 0x0
	global_load_dwordx2 v[15:16], v[7:8], off
	s_waitcnt lgkmcnt(0)
	s_sub_u32 s12, s12, s8
	s_subb_u32 s13, s13, 0
	s_lshl_b64 s[12:13], s[12:13], 8
	v_mov_b32_e32 v18, s13
	v_add_co_u32_e32 v17, vcc, s12, v13
	v_addc_co_u32_e32 v18, vcc, v14, v18, vcc
	global_load_dwordx2 v[17:18], v[17:18], off
	v_add_co_u32_e32 v7, vcc, 0x2000, v7
	s_add_u32 s0, s0, 1
	v_addc_co_u32_e32 v8, vcc, 0, v8, vcc
	s_addc_u32 s1, s1, 0
	v_cmp_lt_i64_e32 vcc, s[0:1], v[9:10]
	s_add_u32 s4, s4, 8
	s_addc_u32 s5, s5, 0
	s_and_b64 vcc, exec, vcc
	s_waitcnt vmcnt(0)
	v_fmac_f32_e32 v5, v15, v17
	v_fmac_f32_e32 v6, v16, v17
	v_fma_f32 v5, -v16, v18, v5
	v_fmac_f32_e32 v6, v15, v18
	s_cbranch_vccnz .LBB175_7
.LBB175_8:
	s_and_b64 vcc, exec, s[10:11]
	ds_write_b64 v11, v[5:6]
	s_waitcnt lgkmcnt(0)
	s_barrier
	s_cbranch_vccz .LBB175_20
; %bb.9:
	v_cmp_gt_u32_e32 vcc, 16, v12
	s_and_saveexec_b64 s[0:1], vcc
	s_cbranch_execz .LBB175_11
; %bb.10:
	ds_read2_b64 v[7:10], v11 offset1:16
	s_waitcnt lgkmcnt(0)
	v_add_f32_e32 v7, v9, v7
	v_add_f32_e32 v8, v10, v8
	ds_write_b64 v11, v[7:8]
.LBB175_11:
	s_or_b64 exec, exec, s[0:1]
	v_cmp_gt_u32_e32 vcc, 8, v12
	s_waitcnt lgkmcnt(0)
	s_barrier
	s_and_saveexec_b64 s[0:1], vcc
	s_cbranch_execz .LBB175_13
; %bb.12:
	ds_read2_b64 v[7:10], v11 offset1:8
	s_waitcnt lgkmcnt(0)
	v_add_f32_e32 v7, v9, v7
	v_add_f32_e32 v8, v10, v8
	ds_write_b64 v11, v[7:8]
.LBB175_13:
	s_or_b64 exec, exec, s[0:1]
	v_cmp_gt_u32_e32 vcc, 4, v12
	s_waitcnt lgkmcnt(0)
	s_barrier
	;; [unrolled: 13-line block ×3, first 2 shown]
	s_and_saveexec_b64 s[0:1], vcc
	s_cbranch_execz .LBB175_17
; %bb.16:
	ds_read2_b64 v[7:10], v11 offset1:2
	s_waitcnt lgkmcnt(0)
	v_add_f32_e32 v7, v9, v7
	v_add_f32_e32 v8, v10, v8
	ds_write_b64 v11, v[7:8]
.LBB175_17:
	s_or_b64 exec, exec, s[0:1]
	v_cmp_gt_u32_e32 vcc, 32, v0
	v_mov_b32_e32 v8, v6
	v_mov_b32_e32 v7, v5
	s_waitcnt lgkmcnt(0)
	s_barrier
	s_and_saveexec_b64 s[0:1], vcc
	s_cbranch_execz .LBB175_19
; %bb.18:
	s_movk_i32 s4, 0xf8
	v_mad_u32_u24 v7, v0, s4, v11
	ds_read2_b64 v[7:10], v7 offset1:1
	s_waitcnt lgkmcnt(0)
	v_add_f32_e32 v7, v9, v7
	v_add_f32_e32 v8, v10, v8
.LBB175_19:
	s_or_b64 exec, exec, s[0:1]
	s_branch .LBB175_32
.LBB175_20:
                                        ; implicit-def: $vgpr8
                                        ; implicit-def: $vgpr7
	s_cbranch_execz .LBB175_32
; %bb.21:
	s_movk_i32 s0, 0x200
	v_cmp_gt_u32_e32 vcc, s0, v0
	s_and_saveexec_b64 s[0:1], vcc
	s_cbranch_execz .LBB175_23
; %bb.22:
	ds_read2st64_b64 v[7:10], v11 offset1:8
	s_waitcnt lgkmcnt(0)
	v_add_f32_e32 v7, v9, v7
	v_add_f32_e32 v8, v10, v8
	ds_write_b64 v11, v[7:8]
.LBB175_23:
	s_or_b64 exec, exec, s[0:1]
	s_movk_i32 s0, 0x100
	v_cmp_gt_u32_e32 vcc, s0, v0
	s_waitcnt lgkmcnt(0)
	s_barrier
	s_and_saveexec_b64 s[0:1], vcc
	s_cbranch_execz .LBB175_25
; %bb.24:
	ds_read2st64_b64 v[7:10], v11 offset1:4
	s_waitcnt lgkmcnt(0)
	v_add_f32_e32 v7, v9, v7
	v_add_f32_e32 v8, v10, v8
	ds_write_b64 v11, v[7:8]
.LBB175_25:
	s_or_b64 exec, exec, s[0:1]
	s_movk_i32 s0, 0x80
	v_cmp_gt_u32_e32 vcc, s0, v0
	s_waitcnt lgkmcnt(0)
	s_barrier
	s_and_saveexec_b64 s[0:1], vcc
	s_cbranch_execz .LBB175_27
; %bb.26:
	ds_read2st64_b64 v[7:10], v11 offset1:2
	s_waitcnt lgkmcnt(0)
	v_add_f32_e32 v7, v9, v7
	v_add_f32_e32 v8, v10, v8
	ds_write_b64 v11, v[7:8]
.LBB175_27:
	s_or_b64 exec, exec, s[0:1]
	v_cmp_gt_u32_e32 vcc, 64, v0
	s_waitcnt lgkmcnt(0)
	s_barrier
	s_and_saveexec_b64 s[0:1], vcc
	s_cbranch_execz .LBB175_29
; %bb.28:
	ds_read2st64_b64 v[7:10], v11 offset1:1
	s_waitcnt lgkmcnt(0)
	v_add_f32_e32 v7, v9, v7
	v_add_f32_e32 v8, v10, v8
	ds_write_b64 v11, v[7:8]
.LBB175_29:
	s_or_b64 exec, exec, s[0:1]
	v_cmp_gt_u32_e32 vcc, 32, v0
	s_waitcnt lgkmcnt(0)
	s_and_saveexec_b64 s[0:1], vcc
	s_cbranch_execz .LBB175_31
; %bb.30:
	ds_read2_b64 v[5:8], v11 offset1:32
	s_waitcnt lgkmcnt(0)
	v_add_f32_e32 v5, v7, v5
	v_add_f32_e32 v6, v8, v6
.LBB175_31:
	s_or_b64 exec, exec, s[0:1]
	v_mov_b32_e32 v8, v6
	v_mov_b32_e32 v7, v5
.LBB175_32:
	v_cmp_gt_u32_e32 vcc, 32, v0
	s_and_b64 exec, exec, vcc
	s_cbranch_execz .LBB175_37
; %bb.33:
	v_cmp_eq_f32_e32 vcc, 0, v1
	v_cmp_eq_f32_e64 s[0:1], 0, v2
	v_mul_f32_e64 v5, v8, -v4
	v_mul_f32_e32 v6, v3, v8
	s_and_b64 s[0:1], vcc, s[0:1]
	v_fmac_f32_e32 v5, v3, v7
	v_fmac_f32_e32 v6, v4, v7
	s_and_saveexec_b64 s[4:5], s[0:1]
	s_xor_b64 s[0:1], exec, s[4:5]
	s_cbranch_execz .LBB175_35
; %bb.34:
	s_lshl_b64 s[4:5], s[6:7], 8
	s_add_u32 s4, s2, s4
	s_addc_u32 s5, s3, s5
	global_store_dwordx2 v11, v[5:6], s[4:5]
                                        ; implicit-def: $vgpr11
                                        ; implicit-def: $vgpr1_vgpr2
                                        ; implicit-def: $vgpr5
.LBB175_35:
	s_andn2_saveexec_b64 s[0:1], s[0:1]
	s_cbranch_execz .LBB175_37
; %bb.36:
	s_lshl_b64 s[0:1], s[6:7], 8
	s_add_u32 s0, s2, s0
	s_addc_u32 s1, s3, s1
	global_load_dwordx2 v[3:4], v11, s[0:1]
	s_waitcnt vmcnt(0)
	v_fmac_f32_e32 v5, v1, v3
	v_fmac_f32_e32 v6, v2, v3
	v_fma_f32 v5, -v2, v4, v5
	v_fmac_f32_e32 v6, v1, v4
	global_store_dwordx2 v11, v[5:6], s[0:1]
.LBB175_37:
	s_endpgm
	.section	.rodata,"a",@progbits
	.p2align	6, 0x0
	.amdhsa_kernel _ZN9rocsparseL20bsrxmvn_17_32_kernelILj32E21rocsparse_complex_numIfEllS2_S2_S2_EEvT2_20rocsparse_direction_NS_24const_host_device_scalarIT0_EES3_PKS3_PKT1_SC_S9_PKT3_PKT4_S7_PT5_21rocsparse_index_base_b
		.amdhsa_group_segment_fixed_size 8192
		.amdhsa_private_segment_fixed_size 0
		.amdhsa_kernarg_size 104
		.amdhsa_user_sgpr_count 6
		.amdhsa_user_sgpr_private_segment_buffer 1
		.amdhsa_user_sgpr_dispatch_ptr 0
		.amdhsa_user_sgpr_queue_ptr 0
		.amdhsa_user_sgpr_kernarg_segment_ptr 1
		.amdhsa_user_sgpr_dispatch_id 0
		.amdhsa_user_sgpr_flat_scratch_init 0
		.amdhsa_user_sgpr_private_segment_size 0
		.amdhsa_uses_dynamic_stack 0
		.amdhsa_system_sgpr_private_segment_wavefront_offset 0
		.amdhsa_system_sgpr_workgroup_id_x 1
		.amdhsa_system_sgpr_workgroup_id_y 0
		.amdhsa_system_sgpr_workgroup_id_z 0
		.amdhsa_system_sgpr_workgroup_info 0
		.amdhsa_system_vgpr_workitem_id 0
		.amdhsa_next_free_vgpr 29
		.amdhsa_next_free_sgpr 61
		.amdhsa_reserve_vcc 1
		.amdhsa_reserve_flat_scratch 0
		.amdhsa_float_round_mode_32 0
		.amdhsa_float_round_mode_16_64 0
		.amdhsa_float_denorm_mode_32 3
		.amdhsa_float_denorm_mode_16_64 3
		.amdhsa_dx10_clamp 1
		.amdhsa_ieee_mode 1
		.amdhsa_fp16_overflow 0
		.amdhsa_exception_fp_ieee_invalid_op 0
		.amdhsa_exception_fp_denorm_src 0
		.amdhsa_exception_fp_ieee_div_zero 0
		.amdhsa_exception_fp_ieee_overflow 0
		.amdhsa_exception_fp_ieee_underflow 0
		.amdhsa_exception_fp_ieee_inexact 0
		.amdhsa_exception_int_div_zero 0
	.end_amdhsa_kernel
	.section	.text._ZN9rocsparseL20bsrxmvn_17_32_kernelILj32E21rocsparse_complex_numIfEllS2_S2_S2_EEvT2_20rocsparse_direction_NS_24const_host_device_scalarIT0_EES3_PKS3_PKT1_SC_S9_PKT3_PKT4_S7_PT5_21rocsparse_index_base_b,"axG",@progbits,_ZN9rocsparseL20bsrxmvn_17_32_kernelILj32E21rocsparse_complex_numIfEllS2_S2_S2_EEvT2_20rocsparse_direction_NS_24const_host_device_scalarIT0_EES3_PKS3_PKT1_SC_S9_PKT3_PKT4_S7_PT5_21rocsparse_index_base_b,comdat
.Lfunc_end175:
	.size	_ZN9rocsparseL20bsrxmvn_17_32_kernelILj32E21rocsparse_complex_numIfEllS2_S2_S2_EEvT2_20rocsparse_direction_NS_24const_host_device_scalarIT0_EES3_PKS3_PKT1_SC_S9_PKT3_PKT4_S7_PT5_21rocsparse_index_base_b, .Lfunc_end175-_ZN9rocsparseL20bsrxmvn_17_32_kernelILj32E21rocsparse_complex_numIfEllS2_S2_S2_EEvT2_20rocsparse_direction_NS_24const_host_device_scalarIT0_EES3_PKS3_PKT1_SC_S9_PKT3_PKT4_S7_PT5_21rocsparse_index_base_b
                                        ; -- End function
	.set _ZN9rocsparseL20bsrxmvn_17_32_kernelILj32E21rocsparse_complex_numIfEllS2_S2_S2_EEvT2_20rocsparse_direction_NS_24const_host_device_scalarIT0_EES3_PKS3_PKT1_SC_S9_PKT3_PKT4_S7_PT5_21rocsparse_index_base_b.num_vgpr, 19
	.set _ZN9rocsparseL20bsrxmvn_17_32_kernelILj32E21rocsparse_complex_numIfEllS2_S2_S2_EEvT2_20rocsparse_direction_NS_24const_host_device_scalarIT0_EES3_PKS3_PKT1_SC_S9_PKT3_PKT4_S7_PT5_21rocsparse_index_base_b.num_agpr, 0
	.set _ZN9rocsparseL20bsrxmvn_17_32_kernelILj32E21rocsparse_complex_numIfEllS2_S2_S2_EEvT2_20rocsparse_direction_NS_24const_host_device_scalarIT0_EES3_PKS3_PKT1_SC_S9_PKT3_PKT4_S7_PT5_21rocsparse_index_base_b.numbered_sgpr, 22
	.set _ZN9rocsparseL20bsrxmvn_17_32_kernelILj32E21rocsparse_complex_numIfEllS2_S2_S2_EEvT2_20rocsparse_direction_NS_24const_host_device_scalarIT0_EES3_PKS3_PKT1_SC_S9_PKT3_PKT4_S7_PT5_21rocsparse_index_base_b.num_named_barrier, 0
	.set _ZN9rocsparseL20bsrxmvn_17_32_kernelILj32E21rocsparse_complex_numIfEllS2_S2_S2_EEvT2_20rocsparse_direction_NS_24const_host_device_scalarIT0_EES3_PKS3_PKT1_SC_S9_PKT3_PKT4_S7_PT5_21rocsparse_index_base_b.private_seg_size, 0
	.set _ZN9rocsparseL20bsrxmvn_17_32_kernelILj32E21rocsparse_complex_numIfEllS2_S2_S2_EEvT2_20rocsparse_direction_NS_24const_host_device_scalarIT0_EES3_PKS3_PKT1_SC_S9_PKT3_PKT4_S7_PT5_21rocsparse_index_base_b.uses_vcc, 1
	.set _ZN9rocsparseL20bsrxmvn_17_32_kernelILj32E21rocsparse_complex_numIfEllS2_S2_S2_EEvT2_20rocsparse_direction_NS_24const_host_device_scalarIT0_EES3_PKS3_PKT1_SC_S9_PKT3_PKT4_S7_PT5_21rocsparse_index_base_b.uses_flat_scratch, 0
	.set _ZN9rocsparseL20bsrxmvn_17_32_kernelILj32E21rocsparse_complex_numIfEllS2_S2_S2_EEvT2_20rocsparse_direction_NS_24const_host_device_scalarIT0_EES3_PKS3_PKT1_SC_S9_PKT3_PKT4_S7_PT5_21rocsparse_index_base_b.has_dyn_sized_stack, 0
	.set _ZN9rocsparseL20bsrxmvn_17_32_kernelILj32E21rocsparse_complex_numIfEllS2_S2_S2_EEvT2_20rocsparse_direction_NS_24const_host_device_scalarIT0_EES3_PKS3_PKT1_SC_S9_PKT3_PKT4_S7_PT5_21rocsparse_index_base_b.has_recursion, 0
	.set _ZN9rocsparseL20bsrxmvn_17_32_kernelILj32E21rocsparse_complex_numIfEllS2_S2_S2_EEvT2_20rocsparse_direction_NS_24const_host_device_scalarIT0_EES3_PKS3_PKT1_SC_S9_PKT3_PKT4_S7_PT5_21rocsparse_index_base_b.has_indirect_call, 0
	.section	.AMDGPU.csdata,"",@progbits
; Kernel info:
; codeLenInByte = 1300
; TotalNumSgprs: 26
; NumVgprs: 19
; ScratchSize: 0
; MemoryBound: 0
; FloatMode: 240
; IeeeMode: 1
; LDSByteSize: 8192 bytes/workgroup (compile time only)
; SGPRBlocks: 8
; VGPRBlocks: 7
; NumSGPRsForWavesPerEU: 65
; NumVGPRsForWavesPerEU: 29
; Occupancy: 8
; WaveLimiterHint : 1
; COMPUTE_PGM_RSRC2:SCRATCH_EN: 0
; COMPUTE_PGM_RSRC2:USER_SGPR: 6
; COMPUTE_PGM_RSRC2:TRAP_HANDLER: 0
; COMPUTE_PGM_RSRC2:TGID_X_EN: 1
; COMPUTE_PGM_RSRC2:TGID_Y_EN: 0
; COMPUTE_PGM_RSRC2:TGID_Z_EN: 0
; COMPUTE_PGM_RSRC2:TIDIG_COMP_CNT: 0
	.section	.text._ZN9rocsparseL20bsrxmvn_17_32_kernelILj17E21rocsparse_complex_numIdEllS2_S2_S2_EEvT2_20rocsparse_direction_NS_24const_host_device_scalarIT0_EES3_PKS3_PKT1_SC_S9_PKT3_PKT4_S7_PT5_21rocsparse_index_base_b,"axG",@progbits,_ZN9rocsparseL20bsrxmvn_17_32_kernelILj17E21rocsparse_complex_numIdEllS2_S2_S2_EEvT2_20rocsparse_direction_NS_24const_host_device_scalarIT0_EES3_PKS3_PKT1_SC_S9_PKT3_PKT4_S7_PT5_21rocsparse_index_base_b,comdat
	.globl	_ZN9rocsparseL20bsrxmvn_17_32_kernelILj17E21rocsparse_complex_numIdEllS2_S2_S2_EEvT2_20rocsparse_direction_NS_24const_host_device_scalarIT0_EES3_PKS3_PKT1_SC_S9_PKT3_PKT4_S7_PT5_21rocsparse_index_base_b ; -- Begin function _ZN9rocsparseL20bsrxmvn_17_32_kernelILj17E21rocsparse_complex_numIdEllS2_S2_S2_EEvT2_20rocsparse_direction_NS_24const_host_device_scalarIT0_EES3_PKS3_PKT1_SC_S9_PKT3_PKT4_S7_PT5_21rocsparse_index_base_b
	.p2align	8
	.type	_ZN9rocsparseL20bsrxmvn_17_32_kernelILj17E21rocsparse_complex_numIdEllS2_S2_S2_EEvT2_20rocsparse_direction_NS_24const_host_device_scalarIT0_EES3_PKS3_PKT1_SC_S9_PKT3_PKT4_S7_PT5_21rocsparse_index_base_b,@function
_ZN9rocsparseL20bsrxmvn_17_32_kernelILj17E21rocsparse_complex_numIdEllS2_S2_S2_EEvT2_20rocsparse_direction_NS_24const_host_device_scalarIT0_EES3_PKS3_PKT1_SC_S9_PKT3_PKT4_S7_PT5_21rocsparse_index_base_b: ; @_ZN9rocsparseL20bsrxmvn_17_32_kernelILj17E21rocsparse_complex_numIdEllS2_S2_S2_EEvT2_20rocsparse_direction_NS_24const_host_device_scalarIT0_EES3_PKS3_PKT1_SC_S9_PKT3_PKT4_S7_PT5_21rocsparse_index_base_b
; %bb.0:
	s_load_dwordx2 s[0:1], s[4:5], 0x10
	s_load_dwordx2 s[14:15], s[4:5], 0x70
	s_add_u32 s7, s4, 16
	s_addc_u32 s8, s5, 0
	s_add_u32 s9, s4, 0x58
	s_addc_u32 s10, s5, 0
	s_waitcnt lgkmcnt(0)
	s_bitcmp1_b32 s15, 0
	s_cselect_b32 s1, s8, s1
	s_cselect_b32 s0, s7, s0
	v_mov_b32_e32 v1, s0
	v_mov_b32_e32 v2, s1
	flat_load_dwordx4 v[5:8], v[1:2]
	s_load_dwordx2 s[2:3], s[4:5], 0x58
	s_waitcnt lgkmcnt(0)
	s_cselect_b32 s0, s10, s3
	s_cselect_b32 s1, s9, s2
	v_mov_b32_e32 v1, s1
	v_mov_b32_e32 v2, s0
	flat_load_dwordx4 v[1:4], v[1:2]
	s_waitcnt vmcnt(0)
	v_cmp_eq_f64_e32 vcc, 0, v[5:6]
	v_cmp_eq_f64_e64 s[0:1], 0, v[7:8]
	s_and_b64 s[8:9], vcc, s[0:1]
	s_mov_b64 s[0:1], -1
	s_and_saveexec_b64 s[2:3], s[8:9]
	s_cbranch_execz .LBB176_2
; %bb.1:
	s_waitcnt lgkmcnt(0)
	v_cmp_neq_f64_e32 vcc, 1.0, v[1:2]
	v_cmp_neq_f64_e64 s[0:1], 0, v[3:4]
	s_or_b64 s[0:1], vcc, s[0:1]
	s_orn2_b64 s[0:1], s[0:1], exec
.LBB176_2:
	s_or_b64 exec, exec, s[2:3]
	s_and_saveexec_b64 s[2:3], s[0:1]
	s_cbranch_execz .LBB176_39
; %bb.3:
	s_load_dwordx4 s[0:3], s[4:5], 0x28
	s_load_dwordx2 s[8:9], s[4:5], 0x38
	s_mov_b32 s7, 0
	s_waitcnt lgkmcnt(0)
	s_cmp_eq_u64 s[0:1], 0
	s_cbranch_scc1 .LBB176_5
; %bb.4:
	s_lshl_b64 s[6:7], s[6:7], 3
	s_add_u32 s0, s0, s6
	s_addc_u32 s1, s1, s7
	s_load_dwordx2 s[0:1], s[0:1], 0x0
	s_waitcnt lgkmcnt(0)
	s_sub_u32 s6, s0, s14
	s_subb_u32 s7, s1, 0
.LBB176_5:
	s_load_dword s10, s[4:5], 0x8
	s_load_dwordx2 s[12:13], s[4:5], 0x68
	v_mul_u32_u24_e32 v13, 0xf10, v0
	v_mov_b32_e32 v9, 17
	v_mul_lo_u16_sdwa v9, v13, v9 dst_sel:DWORD dst_unused:UNUSED_PAD src0_sel:WORD_1 src1_sel:DWORD
	s_waitcnt lgkmcnt(0)
	s_cmp_eq_u32 s10, 1
	s_cselect_b64 s[0:1], -1, 0
	s_cmp_lg_u32 s10, 1
	s_cselect_b64 s[16:17], -1, 0
	s_lshl_b64 s[10:11], s[6:7], 3
	s_add_u32 s20, s2, s10
	s_addc_u32 s21, s3, s11
	s_add_u32 s2, s20, 8
	s_addc_u32 s3, s21, 0
	;; [unrolled: 2-line block ×3, first 2 shown]
	s_cmp_eq_u64 s[8:9], 0
	s_cselect_b32 s9, s3, s11
	s_cselect_b32 s8, s2, s10
	s_load_dwordx2 s[2:3], s[8:9], 0x0
	s_load_dwordx2 s[18:19], s[20:21], 0x0
	v_sub_u16_e32 v22, v0, v9
	v_mov_b32_e32 v11, 0
	v_mov_b32_e32 v12, 0
	s_waitcnt lgkmcnt(0)
	v_mov_b32_e32 v10, s3
	v_mov_b32_e32 v9, s2
	v_cmp_ge_i64_e32 vcc, s[18:19], v[9:10]
	v_mov_b32_e32 v9, 0
	v_lshlrev_b32_e32 v21, 4, v0
	v_mov_b32_e32 v10, 0
	s_cbranch_vccnz .LBB176_10
; %bb.6:
	v_mov_b32_e32 v9, 31
	v_mul_lo_u16_sdwa v9, v13, v9 dst_sel:DWORD dst_unused:UNUSED_PAD src0_sel:WORD_1 src1_sel:DWORD
	v_lshrrev_b16_e32 v9, 9, v9
	s_sub_u32 s2, s2, s14
	s_load_dwordx2 s[20:21], s[4:5], 0x50
	s_load_dwordx4 s[8:11], s[4:5], 0x40
	v_mul_lo_u16_e32 v9, 17, v9
	s_subb_u32 s3, s3, 0
	v_sub_u16_sdwa v9, v13, v9 dst_sel:DWORD dst_unused:UNUSED_PAD src0_sel:WORD_1 src1_sel:DWORD
	s_sub_u32 s4, s18, s14
	v_and_b32_e32 v9, 0xff, v9
	s_subb_u32 s5, s19, 0
	v_cndmask_b32_e64 v9, v22, v9, s[0:1]
	s_mul_i32 s0, s5, 0x1210
	s_mul_hi_u32 s1, s4, 0x1210
	v_lshlrev_b32_e32 v9, 4, v9
	s_add_i32 s1, s1, s0
	s_mul_i32 s0, s4, 0x1210
	s_waitcnt lgkmcnt(0)
	v_mov_b32_e32 v10, s21
	v_add_co_u32_e32 v13, vcc, s20, v9
	s_add_u32 s0, s10, s0
	v_addc_co_u32_e32 v14, vcc, 0, v10, vcc
	s_addc_u32 s1, s11, s1
	v_mov_b32_e32 v9, s1
	v_add_co_u32_e32 v15, vcc, s0, v21
	s_movk_i32 s0, 0xe3
	v_addc_co_u32_e32 v16, vcc, 0, v9, vcc
	v_mul_u32_u24_sdwa v9, v0, s0 dst_sel:DWORD dst_unused:UNUSED_PAD src0_sel:WORD_0 src1_sel:DWORD
	v_lshrrev_b32_e32 v23, 16, v9
	v_mov_b32_e32 v9, s19
	v_add_co_u32_e32 v10, vcc, s18, v23
	v_addc_co_u32_e32 v11, vcc, 0, v9, vcc
	v_subrev_co_u32_e32 v9, vcc, s14, v10
	v_subbrev_co_u32_e32 v10, vcc, 0, v11, vcc
	v_lshlrev_b64 v[9:10], 3, v[9:10]
	v_mov_b32_e32 v11, s9
	v_add_co_u32_e32 v17, vcc, s8, v9
	v_addc_co_u32_e32 v18, vcc, v11, v10, vcc
	v_mov_b32_e32 v11, 0
	v_mov_b32_e32 v12, 0
	;; [unrolled: 1-line block ×4, first 2 shown]
	s_movk_i32 s8, 0x110
	v_mov_b32_e32 v19, s2
	v_mov_b32_e32 v10, v12
	s_branch .LBB176_8
.LBB176_7:                              ;   in Loop: Header=BB176_8 Depth=1
	s_or_b64 exec, exec, s[0:1]
	s_add_u32 s4, s4, 1
	s_addc_u32 s5, s5, 0
	v_cmp_lt_i64_e32 vcc, s[4:5], v[19:20]
	v_add_co_u32_e64 v17, s[0:1], 8, v17
	v_addc_co_u32_e64 v18, s[0:1], 0, v18, s[0:1]
	s_cbranch_vccz .LBB176_10
.LBB176_8:                              ; =>This Inner Loop Header: Depth=1
	v_mov_b32_e32 v25, s5
	v_add_co_u32_e32 v24, vcc, s4, v23
	v_addc_co_u32_e32 v25, vcc, 0, v25, vcc
	v_cmp_gt_i64_e32 vcc, s[2:3], v[24:25]
	s_and_saveexec_b64 s[0:1], vcc
	s_cbranch_execz .LBB176_7
; %bb.9:                                ;   in Loop: Header=BB176_8 Depth=1
	global_load_dwordx2 v[24:25], v[17:18], off
	s_waitcnt vmcnt(0)
	v_subrev_co_u32_e32 v24, vcc, s14, v24
	v_mad_u64_u32 v[28:29], s[10:11], v24, s8, v[13:14]
	v_subbrev_co_u32_e32 v25, vcc, 0, v25, vcc
	v_mov_b32_e32 v24, v29
	v_mad_u64_u32 v[29:30], s[10:11], v25, s8, v[24:25]
	global_load_dwordx4 v[24:27], v[15:16], off
	s_nop 0
	global_load_dwordx4 v[28:31], v[28:29], off
	v_add_co_u32_e32 v15, vcc, 0x1210, v15
	v_addc_co_u32_e32 v16, vcc, 0, v16, vcc
	s_waitcnt vmcnt(0)
	v_fma_f64 v[9:10], v[24:25], v[28:29], v[9:10]
	v_fma_f64 v[11:12], v[26:27], v[28:29], v[11:12]
	v_fma_f64 v[9:10], -v[26:27], v[30:31], v[9:10]
	v_fma_f64 v[11:12], v[24:25], v[30:31], v[11:12]
	s_branch .LBB176_7
.LBB176_10:
	s_and_b64 vcc, exec, s[16:17]
	ds_write_b128 v21, v[9:12]
	s_waitcnt lgkmcnt(0)
	s_barrier
	s_cbranch_vccz .LBB176_22
; %bb.11:
	v_cmp_eq_u16_e32 vcc, 0, v22
	s_and_saveexec_b64 s[0:1], vcc
	s_cbranch_execz .LBB176_13
; %bb.12:
	ds_read_b128 v[13:16], v21 offset:256
	ds_read_b128 v[17:20], v21
	s_waitcnt lgkmcnt(0)
	v_add_f64 v[13:14], v[13:14], v[17:18]
	v_add_f64 v[15:16], v[15:16], v[19:20]
	ds_write_b128 v21, v[13:16]
.LBB176_13:
	s_or_b64 exec, exec, s[0:1]
	v_cmp_gt_u16_e32 vcc, 8, v22
	s_waitcnt lgkmcnt(0)
	s_barrier
	s_and_saveexec_b64 s[0:1], vcc
	s_cbranch_execz .LBB176_15
; %bb.14:
	ds_read_b128 v[13:16], v21 offset:128
	ds_read_b128 v[17:20], v21
	s_waitcnt lgkmcnt(0)
	v_add_f64 v[13:14], v[13:14], v[17:18]
	v_add_f64 v[15:16], v[15:16], v[19:20]
	ds_write_b128 v21, v[13:16]
.LBB176_15:
	s_or_b64 exec, exec, s[0:1]
	v_cmp_gt_u16_e32 vcc, 4, v22
	s_waitcnt lgkmcnt(0)
	s_barrier
	;; [unrolled: 14-line block ×3, first 2 shown]
	s_and_saveexec_b64 s[0:1], vcc
	s_cbranch_execz .LBB176_19
; %bb.18:
	ds_read_b128 v[13:16], v21
	ds_read_b128 v[17:20], v21 offset:32
	s_waitcnt lgkmcnt(0)
	v_add_f64 v[13:14], v[17:18], v[13:14]
	v_add_f64 v[15:16], v[19:20], v[15:16]
	ds_write_b128 v21, v[13:16]
.LBB176_19:
	s_or_b64 exec, exec, s[0:1]
	v_mov_b32_e32 v16, v12
	v_mov_b32_e32 v14, v10
	v_cmp_gt_u32_e32 vcc, 17, v0
	v_mov_b32_e32 v15, v11
	v_mov_b32_e32 v13, v9
	s_waitcnt lgkmcnt(0)
	s_barrier
	s_and_saveexec_b64 s[0:1], vcc
	s_cbranch_execz .LBB176_21
; %bb.20:
	v_lshl_add_u32 v17, v0, 8, v21
	ds_read_b128 v[13:16], v17
	ds_read_b128 v[17:20], v17 offset:16
	s_waitcnt lgkmcnt(0)
	v_add_f64 v[13:14], v[17:18], v[13:14]
	v_add_f64 v[15:16], v[19:20], v[15:16]
.LBB176_21:
	s_or_b64 exec, exec, s[0:1]
	v_cmp_gt_u32_e64 s[0:1], 17, v0
	s_branch .LBB176_34
.LBB176_22:
                                        ; implicit-def: $vgpr15_vgpr16
                                        ; implicit-def: $vgpr13_vgpr14
	v_cmp_gt_u32_e64 s[0:1], 17, v0
	s_cbranch_execz .LBB176_34
; %bb.23:
	s_and_saveexec_b64 s[2:3], s[0:1]
	s_cbranch_execz .LBB176_25
; %bb.24:
	ds_read_b128 v[13:16], v21 offset:4352
	ds_read_b128 v[17:20], v21
	s_waitcnt lgkmcnt(0)
	v_add_f64 v[13:14], v[13:14], v[17:18]
	v_add_f64 v[15:16], v[15:16], v[19:20]
	ds_write_b128 v21, v[13:16]
.LBB176_25:
	s_or_b64 exec, exec, s[2:3]
	s_movk_i32 s2, 0x88
	v_cmp_gt_u32_e32 vcc, s2, v0
	s_waitcnt lgkmcnt(0)
	s_barrier
	s_and_saveexec_b64 s[2:3], vcc
	s_cbranch_execz .LBB176_27
; %bb.26:
	ds_read_b128 v[13:16], v21 offset:2176
	ds_read_b128 v[17:20], v21
	s_waitcnt lgkmcnt(0)
	v_add_f64 v[13:14], v[13:14], v[17:18]
	v_add_f64 v[15:16], v[15:16], v[19:20]
	ds_write_b128 v21, v[13:16]
.LBB176_27:
	s_or_b64 exec, exec, s[2:3]
	s_movk_i32 s2, 0x44
	v_cmp_gt_u32_e32 vcc, s2, v0
	s_waitcnt lgkmcnt(0)
	s_barrier
	s_and_saveexec_b64 s[2:3], vcc
	s_cbranch_execz .LBB176_29
; %bb.28:
	ds_read_b128 v[13:16], v21 offset:1088
	ds_read_b128 v[17:20], v21
	s_waitcnt lgkmcnt(0)
	v_add_f64 v[13:14], v[13:14], v[17:18]
	v_add_f64 v[15:16], v[15:16], v[19:20]
	ds_write_b128 v21, v[13:16]
.LBB176_29:
	s_or_b64 exec, exec, s[2:3]
	v_cmp_gt_u32_e32 vcc, 34, v0
	s_waitcnt lgkmcnt(0)
	s_barrier
	s_and_saveexec_b64 s[2:3], vcc
	s_cbranch_execz .LBB176_31
; %bb.30:
	ds_read_b128 v[13:16], v21 offset:544
	ds_read_b128 v[17:20], v21
	s_waitcnt lgkmcnt(0)
	v_add_f64 v[13:14], v[13:14], v[17:18]
	v_add_f64 v[15:16], v[15:16], v[19:20]
	ds_write_b128 v21, v[13:16]
.LBB176_31:
	s_or_b64 exec, exec, s[2:3]
	s_waitcnt lgkmcnt(0)
	s_and_saveexec_b64 s[2:3], s[0:1]
	s_cbranch_execz .LBB176_33
; %bb.32:
	ds_read_b128 v[9:12], v21 offset:272
	ds_read_b128 v[13:16], v21
	s_waitcnt lgkmcnt(0)
	v_add_f64 v[9:10], v[9:10], v[13:14]
	v_add_f64 v[11:12], v[11:12], v[15:16]
.LBB176_33:
	s_or_b64 exec, exec, s[2:3]
	v_mov_b32_e32 v16, v12
	v_mov_b32_e32 v14, v10
	;; [unrolled: 1-line block ×4, first 2 shown]
.LBB176_34:
	v_cmp_gt_u32_e32 vcc, 17, v0
	s_and_b64 exec, exec, vcc
	s_cbranch_execz .LBB176_39
; %bb.35:
	v_mul_f64 v[9:10], v[15:16], -v[7:8]
	v_mul_f64 v[11:12], v[5:6], v[15:16]
	v_cmp_eq_f64_e32 vcc, 0, v[1:2]
	v_cmp_eq_f64_e64 s[0:1], 0, v[3:4]
	s_mul_i32 s2, s7, 0x110
	s_mul_hi_u32 s3, s6, 0x110
	s_mul_i32 s4, s6, 0x110
	v_fma_f64 v[5:6], v[5:6], v[13:14], v[9:10]
	v_fma_f64 v[7:8], v[7:8], v[13:14], v[11:12]
	s_and_b64 s[0:1], vcc, s[0:1]
	s_and_saveexec_b64 s[6:7], s[0:1]
	s_xor_b64 s[0:1], exec, s[6:7]
	s_cbranch_execz .LBB176_37
; %bb.36:
	s_add_i32 s5, s3, s2
	s_add_u32 s6, s12, s4
	s_addc_u32 s7, s13, s5
	global_store_dwordx4 v21, v[5:8], s[6:7]
                                        ; implicit-def: $vgpr21
                                        ; implicit-def: $vgpr1_vgpr2
                                        ; implicit-def: $vgpr5_vgpr6
.LBB176_37:
	s_andn2_saveexec_b64 s[0:1], s[0:1]
	s_cbranch_execz .LBB176_39
; %bb.38:
	s_add_i32 s3, s3, s2
	s_add_u32 s0, s12, s4
	s_addc_u32 s1, s13, s3
	global_load_dwordx4 v[9:12], v21, s[0:1]
	s_waitcnt vmcnt(0)
	v_fma_f64 v[5:6], v[1:2], v[9:10], v[5:6]
	v_fma_f64 v[7:8], v[3:4], v[9:10], v[7:8]
	v_fma_f64 v[3:4], -v[3:4], v[11:12], v[5:6]
	v_fma_f64 v[5:6], v[1:2], v[11:12], v[7:8]
	global_store_dwordx4 v21, v[3:6], s[0:1]
.LBB176_39:
	s_endpgm
	.section	.rodata,"a",@progbits
	.p2align	6, 0x0
	.amdhsa_kernel _ZN9rocsparseL20bsrxmvn_17_32_kernelILj17E21rocsparse_complex_numIdEllS2_S2_S2_EEvT2_20rocsparse_direction_NS_24const_host_device_scalarIT0_EES3_PKS3_PKT1_SC_S9_PKT3_PKT4_S7_PT5_21rocsparse_index_base_b
		.amdhsa_group_segment_fixed_size 4624
		.amdhsa_private_segment_fixed_size 0
		.amdhsa_kernarg_size 120
		.amdhsa_user_sgpr_count 6
		.amdhsa_user_sgpr_private_segment_buffer 1
		.amdhsa_user_sgpr_dispatch_ptr 0
		.amdhsa_user_sgpr_queue_ptr 0
		.amdhsa_user_sgpr_kernarg_segment_ptr 1
		.amdhsa_user_sgpr_dispatch_id 0
		.amdhsa_user_sgpr_flat_scratch_init 0
		.amdhsa_user_sgpr_private_segment_size 0
		.amdhsa_uses_dynamic_stack 0
		.amdhsa_system_sgpr_private_segment_wavefront_offset 0
		.amdhsa_system_sgpr_workgroup_id_x 1
		.amdhsa_system_sgpr_workgroup_id_y 0
		.amdhsa_system_sgpr_workgroup_id_z 0
		.amdhsa_system_sgpr_workgroup_info 0
		.amdhsa_system_vgpr_workitem_id 0
		.amdhsa_next_free_vgpr 32
		.amdhsa_next_free_sgpr 22
		.amdhsa_reserve_vcc 1
		.amdhsa_reserve_flat_scratch 0
		.amdhsa_float_round_mode_32 0
		.amdhsa_float_round_mode_16_64 0
		.amdhsa_float_denorm_mode_32 3
		.amdhsa_float_denorm_mode_16_64 3
		.amdhsa_dx10_clamp 1
		.amdhsa_ieee_mode 1
		.amdhsa_fp16_overflow 0
		.amdhsa_exception_fp_ieee_invalid_op 0
		.amdhsa_exception_fp_denorm_src 0
		.amdhsa_exception_fp_ieee_div_zero 0
		.amdhsa_exception_fp_ieee_overflow 0
		.amdhsa_exception_fp_ieee_underflow 0
		.amdhsa_exception_fp_ieee_inexact 0
		.amdhsa_exception_int_div_zero 0
	.end_amdhsa_kernel
	.section	.text._ZN9rocsparseL20bsrxmvn_17_32_kernelILj17E21rocsparse_complex_numIdEllS2_S2_S2_EEvT2_20rocsparse_direction_NS_24const_host_device_scalarIT0_EES3_PKS3_PKT1_SC_S9_PKT3_PKT4_S7_PT5_21rocsparse_index_base_b,"axG",@progbits,_ZN9rocsparseL20bsrxmvn_17_32_kernelILj17E21rocsparse_complex_numIdEllS2_S2_S2_EEvT2_20rocsparse_direction_NS_24const_host_device_scalarIT0_EES3_PKS3_PKT1_SC_S9_PKT3_PKT4_S7_PT5_21rocsparse_index_base_b,comdat
.Lfunc_end176:
	.size	_ZN9rocsparseL20bsrxmvn_17_32_kernelILj17E21rocsparse_complex_numIdEllS2_S2_S2_EEvT2_20rocsparse_direction_NS_24const_host_device_scalarIT0_EES3_PKS3_PKT1_SC_S9_PKT3_PKT4_S7_PT5_21rocsparse_index_base_b, .Lfunc_end176-_ZN9rocsparseL20bsrxmvn_17_32_kernelILj17E21rocsparse_complex_numIdEllS2_S2_S2_EEvT2_20rocsparse_direction_NS_24const_host_device_scalarIT0_EES3_PKS3_PKT1_SC_S9_PKT3_PKT4_S7_PT5_21rocsparse_index_base_b
                                        ; -- End function
	.set _ZN9rocsparseL20bsrxmvn_17_32_kernelILj17E21rocsparse_complex_numIdEllS2_S2_S2_EEvT2_20rocsparse_direction_NS_24const_host_device_scalarIT0_EES3_PKS3_PKT1_SC_S9_PKT3_PKT4_S7_PT5_21rocsparse_index_base_b.num_vgpr, 32
	.set _ZN9rocsparseL20bsrxmvn_17_32_kernelILj17E21rocsparse_complex_numIdEllS2_S2_S2_EEvT2_20rocsparse_direction_NS_24const_host_device_scalarIT0_EES3_PKS3_PKT1_SC_S9_PKT3_PKT4_S7_PT5_21rocsparse_index_base_b.num_agpr, 0
	.set _ZN9rocsparseL20bsrxmvn_17_32_kernelILj17E21rocsparse_complex_numIdEllS2_S2_S2_EEvT2_20rocsparse_direction_NS_24const_host_device_scalarIT0_EES3_PKS3_PKT1_SC_S9_PKT3_PKT4_S7_PT5_21rocsparse_index_base_b.numbered_sgpr, 22
	.set _ZN9rocsparseL20bsrxmvn_17_32_kernelILj17E21rocsparse_complex_numIdEllS2_S2_S2_EEvT2_20rocsparse_direction_NS_24const_host_device_scalarIT0_EES3_PKS3_PKT1_SC_S9_PKT3_PKT4_S7_PT5_21rocsparse_index_base_b.num_named_barrier, 0
	.set _ZN9rocsparseL20bsrxmvn_17_32_kernelILj17E21rocsparse_complex_numIdEllS2_S2_S2_EEvT2_20rocsparse_direction_NS_24const_host_device_scalarIT0_EES3_PKS3_PKT1_SC_S9_PKT3_PKT4_S7_PT5_21rocsparse_index_base_b.private_seg_size, 0
	.set _ZN9rocsparseL20bsrxmvn_17_32_kernelILj17E21rocsparse_complex_numIdEllS2_S2_S2_EEvT2_20rocsparse_direction_NS_24const_host_device_scalarIT0_EES3_PKS3_PKT1_SC_S9_PKT3_PKT4_S7_PT5_21rocsparse_index_base_b.uses_vcc, 1
	.set _ZN9rocsparseL20bsrxmvn_17_32_kernelILj17E21rocsparse_complex_numIdEllS2_S2_S2_EEvT2_20rocsparse_direction_NS_24const_host_device_scalarIT0_EES3_PKS3_PKT1_SC_S9_PKT3_PKT4_S7_PT5_21rocsparse_index_base_b.uses_flat_scratch, 0
	.set _ZN9rocsparseL20bsrxmvn_17_32_kernelILj17E21rocsparse_complex_numIdEllS2_S2_S2_EEvT2_20rocsparse_direction_NS_24const_host_device_scalarIT0_EES3_PKS3_PKT1_SC_S9_PKT3_PKT4_S7_PT5_21rocsparse_index_base_b.has_dyn_sized_stack, 0
	.set _ZN9rocsparseL20bsrxmvn_17_32_kernelILj17E21rocsparse_complex_numIdEllS2_S2_S2_EEvT2_20rocsparse_direction_NS_24const_host_device_scalarIT0_EES3_PKS3_PKT1_SC_S9_PKT3_PKT4_S7_PT5_21rocsparse_index_base_b.has_recursion, 0
	.set _ZN9rocsparseL20bsrxmvn_17_32_kernelILj17E21rocsparse_complex_numIdEllS2_S2_S2_EEvT2_20rocsparse_direction_NS_24const_host_device_scalarIT0_EES3_PKS3_PKT1_SC_S9_PKT3_PKT4_S7_PT5_21rocsparse_index_base_b.has_indirect_call, 0
	.section	.AMDGPU.csdata,"",@progbits
; Kernel info:
; codeLenInByte = 1720
; TotalNumSgprs: 26
; NumVgprs: 32
; ScratchSize: 0
; MemoryBound: 1
; FloatMode: 240
; IeeeMode: 1
; LDSByteSize: 4624 bytes/workgroup (compile time only)
; SGPRBlocks: 3
; VGPRBlocks: 7
; NumSGPRsForWavesPerEU: 26
; NumVGPRsForWavesPerEU: 32
; Occupancy: 8
; WaveLimiterHint : 1
; COMPUTE_PGM_RSRC2:SCRATCH_EN: 0
; COMPUTE_PGM_RSRC2:USER_SGPR: 6
; COMPUTE_PGM_RSRC2:TRAP_HANDLER: 0
; COMPUTE_PGM_RSRC2:TGID_X_EN: 1
; COMPUTE_PGM_RSRC2:TGID_Y_EN: 0
; COMPUTE_PGM_RSRC2:TGID_Z_EN: 0
; COMPUTE_PGM_RSRC2:TIDIG_COMP_CNT: 0
	.section	.text._ZN9rocsparseL20bsrxmvn_17_32_kernelILj18E21rocsparse_complex_numIdEllS2_S2_S2_EEvT2_20rocsparse_direction_NS_24const_host_device_scalarIT0_EES3_PKS3_PKT1_SC_S9_PKT3_PKT4_S7_PT5_21rocsparse_index_base_b,"axG",@progbits,_ZN9rocsparseL20bsrxmvn_17_32_kernelILj18E21rocsparse_complex_numIdEllS2_S2_S2_EEvT2_20rocsparse_direction_NS_24const_host_device_scalarIT0_EES3_PKS3_PKT1_SC_S9_PKT3_PKT4_S7_PT5_21rocsparse_index_base_b,comdat
	.globl	_ZN9rocsparseL20bsrxmvn_17_32_kernelILj18E21rocsparse_complex_numIdEllS2_S2_S2_EEvT2_20rocsparse_direction_NS_24const_host_device_scalarIT0_EES3_PKS3_PKT1_SC_S9_PKT3_PKT4_S7_PT5_21rocsparse_index_base_b ; -- Begin function _ZN9rocsparseL20bsrxmvn_17_32_kernelILj18E21rocsparse_complex_numIdEllS2_S2_S2_EEvT2_20rocsparse_direction_NS_24const_host_device_scalarIT0_EES3_PKS3_PKT1_SC_S9_PKT3_PKT4_S7_PT5_21rocsparse_index_base_b
	.p2align	8
	.type	_ZN9rocsparseL20bsrxmvn_17_32_kernelILj18E21rocsparse_complex_numIdEllS2_S2_S2_EEvT2_20rocsparse_direction_NS_24const_host_device_scalarIT0_EES3_PKS3_PKT1_SC_S9_PKT3_PKT4_S7_PT5_21rocsparse_index_base_b,@function
_ZN9rocsparseL20bsrxmvn_17_32_kernelILj18E21rocsparse_complex_numIdEllS2_S2_S2_EEvT2_20rocsparse_direction_NS_24const_host_device_scalarIT0_EES3_PKS3_PKT1_SC_S9_PKT3_PKT4_S7_PT5_21rocsparse_index_base_b: ; @_ZN9rocsparseL20bsrxmvn_17_32_kernelILj18E21rocsparse_complex_numIdEllS2_S2_S2_EEvT2_20rocsparse_direction_NS_24const_host_device_scalarIT0_EES3_PKS3_PKT1_SC_S9_PKT3_PKT4_S7_PT5_21rocsparse_index_base_b
; %bb.0:
	s_load_dwordx2 s[0:1], s[4:5], 0x10
	s_load_dwordx2 s[14:15], s[4:5], 0x70
	s_add_u32 s7, s4, 16
	s_addc_u32 s8, s5, 0
	s_add_u32 s9, s4, 0x58
	s_addc_u32 s10, s5, 0
	s_waitcnt lgkmcnt(0)
	s_bitcmp1_b32 s15, 0
	s_cselect_b32 s1, s8, s1
	s_cselect_b32 s0, s7, s0
	v_mov_b32_e32 v1, s0
	v_mov_b32_e32 v2, s1
	flat_load_dwordx4 v[5:8], v[1:2]
	s_load_dwordx2 s[2:3], s[4:5], 0x58
	s_waitcnt lgkmcnt(0)
	s_cselect_b32 s0, s10, s3
	s_cselect_b32 s1, s9, s2
	v_mov_b32_e32 v1, s1
	v_mov_b32_e32 v2, s0
	flat_load_dwordx4 v[1:4], v[1:2]
	s_waitcnt vmcnt(0)
	v_cmp_eq_f64_e32 vcc, 0, v[5:6]
	v_cmp_eq_f64_e64 s[0:1], 0, v[7:8]
	s_and_b64 s[8:9], vcc, s[0:1]
	s_mov_b64 s[0:1], -1
	s_and_saveexec_b64 s[2:3], s[8:9]
	s_cbranch_execz .LBB177_2
; %bb.1:
	s_waitcnt lgkmcnt(0)
	v_cmp_neq_f64_e32 vcc, 1.0, v[1:2]
	v_cmp_neq_f64_e64 s[0:1], 0, v[3:4]
	s_or_b64 s[0:1], vcc, s[0:1]
	s_orn2_b64 s[0:1], s[0:1], exec
.LBB177_2:
	s_or_b64 exec, exec, s[2:3]
	s_and_saveexec_b64 s[2:3], s[0:1]
	s_cbranch_execz .LBB177_39
; %bb.3:
	s_load_dwordx4 s[0:3], s[4:5], 0x28
	s_load_dwordx2 s[8:9], s[4:5], 0x38
	s_mov_b32 s7, 0
	s_waitcnt lgkmcnt(0)
	s_cmp_eq_u64 s[0:1], 0
	s_cbranch_scc1 .LBB177_5
; %bb.4:
	s_lshl_b64 s[6:7], s[6:7], 3
	s_add_u32 s0, s0, s6
	s_addc_u32 s1, s1, s7
	s_load_dwordx2 s[0:1], s[0:1], 0x0
	s_waitcnt lgkmcnt(0)
	s_sub_u32 s6, s0, s14
	s_subb_u32 s7, s1, 0
.LBB177_5:
	s_load_dword s10, s[4:5], 0x8
	s_load_dwordx2 s[12:13], s[4:5], 0x68
	v_mul_u32_u24_e32 v13, 0xe39, v0
	v_mov_b32_e32 v14, 18
	v_mul_lo_u16_sdwa v9, v13, v14 dst_sel:DWORD dst_unused:UNUSED_PAD src0_sel:WORD_1 src1_sel:DWORD
	s_waitcnt lgkmcnt(0)
	s_cmp_eq_u32 s10, 1
	s_cselect_b64 s[0:1], -1, 0
	s_cmp_lg_u32 s10, 1
	s_cselect_b64 s[16:17], -1, 0
	s_lshl_b64 s[10:11], s[6:7], 3
	s_add_u32 s20, s2, s10
	s_addc_u32 s21, s3, s11
	s_add_u32 s2, s20, 8
	s_addc_u32 s3, s21, 0
	;; [unrolled: 2-line block ×3, first 2 shown]
	s_cmp_eq_u64 s[8:9], 0
	s_cselect_b32 s9, s3, s11
	s_cselect_b32 s8, s2, s10
	s_load_dwordx2 s[2:3], s[8:9], 0x0
	s_load_dwordx2 s[18:19], s[20:21], 0x0
	v_sub_u16_e32 v22, v0, v9
	v_mov_b32_e32 v11, 0
	v_mov_b32_e32 v12, 0
	s_waitcnt lgkmcnt(0)
	v_mov_b32_e32 v10, s3
	v_mov_b32_e32 v9, s2
	v_cmp_ge_i64_e32 vcc, s[18:19], v[9:10]
	v_mov_b32_e32 v9, 0
	v_lshlrev_b32_e32 v21, 4, v0
	v_mov_b32_e32 v10, 0
	s_cbranch_vccnz .LBB177_10
; %bb.6:
	v_mov_b32_e32 v9, 15
	v_mul_lo_u16_sdwa v9, v13, v9 dst_sel:DWORD dst_unused:UNUSED_PAD src0_sel:WORD_1 src1_sel:DWORD
	s_sub_u32 s2, s2, s14
	s_load_dwordx2 s[20:21], s[4:5], 0x50
	s_load_dwordx4 s[8:11], s[4:5], 0x40
	v_mul_lo_u16_sdwa v9, v9, v14 dst_sel:DWORD dst_unused:UNUSED_PAD src0_sel:BYTE_1 src1_sel:DWORD
	s_subb_u32 s3, s3, 0
	v_sub_u16_sdwa v9, v13, v9 dst_sel:DWORD dst_unused:UNUSED_PAD src0_sel:WORD_1 src1_sel:DWORD
	s_sub_u32 s4, s18, s14
	v_and_b32_e32 v9, 0xff, v9
	s_subb_u32 s5, s19, 0
	v_cndmask_b32_e64 v9, v22, v9, s[0:1]
	s_mul_i32 s0, s5, 0x1440
	s_mul_hi_u32 s1, s4, 0x1440
	v_lshlrev_b32_e32 v9, 4, v9
	s_add_i32 s1, s1, s0
	s_mul_i32 s0, s4, 0x1440
	s_waitcnt lgkmcnt(0)
	v_mov_b32_e32 v10, s21
	v_add_co_u32_e32 v13, vcc, s20, v9
	s_add_u32 s0, s10, s0
	v_addc_co_u32_e32 v14, vcc, 0, v10, vcc
	s_addc_u32 s1, s11, s1
	v_mov_b32_e32 v9, s1
	v_add_co_u32_e32 v15, vcc, s0, v21
	s_movk_i32 s0, 0x195
	v_addc_co_u32_e32 v16, vcc, 0, v9, vcc
	v_mul_u32_u24_sdwa v9, v0, s0 dst_sel:DWORD dst_unused:UNUSED_PAD src0_sel:WORD_0 src1_sel:DWORD
	v_lshrrev_b32_e32 v23, 17, v9
	v_mov_b32_e32 v9, s19
	v_add_co_u32_e32 v10, vcc, s18, v23
	v_addc_co_u32_e32 v11, vcc, 0, v9, vcc
	v_subrev_co_u32_e32 v9, vcc, s14, v10
	v_subbrev_co_u32_e32 v10, vcc, 0, v11, vcc
	v_lshlrev_b64 v[9:10], 3, v[9:10]
	v_mov_b32_e32 v11, s9
	v_add_co_u32_e32 v17, vcc, s8, v9
	v_addc_co_u32_e32 v18, vcc, v11, v10, vcc
	v_mov_b32_e32 v11, 0
	v_mov_b32_e32 v12, 0
	;; [unrolled: 1-line block ×4, first 2 shown]
	s_movk_i32 s8, 0x120
	v_mov_b32_e32 v19, s2
	v_mov_b32_e32 v10, v12
	s_branch .LBB177_8
.LBB177_7:                              ;   in Loop: Header=BB177_8 Depth=1
	s_or_b64 exec, exec, s[0:1]
	s_add_u32 s4, s4, 1
	s_addc_u32 s5, s5, 0
	v_cmp_lt_i64_e32 vcc, s[4:5], v[19:20]
	v_add_co_u32_e64 v17, s[0:1], 8, v17
	v_addc_co_u32_e64 v18, s[0:1], 0, v18, s[0:1]
	s_cbranch_vccz .LBB177_10
.LBB177_8:                              ; =>This Inner Loop Header: Depth=1
	v_mov_b32_e32 v25, s5
	v_add_co_u32_e32 v24, vcc, s4, v23
	v_addc_co_u32_e32 v25, vcc, 0, v25, vcc
	v_cmp_gt_i64_e32 vcc, s[2:3], v[24:25]
	s_and_saveexec_b64 s[0:1], vcc
	s_cbranch_execz .LBB177_7
; %bb.9:                                ;   in Loop: Header=BB177_8 Depth=1
	global_load_dwordx2 v[24:25], v[17:18], off
	s_waitcnt vmcnt(0)
	v_subrev_co_u32_e32 v24, vcc, s14, v24
	v_mad_u64_u32 v[28:29], s[10:11], v24, s8, v[13:14]
	v_subbrev_co_u32_e32 v25, vcc, 0, v25, vcc
	v_mov_b32_e32 v24, v29
	v_mad_u64_u32 v[29:30], s[10:11], v25, s8, v[24:25]
	global_load_dwordx4 v[24:27], v[15:16], off
	s_nop 0
	global_load_dwordx4 v[28:31], v[28:29], off
	v_add_co_u32_e32 v15, vcc, 0x1440, v15
	v_addc_co_u32_e32 v16, vcc, 0, v16, vcc
	s_waitcnt vmcnt(0)
	v_fma_f64 v[9:10], v[24:25], v[28:29], v[9:10]
	v_fma_f64 v[11:12], v[26:27], v[28:29], v[11:12]
	v_fma_f64 v[9:10], -v[26:27], v[30:31], v[9:10]
	v_fma_f64 v[11:12], v[24:25], v[30:31], v[11:12]
	s_branch .LBB177_7
.LBB177_10:
	s_and_b64 vcc, exec, s[16:17]
	ds_write_b128 v21, v[9:12]
	s_waitcnt lgkmcnt(0)
	s_barrier
	s_cbranch_vccz .LBB177_22
; %bb.11:
	v_cmp_gt_u16_e32 vcc, 2, v22
	s_and_saveexec_b64 s[0:1], vcc
	s_cbranch_execz .LBB177_13
; %bb.12:
	ds_read_b128 v[13:16], v21 offset:256
	ds_read_b128 v[17:20], v21
	s_waitcnt lgkmcnt(0)
	v_add_f64 v[13:14], v[13:14], v[17:18]
	v_add_f64 v[15:16], v[15:16], v[19:20]
	ds_write_b128 v21, v[13:16]
.LBB177_13:
	s_or_b64 exec, exec, s[0:1]
	v_cmp_gt_u16_e64 s[0:1], 8, v22
	s_waitcnt lgkmcnt(0)
	s_barrier
	s_and_saveexec_b64 s[2:3], s[0:1]
	s_cbranch_execz .LBB177_15
; %bb.14:
	ds_read_b128 v[13:16], v21 offset:128
	ds_read_b128 v[17:20], v21
	s_waitcnt lgkmcnt(0)
	v_add_f64 v[13:14], v[13:14], v[17:18]
	v_add_f64 v[15:16], v[15:16], v[19:20]
	ds_write_b128 v21, v[13:16]
.LBB177_15:
	s_or_b64 exec, exec, s[2:3]
	v_cmp_gt_u16_e64 s[0:1], 4, v22
	s_waitcnt lgkmcnt(0)
	s_barrier
	s_and_saveexec_b64 s[2:3], s[0:1]
	s_cbranch_execz .LBB177_17
; %bb.16:
	ds_read_b128 v[13:16], v21 offset:64
	ds_read_b128 v[17:20], v21
	s_waitcnt lgkmcnt(0)
	v_add_f64 v[13:14], v[13:14], v[17:18]
	v_add_f64 v[15:16], v[15:16], v[19:20]
	ds_write_b128 v21, v[13:16]
.LBB177_17:
	s_or_b64 exec, exec, s[2:3]
	s_waitcnt lgkmcnt(0)
	s_barrier
	s_and_saveexec_b64 s[0:1], vcc
	s_cbranch_execz .LBB177_19
; %bb.18:
	ds_read_b128 v[13:16], v21
	ds_read_b128 v[17:20], v21 offset:32
	s_waitcnt lgkmcnt(0)
	v_add_f64 v[13:14], v[17:18], v[13:14]
	v_add_f64 v[15:16], v[19:20], v[15:16]
	ds_write_b128 v21, v[13:16]
.LBB177_19:
	s_or_b64 exec, exec, s[0:1]
	v_mov_b32_e32 v16, v12
	v_mov_b32_e32 v14, v10
	v_cmp_gt_u32_e32 vcc, 18, v0
	v_mov_b32_e32 v15, v11
	v_mov_b32_e32 v13, v9
	s_waitcnt lgkmcnt(0)
	s_barrier
	s_and_saveexec_b64 s[0:1], vcc
	s_cbranch_execz .LBB177_21
; %bb.20:
	s_movk_i32 s2, 0x110
	v_mad_u32_u24 v17, v0, s2, v21
	ds_read_b128 v[13:16], v17
	ds_read_b128 v[17:20], v17 offset:16
	s_waitcnt lgkmcnt(0)
	v_add_f64 v[13:14], v[17:18], v[13:14]
	v_add_f64 v[15:16], v[19:20], v[15:16]
.LBB177_21:
	s_or_b64 exec, exec, s[0:1]
	s_branch .LBB177_34
.LBB177_22:
                                        ; implicit-def: $vgpr15_vgpr16
                                        ; implicit-def: $vgpr13_vgpr14
	s_cbranch_execz .LBB177_34
; %bb.23:
	v_cmp_gt_u32_e32 vcc, 36, v0
	s_and_saveexec_b64 s[0:1], vcc
	s_cbranch_execz .LBB177_25
; %bb.24:
	ds_read_b128 v[13:16], v21 offset:4608
	ds_read_b128 v[17:20], v21
	s_waitcnt lgkmcnt(0)
	v_add_f64 v[13:14], v[13:14], v[17:18]
	v_add_f64 v[15:16], v[15:16], v[19:20]
	ds_write_b128 v21, v[13:16]
.LBB177_25:
	s_or_b64 exec, exec, s[0:1]
	s_movk_i32 s0, 0x90
	v_cmp_gt_u32_e64 s[0:1], s0, v0
	s_waitcnt lgkmcnt(0)
	s_barrier
	s_and_saveexec_b64 s[2:3], s[0:1]
	s_cbranch_execz .LBB177_27
; %bb.26:
	ds_read_b128 v[13:16], v21 offset:2304
	ds_read_b128 v[17:20], v21
	s_waitcnt lgkmcnt(0)
	v_add_f64 v[13:14], v[13:14], v[17:18]
	v_add_f64 v[15:16], v[15:16], v[19:20]
	ds_write_b128 v21, v[13:16]
.LBB177_27:
	s_or_b64 exec, exec, s[2:3]
	s_movk_i32 s0, 0x48
	v_cmp_gt_u32_e64 s[0:1], s0, v0
	s_waitcnt lgkmcnt(0)
	s_barrier
	s_and_saveexec_b64 s[2:3], s[0:1]
	s_cbranch_execz .LBB177_29
; %bb.28:
	ds_read_b128 v[13:16], v21 offset:1152
	ds_read_b128 v[17:20], v21
	s_waitcnt lgkmcnt(0)
	v_add_f64 v[13:14], v[13:14], v[17:18]
	v_add_f64 v[15:16], v[15:16], v[19:20]
	ds_write_b128 v21, v[13:16]
.LBB177_29:
	s_or_b64 exec, exec, s[2:3]
	s_waitcnt lgkmcnt(0)
	s_barrier
	s_and_saveexec_b64 s[0:1], vcc
	s_cbranch_execz .LBB177_31
; %bb.30:
	ds_read_b128 v[13:16], v21 offset:576
	ds_read_b128 v[17:20], v21
	s_waitcnt lgkmcnt(0)
	v_add_f64 v[13:14], v[13:14], v[17:18]
	v_add_f64 v[15:16], v[15:16], v[19:20]
	ds_write_b128 v21, v[13:16]
.LBB177_31:
	s_or_b64 exec, exec, s[0:1]
	v_cmp_gt_u32_e32 vcc, 18, v0
	s_waitcnt lgkmcnt(0)
	s_and_saveexec_b64 s[0:1], vcc
	s_cbranch_execz .LBB177_33
; %bb.32:
	ds_read_b128 v[9:12], v21 offset:288
	ds_read_b128 v[13:16], v21
	s_waitcnt lgkmcnt(0)
	v_add_f64 v[9:10], v[9:10], v[13:14]
	v_add_f64 v[11:12], v[11:12], v[15:16]
.LBB177_33:
	s_or_b64 exec, exec, s[0:1]
	v_mov_b32_e32 v16, v12
	v_mov_b32_e32 v14, v10
	;; [unrolled: 1-line block ×4, first 2 shown]
.LBB177_34:
	v_cmp_gt_u32_e32 vcc, 18, v0
	s_and_b64 exec, exec, vcc
	s_cbranch_execz .LBB177_39
; %bb.35:
	v_mul_f64 v[9:10], v[15:16], -v[7:8]
	v_mul_f64 v[11:12], v[5:6], v[15:16]
	v_cmp_eq_f64_e32 vcc, 0, v[1:2]
	v_cmp_eq_f64_e64 s[0:1], 0, v[3:4]
	s_mul_i32 s2, s7, 0x120
	s_mul_hi_u32 s3, s6, 0x120
	s_mul_i32 s4, s6, 0x120
	v_fma_f64 v[5:6], v[5:6], v[13:14], v[9:10]
	v_fma_f64 v[7:8], v[7:8], v[13:14], v[11:12]
	s_and_b64 s[0:1], vcc, s[0:1]
	s_and_saveexec_b64 s[6:7], s[0:1]
	s_xor_b64 s[0:1], exec, s[6:7]
	s_cbranch_execz .LBB177_37
; %bb.36:
	s_add_i32 s5, s3, s2
	s_add_u32 s6, s12, s4
	s_addc_u32 s7, s13, s5
	global_store_dwordx4 v21, v[5:8], s[6:7]
                                        ; implicit-def: $vgpr21
                                        ; implicit-def: $vgpr1_vgpr2
                                        ; implicit-def: $vgpr5_vgpr6
.LBB177_37:
	s_andn2_saveexec_b64 s[0:1], s[0:1]
	s_cbranch_execz .LBB177_39
; %bb.38:
	s_add_i32 s3, s3, s2
	s_add_u32 s0, s12, s4
	s_addc_u32 s1, s13, s3
	global_load_dwordx4 v[9:12], v21, s[0:1]
	s_waitcnt vmcnt(0)
	v_fma_f64 v[5:6], v[1:2], v[9:10], v[5:6]
	v_fma_f64 v[7:8], v[3:4], v[9:10], v[7:8]
	v_fma_f64 v[3:4], -v[3:4], v[11:12], v[5:6]
	v_fma_f64 v[5:6], v[1:2], v[11:12], v[7:8]
	global_store_dwordx4 v21, v[3:6], s[0:1]
.LBB177_39:
	s_endpgm
	.section	.rodata,"a",@progbits
	.p2align	6, 0x0
	.amdhsa_kernel _ZN9rocsparseL20bsrxmvn_17_32_kernelILj18E21rocsparse_complex_numIdEllS2_S2_S2_EEvT2_20rocsparse_direction_NS_24const_host_device_scalarIT0_EES3_PKS3_PKT1_SC_S9_PKT3_PKT4_S7_PT5_21rocsparse_index_base_b
		.amdhsa_group_segment_fixed_size 5184
		.amdhsa_private_segment_fixed_size 0
		.amdhsa_kernarg_size 120
		.amdhsa_user_sgpr_count 6
		.amdhsa_user_sgpr_private_segment_buffer 1
		.amdhsa_user_sgpr_dispatch_ptr 0
		.amdhsa_user_sgpr_queue_ptr 0
		.amdhsa_user_sgpr_kernarg_segment_ptr 1
		.amdhsa_user_sgpr_dispatch_id 0
		.amdhsa_user_sgpr_flat_scratch_init 0
		.amdhsa_user_sgpr_private_segment_size 0
		.amdhsa_uses_dynamic_stack 0
		.amdhsa_system_sgpr_private_segment_wavefront_offset 0
		.amdhsa_system_sgpr_workgroup_id_x 1
		.amdhsa_system_sgpr_workgroup_id_y 0
		.amdhsa_system_sgpr_workgroup_id_z 0
		.amdhsa_system_sgpr_workgroup_info 0
		.amdhsa_system_vgpr_workitem_id 0
		.amdhsa_next_free_vgpr 32
		.amdhsa_next_free_sgpr 61
		.amdhsa_reserve_vcc 1
		.amdhsa_reserve_flat_scratch 0
		.amdhsa_float_round_mode_32 0
		.amdhsa_float_round_mode_16_64 0
		.amdhsa_float_denorm_mode_32 3
		.amdhsa_float_denorm_mode_16_64 3
		.amdhsa_dx10_clamp 1
		.amdhsa_ieee_mode 1
		.amdhsa_fp16_overflow 0
		.amdhsa_exception_fp_ieee_invalid_op 0
		.amdhsa_exception_fp_denorm_src 0
		.amdhsa_exception_fp_ieee_div_zero 0
		.amdhsa_exception_fp_ieee_overflow 0
		.amdhsa_exception_fp_ieee_underflow 0
		.amdhsa_exception_fp_ieee_inexact 0
		.amdhsa_exception_int_div_zero 0
	.end_amdhsa_kernel
	.section	.text._ZN9rocsparseL20bsrxmvn_17_32_kernelILj18E21rocsparse_complex_numIdEllS2_S2_S2_EEvT2_20rocsparse_direction_NS_24const_host_device_scalarIT0_EES3_PKS3_PKT1_SC_S9_PKT3_PKT4_S7_PT5_21rocsparse_index_base_b,"axG",@progbits,_ZN9rocsparseL20bsrxmvn_17_32_kernelILj18E21rocsparse_complex_numIdEllS2_S2_S2_EEvT2_20rocsparse_direction_NS_24const_host_device_scalarIT0_EES3_PKS3_PKT1_SC_S9_PKT3_PKT4_S7_PT5_21rocsparse_index_base_b,comdat
.Lfunc_end177:
	.size	_ZN9rocsparseL20bsrxmvn_17_32_kernelILj18E21rocsparse_complex_numIdEllS2_S2_S2_EEvT2_20rocsparse_direction_NS_24const_host_device_scalarIT0_EES3_PKS3_PKT1_SC_S9_PKT3_PKT4_S7_PT5_21rocsparse_index_base_b, .Lfunc_end177-_ZN9rocsparseL20bsrxmvn_17_32_kernelILj18E21rocsparse_complex_numIdEllS2_S2_S2_EEvT2_20rocsparse_direction_NS_24const_host_device_scalarIT0_EES3_PKS3_PKT1_SC_S9_PKT3_PKT4_S7_PT5_21rocsparse_index_base_b
                                        ; -- End function
	.set _ZN9rocsparseL20bsrxmvn_17_32_kernelILj18E21rocsparse_complex_numIdEllS2_S2_S2_EEvT2_20rocsparse_direction_NS_24const_host_device_scalarIT0_EES3_PKS3_PKT1_SC_S9_PKT3_PKT4_S7_PT5_21rocsparse_index_base_b.num_vgpr, 32
	.set _ZN9rocsparseL20bsrxmvn_17_32_kernelILj18E21rocsparse_complex_numIdEllS2_S2_S2_EEvT2_20rocsparse_direction_NS_24const_host_device_scalarIT0_EES3_PKS3_PKT1_SC_S9_PKT3_PKT4_S7_PT5_21rocsparse_index_base_b.num_agpr, 0
	.set _ZN9rocsparseL20bsrxmvn_17_32_kernelILj18E21rocsparse_complex_numIdEllS2_S2_S2_EEvT2_20rocsparse_direction_NS_24const_host_device_scalarIT0_EES3_PKS3_PKT1_SC_S9_PKT3_PKT4_S7_PT5_21rocsparse_index_base_b.numbered_sgpr, 22
	.set _ZN9rocsparseL20bsrxmvn_17_32_kernelILj18E21rocsparse_complex_numIdEllS2_S2_S2_EEvT2_20rocsparse_direction_NS_24const_host_device_scalarIT0_EES3_PKS3_PKT1_SC_S9_PKT3_PKT4_S7_PT5_21rocsparse_index_base_b.num_named_barrier, 0
	.set _ZN9rocsparseL20bsrxmvn_17_32_kernelILj18E21rocsparse_complex_numIdEllS2_S2_S2_EEvT2_20rocsparse_direction_NS_24const_host_device_scalarIT0_EES3_PKS3_PKT1_SC_S9_PKT3_PKT4_S7_PT5_21rocsparse_index_base_b.private_seg_size, 0
	.set _ZN9rocsparseL20bsrxmvn_17_32_kernelILj18E21rocsparse_complex_numIdEllS2_S2_S2_EEvT2_20rocsparse_direction_NS_24const_host_device_scalarIT0_EES3_PKS3_PKT1_SC_S9_PKT3_PKT4_S7_PT5_21rocsparse_index_base_b.uses_vcc, 1
	.set _ZN9rocsparseL20bsrxmvn_17_32_kernelILj18E21rocsparse_complex_numIdEllS2_S2_S2_EEvT2_20rocsparse_direction_NS_24const_host_device_scalarIT0_EES3_PKS3_PKT1_SC_S9_PKT3_PKT4_S7_PT5_21rocsparse_index_base_b.uses_flat_scratch, 0
	.set _ZN9rocsparseL20bsrxmvn_17_32_kernelILj18E21rocsparse_complex_numIdEllS2_S2_S2_EEvT2_20rocsparse_direction_NS_24const_host_device_scalarIT0_EES3_PKS3_PKT1_SC_S9_PKT3_PKT4_S7_PT5_21rocsparse_index_base_b.has_dyn_sized_stack, 0
	.set _ZN9rocsparseL20bsrxmvn_17_32_kernelILj18E21rocsparse_complex_numIdEllS2_S2_S2_EEvT2_20rocsparse_direction_NS_24const_host_device_scalarIT0_EES3_PKS3_PKT1_SC_S9_PKT3_PKT4_S7_PT5_21rocsparse_index_base_b.has_recursion, 0
	.set _ZN9rocsparseL20bsrxmvn_17_32_kernelILj18E21rocsparse_complex_numIdEllS2_S2_S2_EEvT2_20rocsparse_direction_NS_24const_host_device_scalarIT0_EES3_PKS3_PKT1_SC_S9_PKT3_PKT4_S7_PT5_21rocsparse_index_base_b.has_indirect_call, 0
	.section	.AMDGPU.csdata,"",@progbits
; Kernel info:
; codeLenInByte = 1724
; TotalNumSgprs: 26
; NumVgprs: 32
; ScratchSize: 0
; MemoryBound: 1
; FloatMode: 240
; IeeeMode: 1
; LDSByteSize: 5184 bytes/workgroup (compile time only)
; SGPRBlocks: 8
; VGPRBlocks: 7
; NumSGPRsForWavesPerEU: 65
; NumVGPRsForWavesPerEU: 32
; Occupancy: 8
; WaveLimiterHint : 1
; COMPUTE_PGM_RSRC2:SCRATCH_EN: 0
; COMPUTE_PGM_RSRC2:USER_SGPR: 6
; COMPUTE_PGM_RSRC2:TRAP_HANDLER: 0
; COMPUTE_PGM_RSRC2:TGID_X_EN: 1
; COMPUTE_PGM_RSRC2:TGID_Y_EN: 0
; COMPUTE_PGM_RSRC2:TGID_Z_EN: 0
; COMPUTE_PGM_RSRC2:TIDIG_COMP_CNT: 0
	.section	.text._ZN9rocsparseL20bsrxmvn_17_32_kernelILj19E21rocsparse_complex_numIdEllS2_S2_S2_EEvT2_20rocsparse_direction_NS_24const_host_device_scalarIT0_EES3_PKS3_PKT1_SC_S9_PKT3_PKT4_S7_PT5_21rocsparse_index_base_b,"axG",@progbits,_ZN9rocsparseL20bsrxmvn_17_32_kernelILj19E21rocsparse_complex_numIdEllS2_S2_S2_EEvT2_20rocsparse_direction_NS_24const_host_device_scalarIT0_EES3_PKS3_PKT1_SC_S9_PKT3_PKT4_S7_PT5_21rocsparse_index_base_b,comdat
	.globl	_ZN9rocsparseL20bsrxmvn_17_32_kernelILj19E21rocsparse_complex_numIdEllS2_S2_S2_EEvT2_20rocsparse_direction_NS_24const_host_device_scalarIT0_EES3_PKS3_PKT1_SC_S9_PKT3_PKT4_S7_PT5_21rocsparse_index_base_b ; -- Begin function _ZN9rocsparseL20bsrxmvn_17_32_kernelILj19E21rocsparse_complex_numIdEllS2_S2_S2_EEvT2_20rocsparse_direction_NS_24const_host_device_scalarIT0_EES3_PKS3_PKT1_SC_S9_PKT3_PKT4_S7_PT5_21rocsparse_index_base_b
	.p2align	8
	.type	_ZN9rocsparseL20bsrxmvn_17_32_kernelILj19E21rocsparse_complex_numIdEllS2_S2_S2_EEvT2_20rocsparse_direction_NS_24const_host_device_scalarIT0_EES3_PKS3_PKT1_SC_S9_PKT3_PKT4_S7_PT5_21rocsparse_index_base_b,@function
_ZN9rocsparseL20bsrxmvn_17_32_kernelILj19E21rocsparse_complex_numIdEllS2_S2_S2_EEvT2_20rocsparse_direction_NS_24const_host_device_scalarIT0_EES3_PKS3_PKT1_SC_S9_PKT3_PKT4_S7_PT5_21rocsparse_index_base_b: ; @_ZN9rocsparseL20bsrxmvn_17_32_kernelILj19E21rocsparse_complex_numIdEllS2_S2_S2_EEvT2_20rocsparse_direction_NS_24const_host_device_scalarIT0_EES3_PKS3_PKT1_SC_S9_PKT3_PKT4_S7_PT5_21rocsparse_index_base_b
; %bb.0:
	s_load_dwordx2 s[0:1], s[4:5], 0x10
	s_load_dwordx2 s[14:15], s[4:5], 0x70
	s_add_u32 s7, s4, 16
	s_addc_u32 s8, s5, 0
	s_add_u32 s9, s4, 0x58
	s_addc_u32 s10, s5, 0
	s_waitcnt lgkmcnt(0)
	s_bitcmp1_b32 s15, 0
	s_cselect_b32 s1, s8, s1
	s_cselect_b32 s0, s7, s0
	v_mov_b32_e32 v1, s0
	v_mov_b32_e32 v2, s1
	flat_load_dwordx4 v[5:8], v[1:2]
	s_load_dwordx2 s[2:3], s[4:5], 0x58
	s_waitcnt lgkmcnt(0)
	s_cselect_b32 s0, s10, s3
	s_cselect_b32 s1, s9, s2
	v_mov_b32_e32 v1, s1
	v_mov_b32_e32 v2, s0
	flat_load_dwordx4 v[1:4], v[1:2]
	s_waitcnt vmcnt(0)
	v_cmp_eq_f64_e32 vcc, 0, v[5:6]
	v_cmp_eq_f64_e64 s[0:1], 0, v[7:8]
	s_and_b64 s[8:9], vcc, s[0:1]
	s_mov_b64 s[0:1], -1
	s_and_saveexec_b64 s[2:3], s[8:9]
	s_cbranch_execz .LBB178_2
; %bb.1:
	s_waitcnt lgkmcnt(0)
	v_cmp_neq_f64_e32 vcc, 1.0, v[1:2]
	v_cmp_neq_f64_e64 s[0:1], 0, v[3:4]
	s_or_b64 s[0:1], vcc, s[0:1]
	s_orn2_b64 s[0:1], s[0:1], exec
.LBB178_2:
	s_or_b64 exec, exec, s[2:3]
	s_and_saveexec_b64 s[2:3], s[0:1]
	s_cbranch_execz .LBB178_39
; %bb.3:
	s_load_dwordx4 s[0:3], s[4:5], 0x28
	s_load_dwordx2 s[8:9], s[4:5], 0x38
	s_mov_b32 s7, 0
	s_waitcnt lgkmcnt(0)
	s_cmp_eq_u64 s[0:1], 0
	s_cbranch_scc1 .LBB178_5
; %bb.4:
	s_lshl_b64 s[6:7], s[6:7], 3
	s_add_u32 s0, s0, s6
	s_addc_u32 s1, s1, s7
	s_load_dwordx2 s[0:1], s[0:1], 0x0
	s_waitcnt lgkmcnt(0)
	s_sub_u32 s6, s0, s14
	s_subb_u32 s7, s1, 0
.LBB178_5:
	s_load_dword s10, s[4:5], 0x8
	s_load_dwordx2 s[12:13], s[4:5], 0x68
	v_mul_u32_u24_e32 v13, 0xd7a, v0
	v_mov_b32_e32 v14, 19
	v_mul_lo_u16_sdwa v9, v13, v14 dst_sel:DWORD dst_unused:UNUSED_PAD src0_sel:WORD_1 src1_sel:DWORD
	s_waitcnt lgkmcnt(0)
	s_cmp_eq_u32 s10, 1
	s_cselect_b64 s[0:1], -1, 0
	s_cmp_lg_u32 s10, 1
	s_cselect_b64 s[16:17], -1, 0
	s_lshl_b64 s[10:11], s[6:7], 3
	s_add_u32 s20, s2, s10
	s_addc_u32 s21, s3, s11
	s_add_u32 s2, s20, 8
	s_addc_u32 s3, s21, 0
	;; [unrolled: 2-line block ×3, first 2 shown]
	s_cmp_eq_u64 s[8:9], 0
	s_cselect_b32 s9, s3, s11
	s_cselect_b32 s8, s2, s10
	s_load_dwordx2 s[2:3], s[8:9], 0x0
	s_load_dwordx2 s[18:19], s[20:21], 0x0
	v_sub_u16_e32 v22, v0, v9
	v_mov_b32_e32 v11, 0
	v_mov_b32_e32 v12, 0
	s_waitcnt lgkmcnt(0)
	v_mov_b32_e32 v10, s3
	v_mov_b32_e32 v9, s2
	v_cmp_ge_i64_e32 vcc, s[18:19], v[9:10]
	v_mov_b32_e32 v9, 0
	v_lshlrev_b32_e32 v21, 4, v0
	v_mov_b32_e32 v10, 0
	s_cbranch_vccnz .LBB178_10
; %bb.6:
	v_mov_b32_e32 v9, 14
	v_mul_lo_u16_sdwa v9, v13, v9 dst_sel:DWORD dst_unused:UNUSED_PAD src0_sel:WORD_1 src1_sel:DWORD
	s_sub_u32 s2, s2, s14
	s_load_dwordx2 s[20:21], s[4:5], 0x50
	s_load_dwordx4 s[8:11], s[4:5], 0x40
	v_mul_lo_u16_sdwa v9, v9, v14 dst_sel:DWORD dst_unused:UNUSED_PAD src0_sel:BYTE_1 src1_sel:DWORD
	s_subb_u32 s3, s3, 0
	v_sub_u16_sdwa v9, v13, v9 dst_sel:DWORD dst_unused:UNUSED_PAD src0_sel:WORD_1 src1_sel:DWORD
	s_sub_u32 s4, s18, s14
	v_and_b32_e32 v9, 0xff, v9
	s_subb_u32 s5, s19, 0
	v_cndmask_b32_e64 v9, v22, v9, s[0:1]
	s_mul_i32 s0, s5, 0x1690
	s_mul_hi_u32 s1, s4, 0x1690
	v_lshlrev_b32_e32 v9, 4, v9
	s_add_i32 s1, s1, s0
	s_mul_i32 s0, s4, 0x1690
	s_waitcnt lgkmcnt(0)
	v_mov_b32_e32 v10, s21
	v_add_co_u32_e32 v13, vcc, s20, v9
	s_add_u32 s0, s10, s0
	v_addc_co_u32_e32 v14, vcc, 0, v10, vcc
	s_addc_u32 s1, s11, s1
	v_mov_b32_e32 v9, s1
	v_add_co_u32_e32 v15, vcc, s0, v21
	s_movk_i32 s0, 0xb6
	v_addc_co_u32_e32 v16, vcc, 0, v9, vcc
	v_mul_u32_u24_sdwa v9, v0, s0 dst_sel:DWORD dst_unused:UNUSED_PAD src0_sel:WORD_0 src1_sel:DWORD
	v_lshrrev_b32_e32 v23, 16, v9
	v_mov_b32_e32 v9, s19
	v_add_co_u32_e32 v10, vcc, s18, v23
	v_addc_co_u32_e32 v11, vcc, 0, v9, vcc
	v_subrev_co_u32_e32 v9, vcc, s14, v10
	v_subbrev_co_u32_e32 v10, vcc, 0, v11, vcc
	v_lshlrev_b64 v[9:10], 3, v[9:10]
	v_mov_b32_e32 v11, s9
	v_add_co_u32_e32 v17, vcc, s8, v9
	v_addc_co_u32_e32 v18, vcc, v11, v10, vcc
	v_mov_b32_e32 v11, 0
	v_mov_b32_e32 v12, 0
	;; [unrolled: 1-line block ×4, first 2 shown]
	s_movk_i32 s8, 0x130
	v_mov_b32_e32 v19, s2
	v_mov_b32_e32 v10, v12
	s_branch .LBB178_8
.LBB178_7:                              ;   in Loop: Header=BB178_8 Depth=1
	s_or_b64 exec, exec, s[0:1]
	s_add_u32 s4, s4, 1
	s_addc_u32 s5, s5, 0
	v_cmp_lt_i64_e32 vcc, s[4:5], v[19:20]
	v_add_co_u32_e64 v17, s[0:1], 8, v17
	v_addc_co_u32_e64 v18, s[0:1], 0, v18, s[0:1]
	s_cbranch_vccz .LBB178_10
.LBB178_8:                              ; =>This Inner Loop Header: Depth=1
	v_mov_b32_e32 v25, s5
	v_add_co_u32_e32 v24, vcc, s4, v23
	v_addc_co_u32_e32 v25, vcc, 0, v25, vcc
	v_cmp_gt_i64_e32 vcc, s[2:3], v[24:25]
	s_and_saveexec_b64 s[0:1], vcc
	s_cbranch_execz .LBB178_7
; %bb.9:                                ;   in Loop: Header=BB178_8 Depth=1
	global_load_dwordx2 v[24:25], v[17:18], off
	s_waitcnt vmcnt(0)
	v_subrev_co_u32_e32 v24, vcc, s14, v24
	v_mad_u64_u32 v[28:29], s[10:11], v24, s8, v[13:14]
	v_subbrev_co_u32_e32 v25, vcc, 0, v25, vcc
	v_mov_b32_e32 v24, v29
	v_mad_u64_u32 v[29:30], s[10:11], v25, s8, v[24:25]
	global_load_dwordx4 v[24:27], v[15:16], off
	s_nop 0
	global_load_dwordx4 v[28:31], v[28:29], off
	v_add_co_u32_e32 v15, vcc, 0x1690, v15
	v_addc_co_u32_e32 v16, vcc, 0, v16, vcc
	s_waitcnt vmcnt(0)
	v_fma_f64 v[9:10], v[24:25], v[28:29], v[9:10]
	v_fma_f64 v[11:12], v[26:27], v[28:29], v[11:12]
	v_fma_f64 v[9:10], -v[26:27], v[30:31], v[9:10]
	v_fma_f64 v[11:12], v[24:25], v[30:31], v[11:12]
	s_branch .LBB178_7
.LBB178_10:
	s_and_b64 vcc, exec, s[16:17]
	ds_write_b128 v21, v[9:12]
	s_waitcnt lgkmcnt(0)
	s_barrier
	s_cbranch_vccz .LBB178_22
; %bb.11:
	v_cmp_gt_u16_e32 vcc, 3, v22
	s_and_saveexec_b64 s[0:1], vcc
	s_cbranch_execz .LBB178_13
; %bb.12:
	ds_read_b128 v[13:16], v21 offset:256
	ds_read_b128 v[17:20], v21
	s_waitcnt lgkmcnt(0)
	v_add_f64 v[13:14], v[13:14], v[17:18]
	v_add_f64 v[15:16], v[15:16], v[19:20]
	ds_write_b128 v21, v[13:16]
.LBB178_13:
	s_or_b64 exec, exec, s[0:1]
	v_cmp_gt_u16_e32 vcc, 8, v22
	s_waitcnt lgkmcnt(0)
	s_barrier
	s_and_saveexec_b64 s[0:1], vcc
	s_cbranch_execz .LBB178_15
; %bb.14:
	ds_read_b128 v[13:16], v21 offset:128
	ds_read_b128 v[17:20], v21
	s_waitcnt lgkmcnt(0)
	v_add_f64 v[13:14], v[13:14], v[17:18]
	v_add_f64 v[15:16], v[15:16], v[19:20]
	ds_write_b128 v21, v[13:16]
.LBB178_15:
	s_or_b64 exec, exec, s[0:1]
	v_cmp_gt_u16_e32 vcc, 4, v22
	s_waitcnt lgkmcnt(0)
	s_barrier
	;; [unrolled: 14-line block ×3, first 2 shown]
	s_and_saveexec_b64 s[0:1], vcc
	s_cbranch_execz .LBB178_19
; %bb.18:
	ds_read_b128 v[13:16], v21
	ds_read_b128 v[17:20], v21 offset:32
	s_waitcnt lgkmcnt(0)
	v_add_f64 v[13:14], v[17:18], v[13:14]
	v_add_f64 v[15:16], v[19:20], v[15:16]
	ds_write_b128 v21, v[13:16]
.LBB178_19:
	s_or_b64 exec, exec, s[0:1]
	v_mov_b32_e32 v16, v12
	v_mov_b32_e32 v14, v10
	v_cmp_gt_u32_e32 vcc, 19, v0
	v_mov_b32_e32 v15, v11
	v_mov_b32_e32 v13, v9
	s_waitcnt lgkmcnt(0)
	s_barrier
	s_and_saveexec_b64 s[0:1], vcc
	s_cbranch_execz .LBB178_21
; %bb.20:
	s_movk_i32 s2, 0x120
	v_mad_u32_u24 v17, v0, s2, v21
	ds_read_b128 v[13:16], v17
	ds_read_b128 v[17:20], v17 offset:16
	s_waitcnt lgkmcnt(0)
	v_add_f64 v[13:14], v[17:18], v[13:14]
	v_add_f64 v[15:16], v[19:20], v[15:16]
.LBB178_21:
	s_or_b64 exec, exec, s[0:1]
	s_branch .LBB178_34
.LBB178_22:
                                        ; implicit-def: $vgpr15_vgpr16
                                        ; implicit-def: $vgpr13_vgpr14
	s_cbranch_execz .LBB178_34
; %bb.23:
	v_cmp_gt_u32_e32 vcc, 57, v0
	s_and_saveexec_b64 s[0:1], vcc
	s_cbranch_execz .LBB178_25
; %bb.24:
	ds_read_b128 v[13:16], v21 offset:4864
	ds_read_b128 v[17:20], v21
	s_waitcnt lgkmcnt(0)
	v_add_f64 v[13:14], v[13:14], v[17:18]
	v_add_f64 v[15:16], v[15:16], v[19:20]
	ds_write_b128 v21, v[13:16]
.LBB178_25:
	s_or_b64 exec, exec, s[0:1]
	s_movk_i32 s0, 0x98
	v_cmp_gt_u32_e32 vcc, s0, v0
	s_waitcnt lgkmcnt(0)
	s_barrier
	s_and_saveexec_b64 s[0:1], vcc
	s_cbranch_execz .LBB178_27
; %bb.26:
	ds_read_b128 v[13:16], v21 offset:2432
	ds_read_b128 v[17:20], v21
	s_waitcnt lgkmcnt(0)
	v_add_f64 v[13:14], v[13:14], v[17:18]
	v_add_f64 v[15:16], v[15:16], v[19:20]
	ds_write_b128 v21, v[13:16]
.LBB178_27:
	s_or_b64 exec, exec, s[0:1]
	s_movk_i32 s0, 0x4c
	v_cmp_gt_u32_e32 vcc, s0, v0
	s_waitcnt lgkmcnt(0)
	s_barrier
	s_and_saveexec_b64 s[0:1], vcc
	s_cbranch_execz .LBB178_29
; %bb.28:
	ds_read_b128 v[13:16], v21 offset:1216
	ds_read_b128 v[17:20], v21
	s_waitcnt lgkmcnt(0)
	v_add_f64 v[13:14], v[13:14], v[17:18]
	v_add_f64 v[15:16], v[15:16], v[19:20]
	ds_write_b128 v21, v[13:16]
.LBB178_29:
	s_or_b64 exec, exec, s[0:1]
	v_cmp_gt_u32_e32 vcc, 38, v0
	s_waitcnt lgkmcnt(0)
	s_barrier
	s_and_saveexec_b64 s[0:1], vcc
	s_cbranch_execz .LBB178_31
; %bb.30:
	ds_read_b128 v[13:16], v21 offset:608
	ds_read_b128 v[17:20], v21
	s_waitcnt lgkmcnt(0)
	v_add_f64 v[13:14], v[13:14], v[17:18]
	v_add_f64 v[15:16], v[15:16], v[19:20]
	ds_write_b128 v21, v[13:16]
.LBB178_31:
	s_or_b64 exec, exec, s[0:1]
	v_cmp_gt_u32_e32 vcc, 19, v0
	s_waitcnt lgkmcnt(0)
	s_and_saveexec_b64 s[0:1], vcc
	s_cbranch_execz .LBB178_33
; %bb.32:
	ds_read_b128 v[9:12], v21 offset:304
	ds_read_b128 v[13:16], v21
	s_waitcnt lgkmcnt(0)
	v_add_f64 v[9:10], v[9:10], v[13:14]
	v_add_f64 v[11:12], v[11:12], v[15:16]
.LBB178_33:
	s_or_b64 exec, exec, s[0:1]
	v_mov_b32_e32 v16, v12
	v_mov_b32_e32 v14, v10
	;; [unrolled: 1-line block ×4, first 2 shown]
.LBB178_34:
	v_cmp_gt_u32_e32 vcc, 19, v0
	s_and_b64 exec, exec, vcc
	s_cbranch_execz .LBB178_39
; %bb.35:
	v_mul_f64 v[9:10], v[15:16], -v[7:8]
	v_mul_f64 v[11:12], v[5:6], v[15:16]
	v_cmp_eq_f64_e32 vcc, 0, v[1:2]
	v_cmp_eq_f64_e64 s[0:1], 0, v[3:4]
	s_mul_i32 s2, s7, 0x130
	s_mul_hi_u32 s3, s6, 0x130
	s_mul_i32 s4, s6, 0x130
	v_fma_f64 v[5:6], v[5:6], v[13:14], v[9:10]
	v_fma_f64 v[7:8], v[7:8], v[13:14], v[11:12]
	s_and_b64 s[0:1], vcc, s[0:1]
	s_and_saveexec_b64 s[6:7], s[0:1]
	s_xor_b64 s[0:1], exec, s[6:7]
	s_cbranch_execz .LBB178_37
; %bb.36:
	s_add_i32 s5, s3, s2
	s_add_u32 s6, s12, s4
	s_addc_u32 s7, s13, s5
	global_store_dwordx4 v21, v[5:8], s[6:7]
                                        ; implicit-def: $vgpr21
                                        ; implicit-def: $vgpr1_vgpr2
                                        ; implicit-def: $vgpr5_vgpr6
.LBB178_37:
	s_andn2_saveexec_b64 s[0:1], s[0:1]
	s_cbranch_execz .LBB178_39
; %bb.38:
	s_add_i32 s3, s3, s2
	s_add_u32 s0, s12, s4
	s_addc_u32 s1, s13, s3
	global_load_dwordx4 v[9:12], v21, s[0:1]
	s_waitcnt vmcnt(0)
	v_fma_f64 v[5:6], v[1:2], v[9:10], v[5:6]
	v_fma_f64 v[7:8], v[3:4], v[9:10], v[7:8]
	v_fma_f64 v[3:4], -v[3:4], v[11:12], v[5:6]
	v_fma_f64 v[5:6], v[1:2], v[11:12], v[7:8]
	global_store_dwordx4 v21, v[3:6], s[0:1]
.LBB178_39:
	s_endpgm
	.section	.rodata,"a",@progbits
	.p2align	6, 0x0
	.amdhsa_kernel _ZN9rocsparseL20bsrxmvn_17_32_kernelILj19E21rocsparse_complex_numIdEllS2_S2_S2_EEvT2_20rocsparse_direction_NS_24const_host_device_scalarIT0_EES3_PKS3_PKT1_SC_S9_PKT3_PKT4_S7_PT5_21rocsparse_index_base_b
		.amdhsa_group_segment_fixed_size 5776
		.amdhsa_private_segment_fixed_size 0
		.amdhsa_kernarg_size 120
		.amdhsa_user_sgpr_count 6
		.amdhsa_user_sgpr_private_segment_buffer 1
		.amdhsa_user_sgpr_dispatch_ptr 0
		.amdhsa_user_sgpr_queue_ptr 0
		.amdhsa_user_sgpr_kernarg_segment_ptr 1
		.amdhsa_user_sgpr_dispatch_id 0
		.amdhsa_user_sgpr_flat_scratch_init 0
		.amdhsa_user_sgpr_private_segment_size 0
		.amdhsa_uses_dynamic_stack 0
		.amdhsa_system_sgpr_private_segment_wavefront_offset 0
		.amdhsa_system_sgpr_workgroup_id_x 1
		.amdhsa_system_sgpr_workgroup_id_y 0
		.amdhsa_system_sgpr_workgroup_id_z 0
		.amdhsa_system_sgpr_workgroup_info 0
		.amdhsa_system_vgpr_workitem_id 0
		.amdhsa_next_free_vgpr 32
		.amdhsa_next_free_sgpr 61
		.amdhsa_reserve_vcc 1
		.amdhsa_reserve_flat_scratch 0
		.amdhsa_float_round_mode_32 0
		.amdhsa_float_round_mode_16_64 0
		.amdhsa_float_denorm_mode_32 3
		.amdhsa_float_denorm_mode_16_64 3
		.amdhsa_dx10_clamp 1
		.amdhsa_ieee_mode 1
		.amdhsa_fp16_overflow 0
		.amdhsa_exception_fp_ieee_invalid_op 0
		.amdhsa_exception_fp_denorm_src 0
		.amdhsa_exception_fp_ieee_div_zero 0
		.amdhsa_exception_fp_ieee_overflow 0
		.amdhsa_exception_fp_ieee_underflow 0
		.amdhsa_exception_fp_ieee_inexact 0
		.amdhsa_exception_int_div_zero 0
	.end_amdhsa_kernel
	.section	.text._ZN9rocsparseL20bsrxmvn_17_32_kernelILj19E21rocsparse_complex_numIdEllS2_S2_S2_EEvT2_20rocsparse_direction_NS_24const_host_device_scalarIT0_EES3_PKS3_PKT1_SC_S9_PKT3_PKT4_S7_PT5_21rocsparse_index_base_b,"axG",@progbits,_ZN9rocsparseL20bsrxmvn_17_32_kernelILj19E21rocsparse_complex_numIdEllS2_S2_S2_EEvT2_20rocsparse_direction_NS_24const_host_device_scalarIT0_EES3_PKS3_PKT1_SC_S9_PKT3_PKT4_S7_PT5_21rocsparse_index_base_b,comdat
.Lfunc_end178:
	.size	_ZN9rocsparseL20bsrxmvn_17_32_kernelILj19E21rocsparse_complex_numIdEllS2_S2_S2_EEvT2_20rocsparse_direction_NS_24const_host_device_scalarIT0_EES3_PKS3_PKT1_SC_S9_PKT3_PKT4_S7_PT5_21rocsparse_index_base_b, .Lfunc_end178-_ZN9rocsparseL20bsrxmvn_17_32_kernelILj19E21rocsparse_complex_numIdEllS2_S2_S2_EEvT2_20rocsparse_direction_NS_24const_host_device_scalarIT0_EES3_PKS3_PKT1_SC_S9_PKT3_PKT4_S7_PT5_21rocsparse_index_base_b
                                        ; -- End function
	.set _ZN9rocsparseL20bsrxmvn_17_32_kernelILj19E21rocsparse_complex_numIdEllS2_S2_S2_EEvT2_20rocsparse_direction_NS_24const_host_device_scalarIT0_EES3_PKS3_PKT1_SC_S9_PKT3_PKT4_S7_PT5_21rocsparse_index_base_b.num_vgpr, 32
	.set _ZN9rocsparseL20bsrxmvn_17_32_kernelILj19E21rocsparse_complex_numIdEllS2_S2_S2_EEvT2_20rocsparse_direction_NS_24const_host_device_scalarIT0_EES3_PKS3_PKT1_SC_S9_PKT3_PKT4_S7_PT5_21rocsparse_index_base_b.num_agpr, 0
	.set _ZN9rocsparseL20bsrxmvn_17_32_kernelILj19E21rocsparse_complex_numIdEllS2_S2_S2_EEvT2_20rocsparse_direction_NS_24const_host_device_scalarIT0_EES3_PKS3_PKT1_SC_S9_PKT3_PKT4_S7_PT5_21rocsparse_index_base_b.numbered_sgpr, 22
	.set _ZN9rocsparseL20bsrxmvn_17_32_kernelILj19E21rocsparse_complex_numIdEllS2_S2_S2_EEvT2_20rocsparse_direction_NS_24const_host_device_scalarIT0_EES3_PKS3_PKT1_SC_S9_PKT3_PKT4_S7_PT5_21rocsparse_index_base_b.num_named_barrier, 0
	.set _ZN9rocsparseL20bsrxmvn_17_32_kernelILj19E21rocsparse_complex_numIdEllS2_S2_S2_EEvT2_20rocsparse_direction_NS_24const_host_device_scalarIT0_EES3_PKS3_PKT1_SC_S9_PKT3_PKT4_S7_PT5_21rocsparse_index_base_b.private_seg_size, 0
	.set _ZN9rocsparseL20bsrxmvn_17_32_kernelILj19E21rocsparse_complex_numIdEllS2_S2_S2_EEvT2_20rocsparse_direction_NS_24const_host_device_scalarIT0_EES3_PKS3_PKT1_SC_S9_PKT3_PKT4_S7_PT5_21rocsparse_index_base_b.uses_vcc, 1
	.set _ZN9rocsparseL20bsrxmvn_17_32_kernelILj19E21rocsparse_complex_numIdEllS2_S2_S2_EEvT2_20rocsparse_direction_NS_24const_host_device_scalarIT0_EES3_PKS3_PKT1_SC_S9_PKT3_PKT4_S7_PT5_21rocsparse_index_base_b.uses_flat_scratch, 0
	.set _ZN9rocsparseL20bsrxmvn_17_32_kernelILj19E21rocsparse_complex_numIdEllS2_S2_S2_EEvT2_20rocsparse_direction_NS_24const_host_device_scalarIT0_EES3_PKS3_PKT1_SC_S9_PKT3_PKT4_S7_PT5_21rocsparse_index_base_b.has_dyn_sized_stack, 0
	.set _ZN9rocsparseL20bsrxmvn_17_32_kernelILj19E21rocsparse_complex_numIdEllS2_S2_S2_EEvT2_20rocsparse_direction_NS_24const_host_device_scalarIT0_EES3_PKS3_PKT1_SC_S9_PKT3_PKT4_S7_PT5_21rocsparse_index_base_b.has_recursion, 0
	.set _ZN9rocsparseL20bsrxmvn_17_32_kernelILj19E21rocsparse_complex_numIdEllS2_S2_S2_EEvT2_20rocsparse_direction_NS_24const_host_device_scalarIT0_EES3_PKS3_PKT1_SC_S9_PKT3_PKT4_S7_PT5_21rocsparse_index_base_b.has_indirect_call, 0
	.section	.AMDGPU.csdata,"",@progbits
; Kernel info:
; codeLenInByte = 1716
; TotalNumSgprs: 26
; NumVgprs: 32
; ScratchSize: 0
; MemoryBound: 1
; FloatMode: 240
; IeeeMode: 1
; LDSByteSize: 5776 bytes/workgroup (compile time only)
; SGPRBlocks: 8
; VGPRBlocks: 7
; NumSGPRsForWavesPerEU: 65
; NumVGPRsForWavesPerEU: 32
; Occupancy: 8
; WaveLimiterHint : 1
; COMPUTE_PGM_RSRC2:SCRATCH_EN: 0
; COMPUTE_PGM_RSRC2:USER_SGPR: 6
; COMPUTE_PGM_RSRC2:TRAP_HANDLER: 0
; COMPUTE_PGM_RSRC2:TGID_X_EN: 1
; COMPUTE_PGM_RSRC2:TGID_Y_EN: 0
; COMPUTE_PGM_RSRC2:TGID_Z_EN: 0
; COMPUTE_PGM_RSRC2:TIDIG_COMP_CNT: 0
	.section	.text._ZN9rocsparseL20bsrxmvn_17_32_kernelILj20E21rocsparse_complex_numIdEllS2_S2_S2_EEvT2_20rocsparse_direction_NS_24const_host_device_scalarIT0_EES3_PKS3_PKT1_SC_S9_PKT3_PKT4_S7_PT5_21rocsparse_index_base_b,"axG",@progbits,_ZN9rocsparseL20bsrxmvn_17_32_kernelILj20E21rocsparse_complex_numIdEllS2_S2_S2_EEvT2_20rocsparse_direction_NS_24const_host_device_scalarIT0_EES3_PKS3_PKT1_SC_S9_PKT3_PKT4_S7_PT5_21rocsparse_index_base_b,comdat
	.globl	_ZN9rocsparseL20bsrxmvn_17_32_kernelILj20E21rocsparse_complex_numIdEllS2_S2_S2_EEvT2_20rocsparse_direction_NS_24const_host_device_scalarIT0_EES3_PKS3_PKT1_SC_S9_PKT3_PKT4_S7_PT5_21rocsparse_index_base_b ; -- Begin function _ZN9rocsparseL20bsrxmvn_17_32_kernelILj20E21rocsparse_complex_numIdEllS2_S2_S2_EEvT2_20rocsparse_direction_NS_24const_host_device_scalarIT0_EES3_PKS3_PKT1_SC_S9_PKT3_PKT4_S7_PT5_21rocsparse_index_base_b
	.p2align	8
	.type	_ZN9rocsparseL20bsrxmvn_17_32_kernelILj20E21rocsparse_complex_numIdEllS2_S2_S2_EEvT2_20rocsparse_direction_NS_24const_host_device_scalarIT0_EES3_PKS3_PKT1_SC_S9_PKT3_PKT4_S7_PT5_21rocsparse_index_base_b,@function
_ZN9rocsparseL20bsrxmvn_17_32_kernelILj20E21rocsparse_complex_numIdEllS2_S2_S2_EEvT2_20rocsparse_direction_NS_24const_host_device_scalarIT0_EES3_PKS3_PKT1_SC_S9_PKT3_PKT4_S7_PT5_21rocsparse_index_base_b: ; @_ZN9rocsparseL20bsrxmvn_17_32_kernelILj20E21rocsparse_complex_numIdEllS2_S2_S2_EEvT2_20rocsparse_direction_NS_24const_host_device_scalarIT0_EES3_PKS3_PKT1_SC_S9_PKT3_PKT4_S7_PT5_21rocsparse_index_base_b
; %bb.0:
	s_load_dwordx2 s[0:1], s[4:5], 0x10
	s_load_dwordx2 s[14:15], s[4:5], 0x70
	s_add_u32 s7, s4, 16
	s_addc_u32 s8, s5, 0
	s_add_u32 s9, s4, 0x58
	s_addc_u32 s10, s5, 0
	s_waitcnt lgkmcnt(0)
	s_bitcmp1_b32 s15, 0
	s_cselect_b32 s1, s8, s1
	s_cselect_b32 s0, s7, s0
	v_mov_b32_e32 v1, s0
	v_mov_b32_e32 v2, s1
	flat_load_dwordx4 v[5:8], v[1:2]
	s_load_dwordx2 s[2:3], s[4:5], 0x58
	s_waitcnt lgkmcnt(0)
	s_cselect_b32 s0, s10, s3
	s_cselect_b32 s1, s9, s2
	v_mov_b32_e32 v1, s1
	v_mov_b32_e32 v2, s0
	flat_load_dwordx4 v[1:4], v[1:2]
	s_waitcnt vmcnt(0)
	v_cmp_eq_f64_e32 vcc, 0, v[5:6]
	v_cmp_eq_f64_e64 s[0:1], 0, v[7:8]
	s_and_b64 s[8:9], vcc, s[0:1]
	s_mov_b64 s[0:1], -1
	s_and_saveexec_b64 s[2:3], s[8:9]
	s_cbranch_execz .LBB179_2
; %bb.1:
	s_waitcnt lgkmcnt(0)
	v_cmp_neq_f64_e32 vcc, 1.0, v[1:2]
	v_cmp_neq_f64_e64 s[0:1], 0, v[3:4]
	s_or_b64 s[0:1], vcc, s[0:1]
	s_orn2_b64 s[0:1], s[0:1], exec
.LBB179_2:
	s_or_b64 exec, exec, s[2:3]
	s_and_saveexec_b64 s[2:3], s[0:1]
	s_cbranch_execz .LBB179_39
; %bb.3:
	s_load_dwordx4 s[0:3], s[4:5], 0x28
	s_load_dwordx2 s[8:9], s[4:5], 0x38
	s_mov_b32 s7, 0
	s_waitcnt lgkmcnt(0)
	s_cmp_eq_u64 s[0:1], 0
	s_cbranch_scc1 .LBB179_5
; %bb.4:
	s_lshl_b64 s[6:7], s[6:7], 3
	s_add_u32 s0, s0, s6
	s_addc_u32 s1, s1, s7
	s_load_dwordx2 s[0:1], s[0:1], 0x0
	s_waitcnt lgkmcnt(0)
	s_sub_u32 s6, s0, s14
	s_subb_u32 s7, s1, 0
.LBB179_5:
	s_load_dword s10, s[4:5], 0x8
	s_load_dwordx2 s[12:13], s[4:5], 0x68
	v_mul_u32_u24_e32 v13, 0xccd, v0
	v_mov_b32_e32 v14, 20
	v_mul_lo_u16_sdwa v9, v13, v14 dst_sel:DWORD dst_unused:UNUSED_PAD src0_sel:WORD_1 src1_sel:DWORD
	s_waitcnt lgkmcnt(0)
	s_cmp_eq_u32 s10, 1
	s_cselect_b64 s[0:1], -1, 0
	s_cmp_lg_u32 s10, 1
	s_cselect_b64 s[16:17], -1, 0
	s_lshl_b64 s[10:11], s[6:7], 3
	s_add_u32 s20, s2, s10
	s_addc_u32 s21, s3, s11
	s_add_u32 s2, s20, 8
	s_addc_u32 s3, s21, 0
	;; [unrolled: 2-line block ×3, first 2 shown]
	s_cmp_eq_u64 s[8:9], 0
	s_cselect_b32 s9, s3, s11
	s_cselect_b32 s8, s2, s10
	s_load_dwordx2 s[2:3], s[8:9], 0x0
	s_load_dwordx2 s[18:19], s[20:21], 0x0
	v_sub_u16_e32 v22, v0, v9
	v_mov_b32_e32 v11, 0
	v_mov_b32_e32 v12, 0
	s_waitcnt lgkmcnt(0)
	v_mov_b32_e32 v10, s3
	v_mov_b32_e32 v9, s2
	v_cmp_ge_i64_e32 vcc, s[18:19], v[9:10]
	v_mov_b32_e32 v9, 0
	v_lshlrev_b32_e32 v21, 4, v0
	v_mov_b32_e32 v10, 0
	s_cbranch_vccnz .LBB179_10
; %bb.6:
	v_mov_b32_e32 v9, 13
	v_mul_lo_u16_sdwa v9, v13, v9 dst_sel:DWORD dst_unused:UNUSED_PAD src0_sel:WORD_1 src1_sel:DWORD
	s_sub_u32 s2, s2, s14
	s_load_dwordx2 s[20:21], s[4:5], 0x50
	s_load_dwordx4 s[8:11], s[4:5], 0x40
	v_mul_lo_u16_sdwa v9, v9, v14 dst_sel:DWORD dst_unused:UNUSED_PAD src0_sel:BYTE_1 src1_sel:DWORD
	s_subb_u32 s3, s3, 0
	v_sub_u16_sdwa v9, v13, v9 dst_sel:DWORD dst_unused:UNUSED_PAD src0_sel:WORD_1 src1_sel:DWORD
	s_sub_u32 s4, s18, s14
	v_and_b32_e32 v9, 0xff, v9
	s_subb_u32 s5, s19, 0
	v_cndmask_b32_e64 v9, v22, v9, s[0:1]
	s_mul_i32 s0, s5, 0x1900
	s_mul_hi_u32 s1, s4, 0x1900
	v_lshlrev_b32_e32 v9, 4, v9
	s_add_i32 s1, s1, s0
	s_mul_i32 s0, s4, 0x1900
	s_waitcnt lgkmcnt(0)
	v_mov_b32_e32 v10, s21
	v_add_co_u32_e32 v13, vcc, s20, v9
	s_add_u32 s0, s10, s0
	v_addc_co_u32_e32 v14, vcc, 0, v10, vcc
	s_addc_u32 s1, s11, s1
	v_mov_b32_e32 v9, s1
	v_add_co_u32_e32 v15, vcc, s0, v21
	s_movk_i32 s0, 0xa4
	v_addc_co_u32_e32 v16, vcc, 0, v9, vcc
	v_mul_u32_u24_sdwa v9, v0, s0 dst_sel:DWORD dst_unused:UNUSED_PAD src0_sel:WORD_0 src1_sel:DWORD
	v_lshrrev_b32_e32 v23, 16, v9
	v_mov_b32_e32 v9, s19
	v_add_co_u32_e32 v10, vcc, s18, v23
	v_addc_co_u32_e32 v11, vcc, 0, v9, vcc
	v_subrev_co_u32_e32 v9, vcc, s14, v10
	v_subbrev_co_u32_e32 v10, vcc, 0, v11, vcc
	v_lshlrev_b64 v[9:10], 3, v[9:10]
	v_mov_b32_e32 v11, s9
	v_add_co_u32_e32 v17, vcc, s8, v9
	v_addc_co_u32_e32 v18, vcc, v11, v10, vcc
	v_mov_b32_e32 v11, 0
	v_mov_b32_e32 v12, 0
	;; [unrolled: 1-line block ×4, first 2 shown]
	s_movk_i32 s8, 0x140
	v_mov_b32_e32 v19, s2
	v_mov_b32_e32 v10, v12
	s_branch .LBB179_8
.LBB179_7:                              ;   in Loop: Header=BB179_8 Depth=1
	s_or_b64 exec, exec, s[0:1]
	s_add_u32 s4, s4, 1
	s_addc_u32 s5, s5, 0
	v_cmp_lt_i64_e32 vcc, s[4:5], v[19:20]
	v_add_co_u32_e64 v17, s[0:1], 8, v17
	v_addc_co_u32_e64 v18, s[0:1], 0, v18, s[0:1]
	s_cbranch_vccz .LBB179_10
.LBB179_8:                              ; =>This Inner Loop Header: Depth=1
	v_mov_b32_e32 v25, s5
	v_add_co_u32_e32 v24, vcc, s4, v23
	v_addc_co_u32_e32 v25, vcc, 0, v25, vcc
	v_cmp_gt_i64_e32 vcc, s[2:3], v[24:25]
	s_and_saveexec_b64 s[0:1], vcc
	s_cbranch_execz .LBB179_7
; %bb.9:                                ;   in Loop: Header=BB179_8 Depth=1
	global_load_dwordx2 v[24:25], v[17:18], off
	s_waitcnt vmcnt(0)
	v_subrev_co_u32_e32 v24, vcc, s14, v24
	v_mad_u64_u32 v[28:29], s[10:11], v24, s8, v[13:14]
	v_subbrev_co_u32_e32 v25, vcc, 0, v25, vcc
	v_mov_b32_e32 v24, v29
	v_mad_u64_u32 v[29:30], s[10:11], v25, s8, v[24:25]
	global_load_dwordx4 v[24:27], v[15:16], off
	s_nop 0
	global_load_dwordx4 v[28:31], v[28:29], off
	v_add_co_u32_e32 v15, vcc, 0x1900, v15
	v_addc_co_u32_e32 v16, vcc, 0, v16, vcc
	s_waitcnt vmcnt(0)
	v_fma_f64 v[9:10], v[24:25], v[28:29], v[9:10]
	v_fma_f64 v[11:12], v[26:27], v[28:29], v[11:12]
	v_fma_f64 v[9:10], -v[26:27], v[30:31], v[9:10]
	v_fma_f64 v[11:12], v[24:25], v[30:31], v[11:12]
	s_branch .LBB179_7
.LBB179_10:
	s_and_b64 vcc, exec, s[16:17]
	ds_write_b128 v21, v[9:12]
	s_waitcnt lgkmcnt(0)
	s_barrier
	s_cbranch_vccz .LBB179_22
; %bb.11:
	v_cmp_gt_u16_e32 vcc, 4, v22
	s_and_saveexec_b64 s[0:1], vcc
	s_cbranch_execz .LBB179_13
; %bb.12:
	ds_read_b128 v[13:16], v21 offset:256
	ds_read_b128 v[17:20], v21
	s_waitcnt lgkmcnt(0)
	v_add_f64 v[13:14], v[13:14], v[17:18]
	v_add_f64 v[15:16], v[15:16], v[19:20]
	ds_write_b128 v21, v[13:16]
.LBB179_13:
	s_or_b64 exec, exec, s[0:1]
	v_cmp_gt_u16_e64 s[0:1], 8, v22
	s_waitcnt lgkmcnt(0)
	s_barrier
	s_and_saveexec_b64 s[2:3], s[0:1]
	s_cbranch_execz .LBB179_15
; %bb.14:
	ds_read_b128 v[13:16], v21 offset:128
	ds_read_b128 v[17:20], v21
	s_waitcnt lgkmcnt(0)
	v_add_f64 v[13:14], v[13:14], v[17:18]
	v_add_f64 v[15:16], v[15:16], v[19:20]
	ds_write_b128 v21, v[13:16]
.LBB179_15:
	s_or_b64 exec, exec, s[2:3]
	s_waitcnt lgkmcnt(0)
	s_barrier
	s_and_saveexec_b64 s[0:1], vcc
	s_cbranch_execz .LBB179_17
; %bb.16:
	ds_read_b128 v[13:16], v21 offset:64
	ds_read_b128 v[17:20], v21
	s_waitcnt lgkmcnt(0)
	v_add_f64 v[13:14], v[13:14], v[17:18]
	v_add_f64 v[15:16], v[15:16], v[19:20]
	ds_write_b128 v21, v[13:16]
.LBB179_17:
	s_or_b64 exec, exec, s[0:1]
	v_cmp_gt_u16_e32 vcc, 2, v22
	s_waitcnt lgkmcnt(0)
	s_barrier
	s_and_saveexec_b64 s[0:1], vcc
	s_cbranch_execz .LBB179_19
; %bb.18:
	ds_read_b128 v[13:16], v21
	ds_read_b128 v[17:20], v21 offset:32
	s_waitcnt lgkmcnt(0)
	v_add_f64 v[13:14], v[17:18], v[13:14]
	v_add_f64 v[15:16], v[19:20], v[15:16]
	ds_write_b128 v21, v[13:16]
.LBB179_19:
	s_or_b64 exec, exec, s[0:1]
	v_mov_b32_e32 v16, v12
	v_mov_b32_e32 v14, v10
	v_cmp_gt_u32_e32 vcc, 20, v0
	v_mov_b32_e32 v15, v11
	v_mov_b32_e32 v13, v9
	s_waitcnt lgkmcnt(0)
	s_barrier
	s_and_saveexec_b64 s[0:1], vcc
	s_cbranch_execz .LBB179_21
; %bb.20:
	s_movk_i32 s2, 0x130
	v_mad_u32_u24 v17, v0, s2, v21
	ds_read_b128 v[13:16], v17
	ds_read_b128 v[17:20], v17 offset:16
	s_waitcnt lgkmcnt(0)
	v_add_f64 v[13:14], v[17:18], v[13:14]
	v_add_f64 v[15:16], v[19:20], v[15:16]
.LBB179_21:
	s_or_b64 exec, exec, s[0:1]
	s_branch .LBB179_34
.LBB179_22:
                                        ; implicit-def: $vgpr15_vgpr16
                                        ; implicit-def: $vgpr13_vgpr14
	s_cbranch_execz .LBB179_34
; %bb.23:
	s_movk_i32 s0, 0x50
	v_cmp_gt_u32_e32 vcc, s0, v0
	s_and_saveexec_b64 s[0:1], vcc
	s_cbranch_execz .LBB179_25
; %bb.24:
	ds_read_b128 v[13:16], v21 offset:5120
	ds_read_b128 v[17:20], v21
	s_waitcnt lgkmcnt(0)
	v_add_f64 v[13:14], v[13:14], v[17:18]
	v_add_f64 v[15:16], v[15:16], v[19:20]
	ds_write_b128 v21, v[13:16]
.LBB179_25:
	s_or_b64 exec, exec, s[0:1]
	s_movk_i32 s0, 0xa0
	v_cmp_gt_u32_e64 s[0:1], s0, v0
	s_waitcnt lgkmcnt(0)
	s_barrier
	s_and_saveexec_b64 s[2:3], s[0:1]
	s_cbranch_execz .LBB179_27
; %bb.26:
	ds_read_b128 v[13:16], v21 offset:2560
	ds_read_b128 v[17:20], v21
	s_waitcnt lgkmcnt(0)
	v_add_f64 v[13:14], v[13:14], v[17:18]
	v_add_f64 v[15:16], v[15:16], v[19:20]
	ds_write_b128 v21, v[13:16]
.LBB179_27:
	s_or_b64 exec, exec, s[2:3]
	s_waitcnt lgkmcnt(0)
	s_barrier
	s_and_saveexec_b64 s[0:1], vcc
	s_cbranch_execz .LBB179_29
; %bb.28:
	ds_read_b128 v[13:16], v21 offset:1280
	ds_read_b128 v[17:20], v21
	s_waitcnt lgkmcnt(0)
	v_add_f64 v[13:14], v[13:14], v[17:18]
	v_add_f64 v[15:16], v[15:16], v[19:20]
	ds_write_b128 v21, v[13:16]
.LBB179_29:
	s_or_b64 exec, exec, s[0:1]
	v_cmp_gt_u32_e32 vcc, 40, v0
	s_waitcnt lgkmcnt(0)
	s_barrier
	s_and_saveexec_b64 s[0:1], vcc
	s_cbranch_execz .LBB179_31
; %bb.30:
	ds_read_b128 v[13:16], v21 offset:640
	ds_read_b128 v[17:20], v21
	s_waitcnt lgkmcnt(0)
	v_add_f64 v[13:14], v[13:14], v[17:18]
	v_add_f64 v[15:16], v[15:16], v[19:20]
	ds_write_b128 v21, v[13:16]
.LBB179_31:
	s_or_b64 exec, exec, s[0:1]
	v_cmp_gt_u32_e32 vcc, 20, v0
	s_waitcnt lgkmcnt(0)
	s_and_saveexec_b64 s[0:1], vcc
	s_cbranch_execz .LBB179_33
; %bb.32:
	ds_read_b128 v[9:12], v21 offset:320
	ds_read_b128 v[13:16], v21
	s_waitcnt lgkmcnt(0)
	v_add_f64 v[9:10], v[9:10], v[13:14]
	v_add_f64 v[11:12], v[11:12], v[15:16]
.LBB179_33:
	s_or_b64 exec, exec, s[0:1]
	v_mov_b32_e32 v16, v12
	v_mov_b32_e32 v14, v10
	;; [unrolled: 1-line block ×4, first 2 shown]
.LBB179_34:
	v_cmp_gt_u32_e32 vcc, 20, v0
	s_and_b64 exec, exec, vcc
	s_cbranch_execz .LBB179_39
; %bb.35:
	v_mul_f64 v[9:10], v[15:16], -v[7:8]
	v_mul_f64 v[11:12], v[5:6], v[15:16]
	v_cmp_eq_f64_e32 vcc, 0, v[1:2]
	v_cmp_eq_f64_e64 s[0:1], 0, v[3:4]
	s_mul_i32 s2, s7, 0x140
	s_mul_hi_u32 s3, s6, 0x140
	s_mul_i32 s4, s6, 0x140
	v_fma_f64 v[5:6], v[5:6], v[13:14], v[9:10]
	v_fma_f64 v[7:8], v[7:8], v[13:14], v[11:12]
	s_and_b64 s[0:1], vcc, s[0:1]
	s_and_saveexec_b64 s[6:7], s[0:1]
	s_xor_b64 s[0:1], exec, s[6:7]
	s_cbranch_execz .LBB179_37
; %bb.36:
	s_add_i32 s5, s3, s2
	s_add_u32 s6, s12, s4
	s_addc_u32 s7, s13, s5
	global_store_dwordx4 v21, v[5:8], s[6:7]
                                        ; implicit-def: $vgpr21
                                        ; implicit-def: $vgpr1_vgpr2
                                        ; implicit-def: $vgpr5_vgpr6
.LBB179_37:
	s_andn2_saveexec_b64 s[0:1], s[0:1]
	s_cbranch_execz .LBB179_39
; %bb.38:
	s_add_i32 s3, s3, s2
	s_add_u32 s0, s12, s4
	s_addc_u32 s1, s13, s3
	global_load_dwordx4 v[9:12], v21, s[0:1]
	s_waitcnt vmcnt(0)
	v_fma_f64 v[5:6], v[1:2], v[9:10], v[5:6]
	v_fma_f64 v[7:8], v[3:4], v[9:10], v[7:8]
	v_fma_f64 v[3:4], -v[3:4], v[11:12], v[5:6]
	v_fma_f64 v[5:6], v[1:2], v[11:12], v[7:8]
	global_store_dwordx4 v21, v[3:6], s[0:1]
.LBB179_39:
	s_endpgm
	.section	.rodata,"a",@progbits
	.p2align	6, 0x0
	.amdhsa_kernel _ZN9rocsparseL20bsrxmvn_17_32_kernelILj20E21rocsparse_complex_numIdEllS2_S2_S2_EEvT2_20rocsparse_direction_NS_24const_host_device_scalarIT0_EES3_PKS3_PKT1_SC_S9_PKT3_PKT4_S7_PT5_21rocsparse_index_base_b
		.amdhsa_group_segment_fixed_size 6400
		.amdhsa_private_segment_fixed_size 0
		.amdhsa_kernarg_size 120
		.amdhsa_user_sgpr_count 6
		.amdhsa_user_sgpr_private_segment_buffer 1
		.amdhsa_user_sgpr_dispatch_ptr 0
		.amdhsa_user_sgpr_queue_ptr 0
		.amdhsa_user_sgpr_kernarg_segment_ptr 1
		.amdhsa_user_sgpr_dispatch_id 0
		.amdhsa_user_sgpr_flat_scratch_init 0
		.amdhsa_user_sgpr_private_segment_size 0
		.amdhsa_uses_dynamic_stack 0
		.amdhsa_system_sgpr_private_segment_wavefront_offset 0
		.amdhsa_system_sgpr_workgroup_id_x 1
		.amdhsa_system_sgpr_workgroup_id_y 0
		.amdhsa_system_sgpr_workgroup_id_z 0
		.amdhsa_system_sgpr_workgroup_info 0
		.amdhsa_system_vgpr_workitem_id 0
		.amdhsa_next_free_vgpr 32
		.amdhsa_next_free_sgpr 61
		.amdhsa_reserve_vcc 1
		.amdhsa_reserve_flat_scratch 0
		.amdhsa_float_round_mode_32 0
		.amdhsa_float_round_mode_16_64 0
		.amdhsa_float_denorm_mode_32 3
		.amdhsa_float_denorm_mode_16_64 3
		.amdhsa_dx10_clamp 1
		.amdhsa_ieee_mode 1
		.amdhsa_fp16_overflow 0
		.amdhsa_exception_fp_ieee_invalid_op 0
		.amdhsa_exception_fp_denorm_src 0
		.amdhsa_exception_fp_ieee_div_zero 0
		.amdhsa_exception_fp_ieee_overflow 0
		.amdhsa_exception_fp_ieee_underflow 0
		.amdhsa_exception_fp_ieee_inexact 0
		.amdhsa_exception_int_div_zero 0
	.end_amdhsa_kernel
	.section	.text._ZN9rocsparseL20bsrxmvn_17_32_kernelILj20E21rocsparse_complex_numIdEllS2_S2_S2_EEvT2_20rocsparse_direction_NS_24const_host_device_scalarIT0_EES3_PKS3_PKT1_SC_S9_PKT3_PKT4_S7_PT5_21rocsparse_index_base_b,"axG",@progbits,_ZN9rocsparseL20bsrxmvn_17_32_kernelILj20E21rocsparse_complex_numIdEllS2_S2_S2_EEvT2_20rocsparse_direction_NS_24const_host_device_scalarIT0_EES3_PKS3_PKT1_SC_S9_PKT3_PKT4_S7_PT5_21rocsparse_index_base_b,comdat
.Lfunc_end179:
	.size	_ZN9rocsparseL20bsrxmvn_17_32_kernelILj20E21rocsparse_complex_numIdEllS2_S2_S2_EEvT2_20rocsparse_direction_NS_24const_host_device_scalarIT0_EES3_PKS3_PKT1_SC_S9_PKT3_PKT4_S7_PT5_21rocsparse_index_base_b, .Lfunc_end179-_ZN9rocsparseL20bsrxmvn_17_32_kernelILj20E21rocsparse_complex_numIdEllS2_S2_S2_EEvT2_20rocsparse_direction_NS_24const_host_device_scalarIT0_EES3_PKS3_PKT1_SC_S9_PKT3_PKT4_S7_PT5_21rocsparse_index_base_b
                                        ; -- End function
	.set _ZN9rocsparseL20bsrxmvn_17_32_kernelILj20E21rocsparse_complex_numIdEllS2_S2_S2_EEvT2_20rocsparse_direction_NS_24const_host_device_scalarIT0_EES3_PKS3_PKT1_SC_S9_PKT3_PKT4_S7_PT5_21rocsparse_index_base_b.num_vgpr, 32
	.set _ZN9rocsparseL20bsrxmvn_17_32_kernelILj20E21rocsparse_complex_numIdEllS2_S2_S2_EEvT2_20rocsparse_direction_NS_24const_host_device_scalarIT0_EES3_PKS3_PKT1_SC_S9_PKT3_PKT4_S7_PT5_21rocsparse_index_base_b.num_agpr, 0
	.set _ZN9rocsparseL20bsrxmvn_17_32_kernelILj20E21rocsparse_complex_numIdEllS2_S2_S2_EEvT2_20rocsparse_direction_NS_24const_host_device_scalarIT0_EES3_PKS3_PKT1_SC_S9_PKT3_PKT4_S7_PT5_21rocsparse_index_base_b.numbered_sgpr, 22
	.set _ZN9rocsparseL20bsrxmvn_17_32_kernelILj20E21rocsparse_complex_numIdEllS2_S2_S2_EEvT2_20rocsparse_direction_NS_24const_host_device_scalarIT0_EES3_PKS3_PKT1_SC_S9_PKT3_PKT4_S7_PT5_21rocsparse_index_base_b.num_named_barrier, 0
	.set _ZN9rocsparseL20bsrxmvn_17_32_kernelILj20E21rocsparse_complex_numIdEllS2_S2_S2_EEvT2_20rocsparse_direction_NS_24const_host_device_scalarIT0_EES3_PKS3_PKT1_SC_S9_PKT3_PKT4_S7_PT5_21rocsparse_index_base_b.private_seg_size, 0
	.set _ZN9rocsparseL20bsrxmvn_17_32_kernelILj20E21rocsparse_complex_numIdEllS2_S2_S2_EEvT2_20rocsparse_direction_NS_24const_host_device_scalarIT0_EES3_PKS3_PKT1_SC_S9_PKT3_PKT4_S7_PT5_21rocsparse_index_base_b.uses_vcc, 1
	.set _ZN9rocsparseL20bsrxmvn_17_32_kernelILj20E21rocsparse_complex_numIdEllS2_S2_S2_EEvT2_20rocsparse_direction_NS_24const_host_device_scalarIT0_EES3_PKS3_PKT1_SC_S9_PKT3_PKT4_S7_PT5_21rocsparse_index_base_b.uses_flat_scratch, 0
	.set _ZN9rocsparseL20bsrxmvn_17_32_kernelILj20E21rocsparse_complex_numIdEllS2_S2_S2_EEvT2_20rocsparse_direction_NS_24const_host_device_scalarIT0_EES3_PKS3_PKT1_SC_S9_PKT3_PKT4_S7_PT5_21rocsparse_index_base_b.has_dyn_sized_stack, 0
	.set _ZN9rocsparseL20bsrxmvn_17_32_kernelILj20E21rocsparse_complex_numIdEllS2_S2_S2_EEvT2_20rocsparse_direction_NS_24const_host_device_scalarIT0_EES3_PKS3_PKT1_SC_S9_PKT3_PKT4_S7_PT5_21rocsparse_index_base_b.has_recursion, 0
	.set _ZN9rocsparseL20bsrxmvn_17_32_kernelILj20E21rocsparse_complex_numIdEllS2_S2_S2_EEvT2_20rocsparse_direction_NS_24const_host_device_scalarIT0_EES3_PKS3_PKT1_SC_S9_PKT3_PKT4_S7_PT5_21rocsparse_index_base_b.has_indirect_call, 0
	.section	.AMDGPU.csdata,"",@progbits
; Kernel info:
; codeLenInByte = 1716
; TotalNumSgprs: 26
; NumVgprs: 32
; ScratchSize: 0
; MemoryBound: 1
; FloatMode: 240
; IeeeMode: 1
; LDSByteSize: 6400 bytes/workgroup (compile time only)
; SGPRBlocks: 8
; VGPRBlocks: 7
; NumSGPRsForWavesPerEU: 65
; NumVGPRsForWavesPerEU: 32
; Occupancy: 8
; WaveLimiterHint : 1
; COMPUTE_PGM_RSRC2:SCRATCH_EN: 0
; COMPUTE_PGM_RSRC2:USER_SGPR: 6
; COMPUTE_PGM_RSRC2:TRAP_HANDLER: 0
; COMPUTE_PGM_RSRC2:TGID_X_EN: 1
; COMPUTE_PGM_RSRC2:TGID_Y_EN: 0
; COMPUTE_PGM_RSRC2:TGID_Z_EN: 0
; COMPUTE_PGM_RSRC2:TIDIG_COMP_CNT: 0
	.section	.text._ZN9rocsparseL20bsrxmvn_17_32_kernelILj21E21rocsparse_complex_numIdEllS2_S2_S2_EEvT2_20rocsparse_direction_NS_24const_host_device_scalarIT0_EES3_PKS3_PKT1_SC_S9_PKT3_PKT4_S7_PT5_21rocsparse_index_base_b,"axG",@progbits,_ZN9rocsparseL20bsrxmvn_17_32_kernelILj21E21rocsparse_complex_numIdEllS2_S2_S2_EEvT2_20rocsparse_direction_NS_24const_host_device_scalarIT0_EES3_PKS3_PKT1_SC_S9_PKT3_PKT4_S7_PT5_21rocsparse_index_base_b,comdat
	.globl	_ZN9rocsparseL20bsrxmvn_17_32_kernelILj21E21rocsparse_complex_numIdEllS2_S2_S2_EEvT2_20rocsparse_direction_NS_24const_host_device_scalarIT0_EES3_PKS3_PKT1_SC_S9_PKT3_PKT4_S7_PT5_21rocsparse_index_base_b ; -- Begin function _ZN9rocsparseL20bsrxmvn_17_32_kernelILj21E21rocsparse_complex_numIdEllS2_S2_S2_EEvT2_20rocsparse_direction_NS_24const_host_device_scalarIT0_EES3_PKS3_PKT1_SC_S9_PKT3_PKT4_S7_PT5_21rocsparse_index_base_b
	.p2align	8
	.type	_ZN9rocsparseL20bsrxmvn_17_32_kernelILj21E21rocsparse_complex_numIdEllS2_S2_S2_EEvT2_20rocsparse_direction_NS_24const_host_device_scalarIT0_EES3_PKS3_PKT1_SC_S9_PKT3_PKT4_S7_PT5_21rocsparse_index_base_b,@function
_ZN9rocsparseL20bsrxmvn_17_32_kernelILj21E21rocsparse_complex_numIdEllS2_S2_S2_EEvT2_20rocsparse_direction_NS_24const_host_device_scalarIT0_EES3_PKS3_PKT1_SC_S9_PKT3_PKT4_S7_PT5_21rocsparse_index_base_b: ; @_ZN9rocsparseL20bsrxmvn_17_32_kernelILj21E21rocsparse_complex_numIdEllS2_S2_S2_EEvT2_20rocsparse_direction_NS_24const_host_device_scalarIT0_EES3_PKS3_PKT1_SC_S9_PKT3_PKT4_S7_PT5_21rocsparse_index_base_b
; %bb.0:
	s_load_dwordx2 s[0:1], s[4:5], 0x10
	s_load_dwordx2 s[14:15], s[4:5], 0x70
	s_add_u32 s7, s4, 16
	s_addc_u32 s8, s5, 0
	s_add_u32 s9, s4, 0x58
	s_addc_u32 s10, s5, 0
	s_waitcnt lgkmcnt(0)
	s_bitcmp1_b32 s15, 0
	s_cselect_b32 s1, s8, s1
	s_cselect_b32 s0, s7, s0
	v_mov_b32_e32 v1, s0
	v_mov_b32_e32 v2, s1
	flat_load_dwordx4 v[5:8], v[1:2]
	s_load_dwordx2 s[2:3], s[4:5], 0x58
	s_waitcnt lgkmcnt(0)
	s_cselect_b32 s0, s10, s3
	s_cselect_b32 s1, s9, s2
	v_mov_b32_e32 v1, s1
	v_mov_b32_e32 v2, s0
	flat_load_dwordx4 v[1:4], v[1:2]
	s_waitcnt vmcnt(0)
	v_cmp_eq_f64_e32 vcc, 0, v[5:6]
	v_cmp_eq_f64_e64 s[0:1], 0, v[7:8]
	s_and_b64 s[8:9], vcc, s[0:1]
	s_mov_b64 s[0:1], -1
	s_and_saveexec_b64 s[2:3], s[8:9]
	s_cbranch_execz .LBB180_2
; %bb.1:
	s_waitcnt lgkmcnt(0)
	v_cmp_neq_f64_e32 vcc, 1.0, v[1:2]
	v_cmp_neq_f64_e64 s[0:1], 0, v[3:4]
	s_or_b64 s[0:1], vcc, s[0:1]
	s_orn2_b64 s[0:1], s[0:1], exec
.LBB180_2:
	s_or_b64 exec, exec, s[2:3]
	s_and_saveexec_b64 s[2:3], s[0:1]
	s_cbranch_execz .LBB180_39
; %bb.3:
	s_load_dwordx4 s[0:3], s[4:5], 0x28
	s_load_dwordx2 s[8:9], s[4:5], 0x38
	s_mov_b32 s7, 0
	s_waitcnt lgkmcnt(0)
	s_cmp_eq_u64 s[0:1], 0
	s_cbranch_scc1 .LBB180_5
; %bb.4:
	s_lshl_b64 s[6:7], s[6:7], 3
	s_add_u32 s0, s0, s6
	s_addc_u32 s1, s1, s7
	s_load_dwordx2 s[0:1], s[0:1], 0x0
	s_waitcnt lgkmcnt(0)
	s_sub_u32 s6, s0, s14
	s_subb_u32 s7, s1, 0
.LBB180_5:
	s_load_dword s10, s[4:5], 0x8
	s_load_dwordx2 s[12:13], s[4:5], 0x68
	v_mul_u32_u24_e32 v13, 0xc31, v0
	v_mov_b32_e32 v9, 21
	v_mul_lo_u16_sdwa v9, v13, v9 dst_sel:DWORD dst_unused:UNUSED_PAD src0_sel:WORD_1 src1_sel:DWORD
	s_waitcnt lgkmcnt(0)
	s_cmp_eq_u32 s10, 1
	s_cselect_b64 s[0:1], -1, 0
	s_cmp_lg_u32 s10, 1
	s_cselect_b64 s[16:17], -1, 0
	s_lshl_b64 s[10:11], s[6:7], 3
	s_add_u32 s20, s2, s10
	s_addc_u32 s21, s3, s11
	s_add_u32 s2, s20, 8
	s_addc_u32 s3, s21, 0
	;; [unrolled: 2-line block ×3, first 2 shown]
	s_cmp_eq_u64 s[8:9], 0
	s_cselect_b32 s9, s3, s11
	s_cselect_b32 s8, s2, s10
	s_load_dwordx2 s[2:3], s[8:9], 0x0
	s_load_dwordx2 s[18:19], s[20:21], 0x0
	v_sub_u16_e32 v22, v0, v9
	v_mov_b32_e32 v11, 0
	v_mov_b32_e32 v12, 0
	s_waitcnt lgkmcnt(0)
	v_mov_b32_e32 v10, s3
	v_mov_b32_e32 v9, s2
	v_cmp_ge_i64_e32 vcc, s[18:19], v[9:10]
	v_mov_b32_e32 v9, 0
	v_lshlrev_b32_e32 v21, 4, v0
	v_mov_b32_e32 v10, 0
	s_cbranch_vccnz .LBB180_10
; %bb.6:
	v_mov_b32_e32 v9, 25
	v_mul_lo_u16_sdwa v9, v13, v9 dst_sel:DWORD dst_unused:UNUSED_PAD src0_sel:WORD_1 src1_sel:DWORD
	v_lshrrev_b16_e32 v9, 9, v9
	s_sub_u32 s2, s2, s14
	s_load_dwordx2 s[20:21], s[4:5], 0x50
	s_load_dwordx4 s[8:11], s[4:5], 0x40
	v_mul_lo_u16_e32 v9, 21, v9
	s_subb_u32 s3, s3, 0
	v_sub_u16_sdwa v9, v13, v9 dst_sel:DWORD dst_unused:UNUSED_PAD src0_sel:WORD_1 src1_sel:DWORD
	s_sub_u32 s4, s18, s14
	v_and_b32_e32 v9, 0xff, v9
	s_subb_u32 s5, s19, 0
	v_cndmask_b32_e64 v9, v22, v9, s[0:1]
	s_mul_i32 s0, s5, 0x1b90
	s_mul_hi_u32 s1, s4, 0x1b90
	v_lshlrev_b32_e32 v9, 4, v9
	s_add_i32 s1, s1, s0
	s_mul_i32 s0, s4, 0x1b90
	s_waitcnt lgkmcnt(0)
	v_mov_b32_e32 v10, s21
	v_add_co_u32_e32 v13, vcc, s20, v9
	s_add_u32 s0, s10, s0
	v_addc_co_u32_e32 v14, vcc, 0, v10, vcc
	s_addc_u32 s1, s11, s1
	v_mov_b32_e32 v9, s1
	v_add_co_u32_e32 v15, vcc, s0, v21
	s_movk_i32 s0, 0x253
	v_addc_co_u32_e32 v16, vcc, 0, v9, vcc
	v_mul_u32_u24_sdwa v9, v0, s0 dst_sel:DWORD dst_unused:UNUSED_PAD src0_sel:WORD_0 src1_sel:DWORD
	v_lshrrev_b32_e32 v23, 18, v9
	v_mov_b32_e32 v9, s19
	v_add_co_u32_e32 v10, vcc, s18, v23
	v_addc_co_u32_e32 v11, vcc, 0, v9, vcc
	v_subrev_co_u32_e32 v9, vcc, s14, v10
	v_subbrev_co_u32_e32 v10, vcc, 0, v11, vcc
	v_lshlrev_b64 v[9:10], 3, v[9:10]
	v_mov_b32_e32 v11, s9
	v_add_co_u32_e32 v17, vcc, s8, v9
	v_addc_co_u32_e32 v18, vcc, v11, v10, vcc
	v_mov_b32_e32 v11, 0
	v_mov_b32_e32 v12, 0
	;; [unrolled: 1-line block ×4, first 2 shown]
	s_movk_i32 s8, 0x150
	v_mov_b32_e32 v19, s2
	v_mov_b32_e32 v10, v12
	s_branch .LBB180_8
.LBB180_7:                              ;   in Loop: Header=BB180_8 Depth=1
	s_or_b64 exec, exec, s[0:1]
	s_add_u32 s4, s4, 1
	s_addc_u32 s5, s5, 0
	v_cmp_lt_i64_e32 vcc, s[4:5], v[19:20]
	v_add_co_u32_e64 v17, s[0:1], 8, v17
	v_addc_co_u32_e64 v18, s[0:1], 0, v18, s[0:1]
	s_cbranch_vccz .LBB180_10
.LBB180_8:                              ; =>This Inner Loop Header: Depth=1
	v_mov_b32_e32 v25, s5
	v_add_co_u32_e32 v24, vcc, s4, v23
	v_addc_co_u32_e32 v25, vcc, 0, v25, vcc
	v_cmp_gt_i64_e32 vcc, s[2:3], v[24:25]
	s_and_saveexec_b64 s[0:1], vcc
	s_cbranch_execz .LBB180_7
; %bb.9:                                ;   in Loop: Header=BB180_8 Depth=1
	global_load_dwordx2 v[24:25], v[17:18], off
	s_waitcnt vmcnt(0)
	v_subrev_co_u32_e32 v24, vcc, s14, v24
	v_mad_u64_u32 v[28:29], s[10:11], v24, s8, v[13:14]
	v_subbrev_co_u32_e32 v25, vcc, 0, v25, vcc
	v_mov_b32_e32 v24, v29
	v_mad_u64_u32 v[29:30], s[10:11], v25, s8, v[24:25]
	global_load_dwordx4 v[24:27], v[15:16], off
	s_nop 0
	global_load_dwordx4 v[28:31], v[28:29], off
	v_add_co_u32_e32 v15, vcc, 0x1b90, v15
	v_addc_co_u32_e32 v16, vcc, 0, v16, vcc
	s_waitcnt vmcnt(0)
	v_fma_f64 v[9:10], v[24:25], v[28:29], v[9:10]
	v_fma_f64 v[11:12], v[26:27], v[28:29], v[11:12]
	v_fma_f64 v[9:10], -v[26:27], v[30:31], v[9:10]
	v_fma_f64 v[11:12], v[24:25], v[30:31], v[11:12]
	s_branch .LBB180_7
.LBB180_10:
	s_and_b64 vcc, exec, s[16:17]
	ds_write_b128 v21, v[9:12]
	s_waitcnt lgkmcnt(0)
	s_barrier
	s_cbranch_vccz .LBB180_22
; %bb.11:
	v_cmp_gt_u16_e32 vcc, 5, v22
	s_and_saveexec_b64 s[0:1], vcc
	s_cbranch_execz .LBB180_13
; %bb.12:
	ds_read_b128 v[13:16], v21 offset:256
	ds_read_b128 v[17:20], v21
	s_waitcnt lgkmcnt(0)
	v_add_f64 v[13:14], v[13:14], v[17:18]
	v_add_f64 v[15:16], v[15:16], v[19:20]
	ds_write_b128 v21, v[13:16]
.LBB180_13:
	s_or_b64 exec, exec, s[0:1]
	v_cmp_gt_u16_e32 vcc, 8, v22
	s_waitcnt lgkmcnt(0)
	s_barrier
	s_and_saveexec_b64 s[0:1], vcc
	s_cbranch_execz .LBB180_15
; %bb.14:
	ds_read_b128 v[13:16], v21 offset:128
	ds_read_b128 v[17:20], v21
	s_waitcnt lgkmcnt(0)
	v_add_f64 v[13:14], v[13:14], v[17:18]
	v_add_f64 v[15:16], v[15:16], v[19:20]
	ds_write_b128 v21, v[13:16]
.LBB180_15:
	s_or_b64 exec, exec, s[0:1]
	v_cmp_gt_u16_e32 vcc, 4, v22
	s_waitcnt lgkmcnt(0)
	s_barrier
	s_and_saveexec_b64 s[0:1], vcc
	s_cbranch_execz .LBB180_17
; %bb.16:
	ds_read_b128 v[13:16], v21 offset:64
	ds_read_b128 v[17:20], v21
	s_waitcnt lgkmcnt(0)
	v_add_f64 v[13:14], v[13:14], v[17:18]
	v_add_f64 v[15:16], v[15:16], v[19:20]
	ds_write_b128 v21, v[13:16]
.LBB180_17:
	s_or_b64 exec, exec, s[0:1]
	v_cmp_gt_u16_e32 vcc, 2, v22
	s_waitcnt lgkmcnt(0)
	s_barrier
	s_and_saveexec_b64 s[0:1], vcc
	s_cbranch_execz .LBB180_19
; %bb.18:
	ds_read_b128 v[13:16], v21
	ds_read_b128 v[17:20], v21 offset:32
	s_waitcnt lgkmcnt(0)
	v_add_f64 v[13:14], v[17:18], v[13:14]
	v_add_f64 v[15:16], v[19:20], v[15:16]
	ds_write_b128 v21, v[13:16]
.LBB180_19:
	s_or_b64 exec, exec, s[0:1]
	v_mov_b32_e32 v16, v12
	v_mov_b32_e32 v14, v10
	v_cmp_gt_u32_e32 vcc, 21, v0
	v_mov_b32_e32 v15, v11
	v_mov_b32_e32 v13, v9
	s_waitcnt lgkmcnt(0)
	s_barrier
	s_and_saveexec_b64 s[0:1], vcc
	s_cbranch_execz .LBB180_21
; %bb.20:
	s_movk_i32 s2, 0x140
	v_mad_u32_u24 v17, v0, s2, v21
	ds_read_b128 v[13:16], v17
	ds_read_b128 v[17:20], v17 offset:16
	s_waitcnt lgkmcnt(0)
	v_add_f64 v[13:14], v[17:18], v[13:14]
	v_add_f64 v[15:16], v[19:20], v[15:16]
.LBB180_21:
	s_or_b64 exec, exec, s[0:1]
	s_branch .LBB180_34
.LBB180_22:
                                        ; implicit-def: $vgpr15_vgpr16
                                        ; implicit-def: $vgpr13_vgpr14
	s_cbranch_execz .LBB180_34
; %bb.23:
	s_movk_i32 s0, 0x69
	v_cmp_gt_u32_e32 vcc, s0, v0
	s_and_saveexec_b64 s[0:1], vcc
	s_cbranch_execz .LBB180_25
; %bb.24:
	ds_read_b128 v[13:16], v21 offset:5376
	ds_read_b128 v[17:20], v21
	s_waitcnt lgkmcnt(0)
	v_add_f64 v[13:14], v[13:14], v[17:18]
	v_add_f64 v[15:16], v[15:16], v[19:20]
	ds_write_b128 v21, v[13:16]
.LBB180_25:
	s_or_b64 exec, exec, s[0:1]
	s_movk_i32 s0, 0xa8
	v_cmp_gt_u32_e32 vcc, s0, v0
	s_waitcnt lgkmcnt(0)
	s_barrier
	s_and_saveexec_b64 s[0:1], vcc
	s_cbranch_execz .LBB180_27
; %bb.26:
	ds_read_b128 v[13:16], v21 offset:2688
	ds_read_b128 v[17:20], v21
	s_waitcnt lgkmcnt(0)
	v_add_f64 v[13:14], v[13:14], v[17:18]
	v_add_f64 v[15:16], v[15:16], v[19:20]
	ds_write_b128 v21, v[13:16]
.LBB180_27:
	s_or_b64 exec, exec, s[0:1]
	s_movk_i32 s0, 0x54
	v_cmp_gt_u32_e32 vcc, s0, v0
	s_waitcnt lgkmcnt(0)
	s_barrier
	s_and_saveexec_b64 s[0:1], vcc
	s_cbranch_execz .LBB180_29
; %bb.28:
	ds_read_b128 v[13:16], v21 offset:1344
	ds_read_b128 v[17:20], v21
	s_waitcnt lgkmcnt(0)
	v_add_f64 v[13:14], v[13:14], v[17:18]
	v_add_f64 v[15:16], v[15:16], v[19:20]
	ds_write_b128 v21, v[13:16]
.LBB180_29:
	s_or_b64 exec, exec, s[0:1]
	v_cmp_gt_u32_e32 vcc, 42, v0
	s_waitcnt lgkmcnt(0)
	s_barrier
	s_and_saveexec_b64 s[0:1], vcc
	s_cbranch_execz .LBB180_31
; %bb.30:
	ds_read_b128 v[13:16], v21 offset:672
	ds_read_b128 v[17:20], v21
	s_waitcnt lgkmcnt(0)
	v_add_f64 v[13:14], v[13:14], v[17:18]
	v_add_f64 v[15:16], v[15:16], v[19:20]
	ds_write_b128 v21, v[13:16]
.LBB180_31:
	s_or_b64 exec, exec, s[0:1]
	v_cmp_gt_u32_e32 vcc, 21, v0
	s_waitcnt lgkmcnt(0)
	s_and_saveexec_b64 s[0:1], vcc
	s_cbranch_execz .LBB180_33
; %bb.32:
	ds_read_b128 v[9:12], v21 offset:336
	ds_read_b128 v[13:16], v21
	s_waitcnt lgkmcnt(0)
	v_add_f64 v[9:10], v[9:10], v[13:14]
	v_add_f64 v[11:12], v[11:12], v[15:16]
.LBB180_33:
	s_or_b64 exec, exec, s[0:1]
	v_mov_b32_e32 v16, v12
	v_mov_b32_e32 v14, v10
	;; [unrolled: 1-line block ×4, first 2 shown]
.LBB180_34:
	v_cmp_gt_u32_e32 vcc, 21, v0
	s_and_b64 exec, exec, vcc
	s_cbranch_execz .LBB180_39
; %bb.35:
	v_mul_f64 v[9:10], v[15:16], -v[7:8]
	v_mul_f64 v[11:12], v[5:6], v[15:16]
	v_cmp_eq_f64_e32 vcc, 0, v[1:2]
	v_cmp_eq_f64_e64 s[0:1], 0, v[3:4]
	s_mul_i32 s2, s7, 0x150
	s_mul_hi_u32 s3, s6, 0x150
	s_mul_i32 s4, s6, 0x150
	v_fma_f64 v[5:6], v[5:6], v[13:14], v[9:10]
	v_fma_f64 v[7:8], v[7:8], v[13:14], v[11:12]
	s_and_b64 s[0:1], vcc, s[0:1]
	s_and_saveexec_b64 s[6:7], s[0:1]
	s_xor_b64 s[0:1], exec, s[6:7]
	s_cbranch_execz .LBB180_37
; %bb.36:
	s_add_i32 s5, s3, s2
	s_add_u32 s6, s12, s4
	s_addc_u32 s7, s13, s5
	global_store_dwordx4 v21, v[5:8], s[6:7]
                                        ; implicit-def: $vgpr21
                                        ; implicit-def: $vgpr1_vgpr2
                                        ; implicit-def: $vgpr5_vgpr6
.LBB180_37:
	s_andn2_saveexec_b64 s[0:1], s[0:1]
	s_cbranch_execz .LBB180_39
; %bb.38:
	s_add_i32 s3, s3, s2
	s_add_u32 s0, s12, s4
	s_addc_u32 s1, s13, s3
	global_load_dwordx4 v[9:12], v21, s[0:1]
	s_waitcnt vmcnt(0)
	v_fma_f64 v[5:6], v[1:2], v[9:10], v[5:6]
	v_fma_f64 v[7:8], v[3:4], v[9:10], v[7:8]
	v_fma_f64 v[3:4], -v[3:4], v[11:12], v[5:6]
	v_fma_f64 v[5:6], v[1:2], v[11:12], v[7:8]
	global_store_dwordx4 v21, v[3:6], s[0:1]
.LBB180_39:
	s_endpgm
	.section	.rodata,"a",@progbits
	.p2align	6, 0x0
	.amdhsa_kernel _ZN9rocsparseL20bsrxmvn_17_32_kernelILj21E21rocsparse_complex_numIdEllS2_S2_S2_EEvT2_20rocsparse_direction_NS_24const_host_device_scalarIT0_EES3_PKS3_PKT1_SC_S9_PKT3_PKT4_S7_PT5_21rocsparse_index_base_b
		.amdhsa_group_segment_fixed_size 7056
		.amdhsa_private_segment_fixed_size 0
		.amdhsa_kernarg_size 120
		.amdhsa_user_sgpr_count 6
		.amdhsa_user_sgpr_private_segment_buffer 1
		.amdhsa_user_sgpr_dispatch_ptr 0
		.amdhsa_user_sgpr_queue_ptr 0
		.amdhsa_user_sgpr_kernarg_segment_ptr 1
		.amdhsa_user_sgpr_dispatch_id 0
		.amdhsa_user_sgpr_flat_scratch_init 0
		.amdhsa_user_sgpr_private_segment_size 0
		.amdhsa_uses_dynamic_stack 0
		.amdhsa_system_sgpr_private_segment_wavefront_offset 0
		.amdhsa_system_sgpr_workgroup_id_x 1
		.amdhsa_system_sgpr_workgroup_id_y 0
		.amdhsa_system_sgpr_workgroup_id_z 0
		.amdhsa_system_sgpr_workgroup_info 0
		.amdhsa_system_vgpr_workitem_id 0
		.amdhsa_next_free_vgpr 32
		.amdhsa_next_free_sgpr 61
		.amdhsa_reserve_vcc 1
		.amdhsa_reserve_flat_scratch 0
		.amdhsa_float_round_mode_32 0
		.amdhsa_float_round_mode_16_64 0
		.amdhsa_float_denorm_mode_32 3
		.amdhsa_float_denorm_mode_16_64 3
		.amdhsa_dx10_clamp 1
		.amdhsa_ieee_mode 1
		.amdhsa_fp16_overflow 0
		.amdhsa_exception_fp_ieee_invalid_op 0
		.amdhsa_exception_fp_denorm_src 0
		.amdhsa_exception_fp_ieee_div_zero 0
		.amdhsa_exception_fp_ieee_overflow 0
		.amdhsa_exception_fp_ieee_underflow 0
		.amdhsa_exception_fp_ieee_inexact 0
		.amdhsa_exception_int_div_zero 0
	.end_amdhsa_kernel
	.section	.text._ZN9rocsparseL20bsrxmvn_17_32_kernelILj21E21rocsparse_complex_numIdEllS2_S2_S2_EEvT2_20rocsparse_direction_NS_24const_host_device_scalarIT0_EES3_PKS3_PKT1_SC_S9_PKT3_PKT4_S7_PT5_21rocsparse_index_base_b,"axG",@progbits,_ZN9rocsparseL20bsrxmvn_17_32_kernelILj21E21rocsparse_complex_numIdEllS2_S2_S2_EEvT2_20rocsparse_direction_NS_24const_host_device_scalarIT0_EES3_PKS3_PKT1_SC_S9_PKT3_PKT4_S7_PT5_21rocsparse_index_base_b,comdat
.Lfunc_end180:
	.size	_ZN9rocsparseL20bsrxmvn_17_32_kernelILj21E21rocsparse_complex_numIdEllS2_S2_S2_EEvT2_20rocsparse_direction_NS_24const_host_device_scalarIT0_EES3_PKS3_PKT1_SC_S9_PKT3_PKT4_S7_PT5_21rocsparse_index_base_b, .Lfunc_end180-_ZN9rocsparseL20bsrxmvn_17_32_kernelILj21E21rocsparse_complex_numIdEllS2_S2_S2_EEvT2_20rocsparse_direction_NS_24const_host_device_scalarIT0_EES3_PKS3_PKT1_SC_S9_PKT3_PKT4_S7_PT5_21rocsparse_index_base_b
                                        ; -- End function
	.set _ZN9rocsparseL20bsrxmvn_17_32_kernelILj21E21rocsparse_complex_numIdEllS2_S2_S2_EEvT2_20rocsparse_direction_NS_24const_host_device_scalarIT0_EES3_PKS3_PKT1_SC_S9_PKT3_PKT4_S7_PT5_21rocsparse_index_base_b.num_vgpr, 32
	.set _ZN9rocsparseL20bsrxmvn_17_32_kernelILj21E21rocsparse_complex_numIdEllS2_S2_S2_EEvT2_20rocsparse_direction_NS_24const_host_device_scalarIT0_EES3_PKS3_PKT1_SC_S9_PKT3_PKT4_S7_PT5_21rocsparse_index_base_b.num_agpr, 0
	.set _ZN9rocsparseL20bsrxmvn_17_32_kernelILj21E21rocsparse_complex_numIdEllS2_S2_S2_EEvT2_20rocsparse_direction_NS_24const_host_device_scalarIT0_EES3_PKS3_PKT1_SC_S9_PKT3_PKT4_S7_PT5_21rocsparse_index_base_b.numbered_sgpr, 22
	.set _ZN9rocsparseL20bsrxmvn_17_32_kernelILj21E21rocsparse_complex_numIdEllS2_S2_S2_EEvT2_20rocsparse_direction_NS_24const_host_device_scalarIT0_EES3_PKS3_PKT1_SC_S9_PKT3_PKT4_S7_PT5_21rocsparse_index_base_b.num_named_barrier, 0
	.set _ZN9rocsparseL20bsrxmvn_17_32_kernelILj21E21rocsparse_complex_numIdEllS2_S2_S2_EEvT2_20rocsparse_direction_NS_24const_host_device_scalarIT0_EES3_PKS3_PKT1_SC_S9_PKT3_PKT4_S7_PT5_21rocsparse_index_base_b.private_seg_size, 0
	.set _ZN9rocsparseL20bsrxmvn_17_32_kernelILj21E21rocsparse_complex_numIdEllS2_S2_S2_EEvT2_20rocsparse_direction_NS_24const_host_device_scalarIT0_EES3_PKS3_PKT1_SC_S9_PKT3_PKT4_S7_PT5_21rocsparse_index_base_b.uses_vcc, 1
	.set _ZN9rocsparseL20bsrxmvn_17_32_kernelILj21E21rocsparse_complex_numIdEllS2_S2_S2_EEvT2_20rocsparse_direction_NS_24const_host_device_scalarIT0_EES3_PKS3_PKT1_SC_S9_PKT3_PKT4_S7_PT5_21rocsparse_index_base_b.uses_flat_scratch, 0
	.set _ZN9rocsparseL20bsrxmvn_17_32_kernelILj21E21rocsparse_complex_numIdEllS2_S2_S2_EEvT2_20rocsparse_direction_NS_24const_host_device_scalarIT0_EES3_PKS3_PKT1_SC_S9_PKT3_PKT4_S7_PT5_21rocsparse_index_base_b.has_dyn_sized_stack, 0
	.set _ZN9rocsparseL20bsrxmvn_17_32_kernelILj21E21rocsparse_complex_numIdEllS2_S2_S2_EEvT2_20rocsparse_direction_NS_24const_host_device_scalarIT0_EES3_PKS3_PKT1_SC_S9_PKT3_PKT4_S7_PT5_21rocsparse_index_base_b.has_recursion, 0
	.set _ZN9rocsparseL20bsrxmvn_17_32_kernelILj21E21rocsparse_complex_numIdEllS2_S2_S2_EEvT2_20rocsparse_direction_NS_24const_host_device_scalarIT0_EES3_PKS3_PKT1_SC_S9_PKT3_PKT4_S7_PT5_21rocsparse_index_base_b.has_indirect_call, 0
	.section	.AMDGPU.csdata,"",@progbits
; Kernel info:
; codeLenInByte = 1720
; TotalNumSgprs: 26
; NumVgprs: 32
; ScratchSize: 0
; MemoryBound: 1
; FloatMode: 240
; IeeeMode: 1
; LDSByteSize: 7056 bytes/workgroup (compile time only)
; SGPRBlocks: 8
; VGPRBlocks: 7
; NumSGPRsForWavesPerEU: 65
; NumVGPRsForWavesPerEU: 32
; Occupancy: 8
; WaveLimiterHint : 1
; COMPUTE_PGM_RSRC2:SCRATCH_EN: 0
; COMPUTE_PGM_RSRC2:USER_SGPR: 6
; COMPUTE_PGM_RSRC2:TRAP_HANDLER: 0
; COMPUTE_PGM_RSRC2:TGID_X_EN: 1
; COMPUTE_PGM_RSRC2:TGID_Y_EN: 0
; COMPUTE_PGM_RSRC2:TGID_Z_EN: 0
; COMPUTE_PGM_RSRC2:TIDIG_COMP_CNT: 0
	.section	.text._ZN9rocsparseL20bsrxmvn_17_32_kernelILj22E21rocsparse_complex_numIdEllS2_S2_S2_EEvT2_20rocsparse_direction_NS_24const_host_device_scalarIT0_EES3_PKS3_PKT1_SC_S9_PKT3_PKT4_S7_PT5_21rocsparse_index_base_b,"axG",@progbits,_ZN9rocsparseL20bsrxmvn_17_32_kernelILj22E21rocsparse_complex_numIdEllS2_S2_S2_EEvT2_20rocsparse_direction_NS_24const_host_device_scalarIT0_EES3_PKS3_PKT1_SC_S9_PKT3_PKT4_S7_PT5_21rocsparse_index_base_b,comdat
	.globl	_ZN9rocsparseL20bsrxmvn_17_32_kernelILj22E21rocsparse_complex_numIdEllS2_S2_S2_EEvT2_20rocsparse_direction_NS_24const_host_device_scalarIT0_EES3_PKS3_PKT1_SC_S9_PKT3_PKT4_S7_PT5_21rocsparse_index_base_b ; -- Begin function _ZN9rocsparseL20bsrxmvn_17_32_kernelILj22E21rocsparse_complex_numIdEllS2_S2_S2_EEvT2_20rocsparse_direction_NS_24const_host_device_scalarIT0_EES3_PKS3_PKT1_SC_S9_PKT3_PKT4_S7_PT5_21rocsparse_index_base_b
	.p2align	8
	.type	_ZN9rocsparseL20bsrxmvn_17_32_kernelILj22E21rocsparse_complex_numIdEllS2_S2_S2_EEvT2_20rocsparse_direction_NS_24const_host_device_scalarIT0_EES3_PKS3_PKT1_SC_S9_PKT3_PKT4_S7_PT5_21rocsparse_index_base_b,@function
_ZN9rocsparseL20bsrxmvn_17_32_kernelILj22E21rocsparse_complex_numIdEllS2_S2_S2_EEvT2_20rocsparse_direction_NS_24const_host_device_scalarIT0_EES3_PKS3_PKT1_SC_S9_PKT3_PKT4_S7_PT5_21rocsparse_index_base_b: ; @_ZN9rocsparseL20bsrxmvn_17_32_kernelILj22E21rocsparse_complex_numIdEllS2_S2_S2_EEvT2_20rocsparse_direction_NS_24const_host_device_scalarIT0_EES3_PKS3_PKT1_SC_S9_PKT3_PKT4_S7_PT5_21rocsparse_index_base_b
; %bb.0:
	s_load_dwordx2 s[0:1], s[4:5], 0x10
	s_load_dwordx2 s[14:15], s[4:5], 0x70
	s_add_u32 s7, s4, 16
	s_addc_u32 s8, s5, 0
	s_add_u32 s9, s4, 0x58
	s_addc_u32 s10, s5, 0
	s_waitcnt lgkmcnt(0)
	s_bitcmp1_b32 s15, 0
	s_cselect_b32 s1, s8, s1
	s_cselect_b32 s0, s7, s0
	v_mov_b32_e32 v1, s0
	v_mov_b32_e32 v2, s1
	flat_load_dwordx4 v[5:8], v[1:2]
	s_load_dwordx2 s[2:3], s[4:5], 0x58
	s_waitcnt lgkmcnt(0)
	s_cselect_b32 s0, s10, s3
	s_cselect_b32 s1, s9, s2
	v_mov_b32_e32 v1, s1
	v_mov_b32_e32 v2, s0
	flat_load_dwordx4 v[1:4], v[1:2]
	s_waitcnt vmcnt(0)
	v_cmp_eq_f64_e32 vcc, 0, v[5:6]
	v_cmp_eq_f64_e64 s[0:1], 0, v[7:8]
	s_and_b64 s[8:9], vcc, s[0:1]
	s_mov_b64 s[0:1], -1
	s_and_saveexec_b64 s[2:3], s[8:9]
	s_cbranch_execz .LBB181_2
; %bb.1:
	s_waitcnt lgkmcnt(0)
	v_cmp_neq_f64_e32 vcc, 1.0, v[1:2]
	v_cmp_neq_f64_e64 s[0:1], 0, v[3:4]
	s_or_b64 s[0:1], vcc, s[0:1]
	s_orn2_b64 s[0:1], s[0:1], exec
.LBB181_2:
	s_or_b64 exec, exec, s[2:3]
	s_and_saveexec_b64 s[2:3], s[0:1]
	s_cbranch_execz .LBB181_39
; %bb.3:
	s_load_dwordx4 s[0:3], s[4:5], 0x28
	s_load_dwordx2 s[8:9], s[4:5], 0x38
	s_mov_b32 s7, 0
	s_waitcnt lgkmcnt(0)
	s_cmp_eq_u64 s[0:1], 0
	s_cbranch_scc1 .LBB181_5
; %bb.4:
	s_lshl_b64 s[6:7], s[6:7], 3
	s_add_u32 s0, s0, s6
	s_addc_u32 s1, s1, s7
	s_load_dwordx2 s[0:1], s[0:1], 0x0
	s_waitcnt lgkmcnt(0)
	s_sub_u32 s6, s0, s14
	s_subb_u32 s7, s1, 0
.LBB181_5:
	s_load_dword s10, s[4:5], 0x8
	s_load_dwordx2 s[12:13], s[4:5], 0x68
	v_mul_u32_u24_e32 v13, 0xba3, v0
	v_mov_b32_e32 v14, 22
	v_mul_lo_u16_sdwa v9, v13, v14 dst_sel:DWORD dst_unused:UNUSED_PAD src0_sel:WORD_1 src1_sel:DWORD
	s_waitcnt lgkmcnt(0)
	s_cmp_eq_u32 s10, 1
	s_cselect_b64 s[0:1], -1, 0
	s_cmp_lg_u32 s10, 1
	s_cselect_b64 s[16:17], -1, 0
	s_lshl_b64 s[10:11], s[6:7], 3
	s_add_u32 s20, s2, s10
	s_addc_u32 s21, s3, s11
	s_add_u32 s2, s20, 8
	s_addc_u32 s3, s21, 0
	;; [unrolled: 2-line block ×3, first 2 shown]
	s_cmp_eq_u64 s[8:9], 0
	s_cselect_b32 s9, s3, s11
	s_cselect_b32 s8, s2, s10
	s_load_dwordx2 s[2:3], s[8:9], 0x0
	s_load_dwordx2 s[18:19], s[20:21], 0x0
	v_sub_u16_e32 v22, v0, v9
	v_mov_b32_e32 v11, 0
	v_mov_b32_e32 v12, 0
	s_waitcnt lgkmcnt(0)
	v_mov_b32_e32 v10, s3
	v_mov_b32_e32 v9, s2
	v_cmp_ge_i64_e32 vcc, s[18:19], v[9:10]
	v_mov_b32_e32 v9, 0
	v_lshlrev_b32_e32 v21, 4, v0
	v_mov_b32_e32 v10, 0
	s_cbranch_vccnz .LBB181_10
; %bb.6:
	v_mov_b32_e32 v9, 12
	v_mul_lo_u16_sdwa v9, v13, v9 dst_sel:DWORD dst_unused:UNUSED_PAD src0_sel:WORD_1 src1_sel:DWORD
	s_sub_u32 s2, s2, s14
	s_load_dwordx2 s[20:21], s[4:5], 0x50
	s_load_dwordx4 s[8:11], s[4:5], 0x40
	v_mul_lo_u16_sdwa v9, v9, v14 dst_sel:DWORD dst_unused:UNUSED_PAD src0_sel:BYTE_1 src1_sel:DWORD
	s_subb_u32 s3, s3, 0
	v_sub_u16_sdwa v9, v13, v9 dst_sel:DWORD dst_unused:UNUSED_PAD src0_sel:WORD_1 src1_sel:DWORD
	s_sub_u32 s4, s18, s14
	v_and_b32_e32 v9, 0xff, v9
	s_subb_u32 s5, s19, 0
	v_cndmask_b32_e64 v9, v22, v9, s[0:1]
	s_mul_i32 s0, s5, 0x1e40
	s_mul_hi_u32 s1, s4, 0x1e40
	v_lshlrev_b32_e32 v9, 4, v9
	s_add_i32 s1, s1, s0
	s_mul_i32 s0, s4, 0x1e40
	s_waitcnt lgkmcnt(0)
	v_mov_b32_e32 v10, s21
	v_add_co_u32_e32 v13, vcc, s20, v9
	s_add_u32 s0, s10, s0
	v_addc_co_u32_e32 v14, vcc, 0, v10, vcc
	s_addc_u32 s1, s11, s1
	v_mov_b32_e32 v9, s1
	v_add_co_u32_e32 v15, vcc, s0, v21
	s_movk_i32 s0, 0x10f
	v_addc_co_u32_e32 v16, vcc, 0, v9, vcc
	v_mul_u32_u24_sdwa v9, v0, s0 dst_sel:DWORD dst_unused:UNUSED_PAD src0_sel:WORD_0 src1_sel:DWORD
	v_lshrrev_b32_e32 v23, 17, v9
	v_mov_b32_e32 v9, s19
	v_add_co_u32_e32 v10, vcc, s18, v23
	v_addc_co_u32_e32 v11, vcc, 0, v9, vcc
	v_subrev_co_u32_e32 v9, vcc, s14, v10
	v_subbrev_co_u32_e32 v10, vcc, 0, v11, vcc
	v_lshlrev_b64 v[9:10], 3, v[9:10]
	v_mov_b32_e32 v11, s9
	v_add_co_u32_e32 v17, vcc, s8, v9
	v_addc_co_u32_e32 v18, vcc, v11, v10, vcc
	v_mov_b32_e32 v11, 0
	v_mov_b32_e32 v12, 0
	;; [unrolled: 1-line block ×4, first 2 shown]
	s_movk_i32 s8, 0x160
	v_mov_b32_e32 v19, s2
	v_mov_b32_e32 v10, v12
	s_branch .LBB181_8
.LBB181_7:                              ;   in Loop: Header=BB181_8 Depth=1
	s_or_b64 exec, exec, s[0:1]
	s_add_u32 s4, s4, 1
	s_addc_u32 s5, s5, 0
	v_cmp_lt_i64_e32 vcc, s[4:5], v[19:20]
	v_add_co_u32_e64 v17, s[0:1], 8, v17
	v_addc_co_u32_e64 v18, s[0:1], 0, v18, s[0:1]
	s_cbranch_vccz .LBB181_10
.LBB181_8:                              ; =>This Inner Loop Header: Depth=1
	v_mov_b32_e32 v25, s5
	v_add_co_u32_e32 v24, vcc, s4, v23
	v_addc_co_u32_e32 v25, vcc, 0, v25, vcc
	v_cmp_gt_i64_e32 vcc, s[2:3], v[24:25]
	s_and_saveexec_b64 s[0:1], vcc
	s_cbranch_execz .LBB181_7
; %bb.9:                                ;   in Loop: Header=BB181_8 Depth=1
	global_load_dwordx2 v[24:25], v[17:18], off
	s_waitcnt vmcnt(0)
	v_subrev_co_u32_e32 v24, vcc, s14, v24
	v_mad_u64_u32 v[28:29], s[10:11], v24, s8, v[13:14]
	v_subbrev_co_u32_e32 v25, vcc, 0, v25, vcc
	v_mov_b32_e32 v24, v29
	v_mad_u64_u32 v[29:30], s[10:11], v25, s8, v[24:25]
	global_load_dwordx4 v[24:27], v[15:16], off
	s_nop 0
	global_load_dwordx4 v[28:31], v[28:29], off
	v_add_co_u32_e32 v15, vcc, 0x1e40, v15
	v_addc_co_u32_e32 v16, vcc, 0, v16, vcc
	s_waitcnt vmcnt(0)
	v_fma_f64 v[9:10], v[24:25], v[28:29], v[9:10]
	v_fma_f64 v[11:12], v[26:27], v[28:29], v[11:12]
	v_fma_f64 v[9:10], -v[26:27], v[30:31], v[9:10]
	v_fma_f64 v[11:12], v[24:25], v[30:31], v[11:12]
	s_branch .LBB181_7
.LBB181_10:
	s_and_b64 vcc, exec, s[16:17]
	ds_write_b128 v21, v[9:12]
	s_waitcnt lgkmcnt(0)
	s_barrier
	s_cbranch_vccz .LBB181_22
; %bb.11:
	v_cmp_gt_u16_e32 vcc, 6, v22
	s_and_saveexec_b64 s[0:1], vcc
	s_cbranch_execz .LBB181_13
; %bb.12:
	ds_read_b128 v[13:16], v21 offset:256
	ds_read_b128 v[17:20], v21
	s_waitcnt lgkmcnt(0)
	v_add_f64 v[13:14], v[13:14], v[17:18]
	v_add_f64 v[15:16], v[15:16], v[19:20]
	ds_write_b128 v21, v[13:16]
.LBB181_13:
	s_or_b64 exec, exec, s[0:1]
	v_cmp_gt_u16_e32 vcc, 8, v22
	s_waitcnt lgkmcnt(0)
	s_barrier
	s_and_saveexec_b64 s[0:1], vcc
	s_cbranch_execz .LBB181_15
; %bb.14:
	ds_read_b128 v[13:16], v21 offset:128
	ds_read_b128 v[17:20], v21
	s_waitcnt lgkmcnt(0)
	v_add_f64 v[13:14], v[13:14], v[17:18]
	v_add_f64 v[15:16], v[15:16], v[19:20]
	ds_write_b128 v21, v[13:16]
.LBB181_15:
	s_or_b64 exec, exec, s[0:1]
	v_cmp_gt_u16_e32 vcc, 4, v22
	s_waitcnt lgkmcnt(0)
	s_barrier
	;; [unrolled: 14-line block ×3, first 2 shown]
	s_and_saveexec_b64 s[0:1], vcc
	s_cbranch_execz .LBB181_19
; %bb.18:
	ds_read_b128 v[13:16], v21
	ds_read_b128 v[17:20], v21 offset:32
	s_waitcnt lgkmcnt(0)
	v_add_f64 v[13:14], v[17:18], v[13:14]
	v_add_f64 v[15:16], v[19:20], v[15:16]
	ds_write_b128 v21, v[13:16]
.LBB181_19:
	s_or_b64 exec, exec, s[0:1]
	v_mov_b32_e32 v16, v12
	v_mov_b32_e32 v14, v10
	v_cmp_gt_u32_e32 vcc, 22, v0
	v_mov_b32_e32 v15, v11
	v_mov_b32_e32 v13, v9
	s_waitcnt lgkmcnt(0)
	s_barrier
	s_and_saveexec_b64 s[0:1], vcc
	s_cbranch_execz .LBB181_21
; %bb.20:
	s_movk_i32 s2, 0x150
	v_mad_u32_u24 v17, v0, s2, v21
	ds_read_b128 v[13:16], v17
	ds_read_b128 v[17:20], v17 offset:16
	s_waitcnt lgkmcnt(0)
	v_add_f64 v[13:14], v[17:18], v[13:14]
	v_add_f64 v[15:16], v[19:20], v[15:16]
.LBB181_21:
	s_or_b64 exec, exec, s[0:1]
	s_branch .LBB181_34
.LBB181_22:
                                        ; implicit-def: $vgpr15_vgpr16
                                        ; implicit-def: $vgpr13_vgpr14
	s_cbranch_execz .LBB181_34
; %bb.23:
	s_movk_i32 s0, 0x84
	v_cmp_gt_u32_e32 vcc, s0, v0
	s_and_saveexec_b64 s[0:1], vcc
	s_cbranch_execz .LBB181_25
; %bb.24:
	ds_read_b128 v[13:16], v21 offset:5632
	ds_read_b128 v[17:20], v21
	s_waitcnt lgkmcnt(0)
	v_add_f64 v[13:14], v[13:14], v[17:18]
	v_add_f64 v[15:16], v[15:16], v[19:20]
	ds_write_b128 v21, v[13:16]
.LBB181_25:
	s_or_b64 exec, exec, s[0:1]
	s_movk_i32 s0, 0xb0
	v_cmp_gt_u32_e32 vcc, s0, v0
	s_waitcnt lgkmcnt(0)
	s_barrier
	s_and_saveexec_b64 s[0:1], vcc
	s_cbranch_execz .LBB181_27
; %bb.26:
	ds_read_b128 v[13:16], v21 offset:2816
	ds_read_b128 v[17:20], v21
	s_waitcnt lgkmcnt(0)
	v_add_f64 v[13:14], v[13:14], v[17:18]
	v_add_f64 v[15:16], v[15:16], v[19:20]
	ds_write_b128 v21, v[13:16]
.LBB181_27:
	s_or_b64 exec, exec, s[0:1]
	s_movk_i32 s0, 0x58
	v_cmp_gt_u32_e32 vcc, s0, v0
	s_waitcnt lgkmcnt(0)
	s_barrier
	s_and_saveexec_b64 s[0:1], vcc
	s_cbranch_execz .LBB181_29
; %bb.28:
	ds_read_b128 v[13:16], v21 offset:1408
	ds_read_b128 v[17:20], v21
	s_waitcnt lgkmcnt(0)
	v_add_f64 v[13:14], v[13:14], v[17:18]
	v_add_f64 v[15:16], v[15:16], v[19:20]
	ds_write_b128 v21, v[13:16]
.LBB181_29:
	s_or_b64 exec, exec, s[0:1]
	v_cmp_gt_u32_e32 vcc, 44, v0
	s_waitcnt lgkmcnt(0)
	s_barrier
	s_and_saveexec_b64 s[0:1], vcc
	s_cbranch_execz .LBB181_31
; %bb.30:
	ds_read_b128 v[13:16], v21 offset:704
	ds_read_b128 v[17:20], v21
	s_waitcnt lgkmcnt(0)
	v_add_f64 v[13:14], v[13:14], v[17:18]
	v_add_f64 v[15:16], v[15:16], v[19:20]
	ds_write_b128 v21, v[13:16]
.LBB181_31:
	s_or_b64 exec, exec, s[0:1]
	v_cmp_gt_u32_e32 vcc, 22, v0
	s_waitcnt lgkmcnt(0)
	s_and_saveexec_b64 s[0:1], vcc
	s_cbranch_execz .LBB181_33
; %bb.32:
	ds_read_b128 v[9:12], v21 offset:352
	ds_read_b128 v[13:16], v21
	s_waitcnt lgkmcnt(0)
	v_add_f64 v[9:10], v[9:10], v[13:14]
	v_add_f64 v[11:12], v[11:12], v[15:16]
.LBB181_33:
	s_or_b64 exec, exec, s[0:1]
	v_mov_b32_e32 v16, v12
	v_mov_b32_e32 v14, v10
	v_mov_b32_e32 v15, v11
	v_mov_b32_e32 v13, v9
.LBB181_34:
	v_cmp_gt_u32_e32 vcc, 22, v0
	s_and_b64 exec, exec, vcc
	s_cbranch_execz .LBB181_39
; %bb.35:
	v_mul_f64 v[9:10], v[15:16], -v[7:8]
	v_mul_f64 v[11:12], v[5:6], v[15:16]
	v_cmp_eq_f64_e32 vcc, 0, v[1:2]
	v_cmp_eq_f64_e64 s[0:1], 0, v[3:4]
	s_mul_i32 s2, s7, 0x160
	s_mul_hi_u32 s3, s6, 0x160
	s_mul_i32 s4, s6, 0x160
	v_fma_f64 v[5:6], v[5:6], v[13:14], v[9:10]
	v_fma_f64 v[7:8], v[7:8], v[13:14], v[11:12]
	s_and_b64 s[0:1], vcc, s[0:1]
	s_and_saveexec_b64 s[6:7], s[0:1]
	s_xor_b64 s[0:1], exec, s[6:7]
	s_cbranch_execz .LBB181_37
; %bb.36:
	s_add_i32 s5, s3, s2
	s_add_u32 s6, s12, s4
	s_addc_u32 s7, s13, s5
	global_store_dwordx4 v21, v[5:8], s[6:7]
                                        ; implicit-def: $vgpr21
                                        ; implicit-def: $vgpr1_vgpr2
                                        ; implicit-def: $vgpr5_vgpr6
.LBB181_37:
	s_andn2_saveexec_b64 s[0:1], s[0:1]
	s_cbranch_execz .LBB181_39
; %bb.38:
	s_add_i32 s3, s3, s2
	s_add_u32 s0, s12, s4
	s_addc_u32 s1, s13, s3
	global_load_dwordx4 v[9:12], v21, s[0:1]
	s_waitcnt vmcnt(0)
	v_fma_f64 v[5:6], v[1:2], v[9:10], v[5:6]
	v_fma_f64 v[7:8], v[3:4], v[9:10], v[7:8]
	v_fma_f64 v[3:4], -v[3:4], v[11:12], v[5:6]
	v_fma_f64 v[5:6], v[1:2], v[11:12], v[7:8]
	global_store_dwordx4 v21, v[3:6], s[0:1]
.LBB181_39:
	s_endpgm
	.section	.rodata,"a",@progbits
	.p2align	6, 0x0
	.amdhsa_kernel _ZN9rocsparseL20bsrxmvn_17_32_kernelILj22E21rocsparse_complex_numIdEllS2_S2_S2_EEvT2_20rocsparse_direction_NS_24const_host_device_scalarIT0_EES3_PKS3_PKT1_SC_S9_PKT3_PKT4_S7_PT5_21rocsparse_index_base_b
		.amdhsa_group_segment_fixed_size 7744
		.amdhsa_private_segment_fixed_size 0
		.amdhsa_kernarg_size 120
		.amdhsa_user_sgpr_count 6
		.amdhsa_user_sgpr_private_segment_buffer 1
		.amdhsa_user_sgpr_dispatch_ptr 0
		.amdhsa_user_sgpr_queue_ptr 0
		.amdhsa_user_sgpr_kernarg_segment_ptr 1
		.amdhsa_user_sgpr_dispatch_id 0
		.amdhsa_user_sgpr_flat_scratch_init 0
		.amdhsa_user_sgpr_private_segment_size 0
		.amdhsa_uses_dynamic_stack 0
		.amdhsa_system_sgpr_private_segment_wavefront_offset 0
		.amdhsa_system_sgpr_workgroup_id_x 1
		.amdhsa_system_sgpr_workgroup_id_y 0
		.amdhsa_system_sgpr_workgroup_id_z 0
		.amdhsa_system_sgpr_workgroup_info 0
		.amdhsa_system_vgpr_workitem_id 0
		.amdhsa_next_free_vgpr 32
		.amdhsa_next_free_sgpr 22
		.amdhsa_reserve_vcc 1
		.amdhsa_reserve_flat_scratch 0
		.amdhsa_float_round_mode_32 0
		.amdhsa_float_round_mode_16_64 0
		.amdhsa_float_denorm_mode_32 3
		.amdhsa_float_denorm_mode_16_64 3
		.amdhsa_dx10_clamp 1
		.amdhsa_ieee_mode 1
		.amdhsa_fp16_overflow 0
		.amdhsa_exception_fp_ieee_invalid_op 0
		.amdhsa_exception_fp_denorm_src 0
		.amdhsa_exception_fp_ieee_div_zero 0
		.amdhsa_exception_fp_ieee_overflow 0
		.amdhsa_exception_fp_ieee_underflow 0
		.amdhsa_exception_fp_ieee_inexact 0
		.amdhsa_exception_int_div_zero 0
	.end_amdhsa_kernel
	.section	.text._ZN9rocsparseL20bsrxmvn_17_32_kernelILj22E21rocsparse_complex_numIdEllS2_S2_S2_EEvT2_20rocsparse_direction_NS_24const_host_device_scalarIT0_EES3_PKS3_PKT1_SC_S9_PKT3_PKT4_S7_PT5_21rocsparse_index_base_b,"axG",@progbits,_ZN9rocsparseL20bsrxmvn_17_32_kernelILj22E21rocsparse_complex_numIdEllS2_S2_S2_EEvT2_20rocsparse_direction_NS_24const_host_device_scalarIT0_EES3_PKS3_PKT1_SC_S9_PKT3_PKT4_S7_PT5_21rocsparse_index_base_b,comdat
.Lfunc_end181:
	.size	_ZN9rocsparseL20bsrxmvn_17_32_kernelILj22E21rocsparse_complex_numIdEllS2_S2_S2_EEvT2_20rocsparse_direction_NS_24const_host_device_scalarIT0_EES3_PKS3_PKT1_SC_S9_PKT3_PKT4_S7_PT5_21rocsparse_index_base_b, .Lfunc_end181-_ZN9rocsparseL20bsrxmvn_17_32_kernelILj22E21rocsparse_complex_numIdEllS2_S2_S2_EEvT2_20rocsparse_direction_NS_24const_host_device_scalarIT0_EES3_PKS3_PKT1_SC_S9_PKT3_PKT4_S7_PT5_21rocsparse_index_base_b
                                        ; -- End function
	.set _ZN9rocsparseL20bsrxmvn_17_32_kernelILj22E21rocsparse_complex_numIdEllS2_S2_S2_EEvT2_20rocsparse_direction_NS_24const_host_device_scalarIT0_EES3_PKS3_PKT1_SC_S9_PKT3_PKT4_S7_PT5_21rocsparse_index_base_b.num_vgpr, 32
	.set _ZN9rocsparseL20bsrxmvn_17_32_kernelILj22E21rocsparse_complex_numIdEllS2_S2_S2_EEvT2_20rocsparse_direction_NS_24const_host_device_scalarIT0_EES3_PKS3_PKT1_SC_S9_PKT3_PKT4_S7_PT5_21rocsparse_index_base_b.num_agpr, 0
	.set _ZN9rocsparseL20bsrxmvn_17_32_kernelILj22E21rocsparse_complex_numIdEllS2_S2_S2_EEvT2_20rocsparse_direction_NS_24const_host_device_scalarIT0_EES3_PKS3_PKT1_SC_S9_PKT3_PKT4_S7_PT5_21rocsparse_index_base_b.numbered_sgpr, 22
	.set _ZN9rocsparseL20bsrxmvn_17_32_kernelILj22E21rocsparse_complex_numIdEllS2_S2_S2_EEvT2_20rocsparse_direction_NS_24const_host_device_scalarIT0_EES3_PKS3_PKT1_SC_S9_PKT3_PKT4_S7_PT5_21rocsparse_index_base_b.num_named_barrier, 0
	.set _ZN9rocsparseL20bsrxmvn_17_32_kernelILj22E21rocsparse_complex_numIdEllS2_S2_S2_EEvT2_20rocsparse_direction_NS_24const_host_device_scalarIT0_EES3_PKS3_PKT1_SC_S9_PKT3_PKT4_S7_PT5_21rocsparse_index_base_b.private_seg_size, 0
	.set _ZN9rocsparseL20bsrxmvn_17_32_kernelILj22E21rocsparse_complex_numIdEllS2_S2_S2_EEvT2_20rocsparse_direction_NS_24const_host_device_scalarIT0_EES3_PKS3_PKT1_SC_S9_PKT3_PKT4_S7_PT5_21rocsparse_index_base_b.uses_vcc, 1
	.set _ZN9rocsparseL20bsrxmvn_17_32_kernelILj22E21rocsparse_complex_numIdEllS2_S2_S2_EEvT2_20rocsparse_direction_NS_24const_host_device_scalarIT0_EES3_PKS3_PKT1_SC_S9_PKT3_PKT4_S7_PT5_21rocsparse_index_base_b.uses_flat_scratch, 0
	.set _ZN9rocsparseL20bsrxmvn_17_32_kernelILj22E21rocsparse_complex_numIdEllS2_S2_S2_EEvT2_20rocsparse_direction_NS_24const_host_device_scalarIT0_EES3_PKS3_PKT1_SC_S9_PKT3_PKT4_S7_PT5_21rocsparse_index_base_b.has_dyn_sized_stack, 0
	.set _ZN9rocsparseL20bsrxmvn_17_32_kernelILj22E21rocsparse_complex_numIdEllS2_S2_S2_EEvT2_20rocsparse_direction_NS_24const_host_device_scalarIT0_EES3_PKS3_PKT1_SC_S9_PKT3_PKT4_S7_PT5_21rocsparse_index_base_b.has_recursion, 0
	.set _ZN9rocsparseL20bsrxmvn_17_32_kernelILj22E21rocsparse_complex_numIdEllS2_S2_S2_EEvT2_20rocsparse_direction_NS_24const_host_device_scalarIT0_EES3_PKS3_PKT1_SC_S9_PKT3_PKT4_S7_PT5_21rocsparse_index_base_b.has_indirect_call, 0
	.section	.AMDGPU.csdata,"",@progbits
; Kernel info:
; codeLenInByte = 1720
; TotalNumSgprs: 26
; NumVgprs: 32
; ScratchSize: 0
; MemoryBound: 1
; FloatMode: 240
; IeeeMode: 1
; LDSByteSize: 7744 bytes/workgroup (compile time only)
; SGPRBlocks: 3
; VGPRBlocks: 7
; NumSGPRsForWavesPerEU: 26
; NumVGPRsForWavesPerEU: 32
; Occupancy: 8
; WaveLimiterHint : 1
; COMPUTE_PGM_RSRC2:SCRATCH_EN: 0
; COMPUTE_PGM_RSRC2:USER_SGPR: 6
; COMPUTE_PGM_RSRC2:TRAP_HANDLER: 0
; COMPUTE_PGM_RSRC2:TGID_X_EN: 1
; COMPUTE_PGM_RSRC2:TGID_Y_EN: 0
; COMPUTE_PGM_RSRC2:TGID_Z_EN: 0
; COMPUTE_PGM_RSRC2:TIDIG_COMP_CNT: 0
	.section	.text._ZN9rocsparseL20bsrxmvn_17_32_kernelILj23E21rocsparse_complex_numIdEllS2_S2_S2_EEvT2_20rocsparse_direction_NS_24const_host_device_scalarIT0_EES3_PKS3_PKT1_SC_S9_PKT3_PKT4_S7_PT5_21rocsparse_index_base_b,"axG",@progbits,_ZN9rocsparseL20bsrxmvn_17_32_kernelILj23E21rocsparse_complex_numIdEllS2_S2_S2_EEvT2_20rocsparse_direction_NS_24const_host_device_scalarIT0_EES3_PKS3_PKT1_SC_S9_PKT3_PKT4_S7_PT5_21rocsparse_index_base_b,comdat
	.globl	_ZN9rocsparseL20bsrxmvn_17_32_kernelILj23E21rocsparse_complex_numIdEllS2_S2_S2_EEvT2_20rocsparse_direction_NS_24const_host_device_scalarIT0_EES3_PKS3_PKT1_SC_S9_PKT3_PKT4_S7_PT5_21rocsparse_index_base_b ; -- Begin function _ZN9rocsparseL20bsrxmvn_17_32_kernelILj23E21rocsparse_complex_numIdEllS2_S2_S2_EEvT2_20rocsparse_direction_NS_24const_host_device_scalarIT0_EES3_PKS3_PKT1_SC_S9_PKT3_PKT4_S7_PT5_21rocsparse_index_base_b
	.p2align	8
	.type	_ZN9rocsparseL20bsrxmvn_17_32_kernelILj23E21rocsparse_complex_numIdEllS2_S2_S2_EEvT2_20rocsparse_direction_NS_24const_host_device_scalarIT0_EES3_PKS3_PKT1_SC_S9_PKT3_PKT4_S7_PT5_21rocsparse_index_base_b,@function
_ZN9rocsparseL20bsrxmvn_17_32_kernelILj23E21rocsparse_complex_numIdEllS2_S2_S2_EEvT2_20rocsparse_direction_NS_24const_host_device_scalarIT0_EES3_PKS3_PKT1_SC_S9_PKT3_PKT4_S7_PT5_21rocsparse_index_base_b: ; @_ZN9rocsparseL20bsrxmvn_17_32_kernelILj23E21rocsparse_complex_numIdEllS2_S2_S2_EEvT2_20rocsparse_direction_NS_24const_host_device_scalarIT0_EES3_PKS3_PKT1_SC_S9_PKT3_PKT4_S7_PT5_21rocsparse_index_base_b
; %bb.0:
	s_load_dwordx2 s[0:1], s[4:5], 0x10
	s_load_dwordx2 s[14:15], s[4:5], 0x70
	s_add_u32 s7, s4, 16
	s_addc_u32 s8, s5, 0
	s_add_u32 s9, s4, 0x58
	s_addc_u32 s10, s5, 0
	s_waitcnt lgkmcnt(0)
	s_bitcmp1_b32 s15, 0
	s_cselect_b32 s1, s8, s1
	s_cselect_b32 s0, s7, s0
	v_mov_b32_e32 v1, s0
	v_mov_b32_e32 v2, s1
	flat_load_dwordx4 v[5:8], v[1:2]
	s_load_dwordx2 s[2:3], s[4:5], 0x58
	s_waitcnt lgkmcnt(0)
	s_cselect_b32 s0, s10, s3
	s_cselect_b32 s1, s9, s2
	v_mov_b32_e32 v1, s1
	v_mov_b32_e32 v2, s0
	flat_load_dwordx4 v[1:4], v[1:2]
	s_waitcnt vmcnt(0)
	v_cmp_eq_f64_e32 vcc, 0, v[5:6]
	v_cmp_eq_f64_e64 s[0:1], 0, v[7:8]
	s_and_b64 s[8:9], vcc, s[0:1]
	s_mov_b64 s[0:1], -1
	s_and_saveexec_b64 s[2:3], s[8:9]
	s_cbranch_execz .LBB182_2
; %bb.1:
	s_waitcnt lgkmcnt(0)
	v_cmp_neq_f64_e32 vcc, 1.0, v[1:2]
	v_cmp_neq_f64_e64 s[0:1], 0, v[3:4]
	s_or_b64 s[0:1], vcc, s[0:1]
	s_orn2_b64 s[0:1], s[0:1], exec
.LBB182_2:
	s_or_b64 exec, exec, s[2:3]
	s_and_saveexec_b64 s[2:3], s[0:1]
	s_cbranch_execz .LBB182_39
; %bb.3:
	s_load_dwordx4 s[0:3], s[4:5], 0x28
	s_load_dwordx2 s[8:9], s[4:5], 0x38
	s_mov_b32 s7, 0
	s_waitcnt lgkmcnt(0)
	s_cmp_eq_u64 s[0:1], 0
	s_cbranch_scc1 .LBB182_5
; %bb.4:
	s_lshl_b64 s[6:7], s[6:7], 3
	s_add_u32 s0, s0, s6
	s_addc_u32 s1, s1, s7
	s_load_dwordx2 s[0:1], s[0:1], 0x0
	s_waitcnt lgkmcnt(0)
	s_sub_u32 s6, s0, s14
	s_subb_u32 s7, s1, 0
.LBB182_5:
	s_load_dword s10, s[4:5], 0x8
	s_load_dwordx2 s[12:13], s[4:5], 0x68
	v_mul_u32_u24_e32 v14, 0xb22, v0
	v_mov_b32_e32 v9, 23
	v_mul_lo_u16_sdwa v9, v14, v9 dst_sel:DWORD dst_unused:UNUSED_PAD src0_sel:WORD_1 src1_sel:DWORD
	s_waitcnt lgkmcnt(0)
	s_cmp_eq_u32 s10, 1
	s_cselect_b64 s[0:1], -1, 0
	s_cmp_lg_u32 s10, 1
	s_cselect_b64 s[16:17], -1, 0
	s_lshl_b64 s[10:11], s[6:7], 3
	s_add_u32 s20, s2, s10
	s_addc_u32 s21, s3, s11
	s_add_u32 s2, s20, 8
	s_addc_u32 s3, s21, 0
	;; [unrolled: 2-line block ×3, first 2 shown]
	s_cmp_eq_u64 s[8:9], 0
	s_cselect_b32 s9, s3, s11
	s_cselect_b32 s8, s2, s10
	s_load_dwordx2 s[2:3], s[8:9], 0x0
	s_load_dwordx2 s[18:19], s[20:21], 0x0
	v_sub_u16_e32 v22, v0, v9
	v_mov_b32_e32 v11, 0
	v_mov_b32_e32 v13, 0
	s_waitcnt lgkmcnt(0)
	v_mov_b32_e32 v10, s3
	v_mov_b32_e32 v9, s2
	v_cmp_ge_i64_e32 vcc, s[18:19], v[9:10]
	v_mov_b32_e32 v9, 0
	v_mov_b32_e32 v12, 0
	v_lshlrev_b32_e32 v21, 4, v0
	v_mov_b32_e32 v10, 0
	s_cbranch_vccnz .LBB182_10
; %bb.6:
	s_load_dwordx2 s[20:21], s[4:5], 0x50
	s_load_dwordx4 s[8:11], s[4:5], 0x40
	s_mov_b32 s4, 0xffff
	s_movk_i32 s5, 0x211
	v_and_b32_sdwa v9, s4, v14 dst_sel:DWORD dst_unused:UNUSED_PAD src0_sel:DWORD src1_sel:WORD_1
	s_sub_u32 s2, s2, s14
	v_subrev_u32_e32 v10, 23, v9
	v_cmp_gt_u32_e32 vcc, s5, v0
	s_subb_u32 s3, s3, 0
	v_cndmask_b32_e32 v9, v10, v9, vcc
	s_sub_u32 s4, s18, s14
	v_cndmask_b32_e64 v12, v22, v9, s[0:1]
	s_subb_u32 s5, s19, 0
	v_lshlrev_b64 v[9:10], 4, v[12:13]
	s_mul_i32 s0, s5, 0x2110
	s_mul_hi_u32 s1, s4, 0x2110
	s_add_i32 s1, s1, s0
	s_mul_i32 s0, s4, 0x2110
	s_waitcnt lgkmcnt(0)
	v_mov_b32_e32 v11, s21
	v_add_co_u32_e32 v13, vcc, s20, v9
	s_add_u32 s0, s10, s0
	v_addc_co_u32_e32 v14, vcc, v11, v10, vcc
	s_addc_u32 s1, s11, s1
	v_mov_b32_e32 v9, s1
	v_add_co_u32_e32 v15, vcc, s0, v21
	v_addc_co_u32_e32 v16, vcc, 0, v9, vcc
	s_movk_i32 s0, 0x210
	v_cmp_lt_u32_e32 vcc, s0, v0
	v_cndmask_b32_e64 v23, 0, 1, vcc
	v_mov_b32_e32 v9, s19
	v_add_co_u32_e32 v10, vcc, s18, v23
	v_addc_co_u32_e32 v11, vcc, 0, v9, vcc
	v_subrev_co_u32_e32 v9, vcc, s14, v10
	v_subbrev_co_u32_e32 v10, vcc, 0, v11, vcc
	v_lshlrev_b64 v[9:10], 3, v[9:10]
	v_mov_b32_e32 v11, s9
	v_add_co_u32_e32 v17, vcc, s8, v9
	v_addc_co_u32_e32 v18, vcc, v11, v10, vcc
	v_mov_b32_e32 v11, 0
	v_mov_b32_e32 v12, 0
	v_mov_b32_e32 v20, s3
	v_mov_b32_e32 v9, v11
	s_movk_i32 s8, 0x170
	v_mov_b32_e32 v19, s2
	v_mov_b32_e32 v10, v12
	s_branch .LBB182_8
.LBB182_7:                              ;   in Loop: Header=BB182_8 Depth=1
	s_or_b64 exec, exec, s[0:1]
	s_add_u32 s4, s4, 1
	s_addc_u32 s5, s5, 0
	v_cmp_lt_i64_e32 vcc, s[4:5], v[19:20]
	v_add_co_u32_e64 v17, s[0:1], 8, v17
	v_addc_co_u32_e64 v18, s[0:1], 0, v18, s[0:1]
	s_cbranch_vccz .LBB182_10
.LBB182_8:                              ; =>This Inner Loop Header: Depth=1
	v_mov_b32_e32 v25, s5
	v_add_co_u32_e32 v24, vcc, s4, v23
	v_addc_co_u32_e32 v25, vcc, 0, v25, vcc
	v_cmp_gt_i64_e32 vcc, s[2:3], v[24:25]
	s_and_saveexec_b64 s[0:1], vcc
	s_cbranch_execz .LBB182_7
; %bb.9:                                ;   in Loop: Header=BB182_8 Depth=1
	global_load_dwordx2 v[24:25], v[17:18], off
	s_waitcnt vmcnt(0)
	v_subrev_co_u32_e32 v24, vcc, s14, v24
	v_mad_u64_u32 v[28:29], s[10:11], v24, s8, v[13:14]
	v_subbrev_co_u32_e32 v25, vcc, 0, v25, vcc
	v_mov_b32_e32 v24, v29
	v_mad_u64_u32 v[29:30], s[10:11], v25, s8, v[24:25]
	global_load_dwordx4 v[24:27], v[15:16], off
	s_nop 0
	global_load_dwordx4 v[28:31], v[28:29], off
	v_add_co_u32_e32 v15, vcc, 0x2110, v15
	v_addc_co_u32_e32 v16, vcc, 0, v16, vcc
	s_waitcnt vmcnt(0)
	v_fma_f64 v[9:10], v[24:25], v[28:29], v[9:10]
	v_fma_f64 v[11:12], v[26:27], v[28:29], v[11:12]
	v_fma_f64 v[9:10], -v[26:27], v[30:31], v[9:10]
	v_fma_f64 v[11:12], v[24:25], v[30:31], v[11:12]
	s_branch .LBB182_7
.LBB182_10:
	s_and_b64 vcc, exec, s[16:17]
	ds_write_b128 v21, v[9:12]
	s_waitcnt lgkmcnt(0)
	s_barrier
	s_cbranch_vccz .LBB182_22
; %bb.11:
	v_cmp_gt_u16_e32 vcc, 7, v22
	s_and_saveexec_b64 s[0:1], vcc
	s_cbranch_execz .LBB182_13
; %bb.12:
	ds_read_b128 v[13:16], v21 offset:256
	ds_read_b128 v[17:20], v21
	s_waitcnt lgkmcnt(0)
	v_add_f64 v[13:14], v[13:14], v[17:18]
	v_add_f64 v[15:16], v[15:16], v[19:20]
	ds_write_b128 v21, v[13:16]
.LBB182_13:
	s_or_b64 exec, exec, s[0:1]
	v_cmp_gt_u16_e32 vcc, 8, v22
	s_waitcnt lgkmcnt(0)
	s_barrier
	s_and_saveexec_b64 s[0:1], vcc
	s_cbranch_execz .LBB182_15
; %bb.14:
	ds_read_b128 v[13:16], v21 offset:128
	ds_read_b128 v[17:20], v21
	s_waitcnt lgkmcnt(0)
	v_add_f64 v[13:14], v[13:14], v[17:18]
	v_add_f64 v[15:16], v[15:16], v[19:20]
	ds_write_b128 v21, v[13:16]
.LBB182_15:
	s_or_b64 exec, exec, s[0:1]
	v_cmp_gt_u16_e32 vcc, 4, v22
	s_waitcnt lgkmcnt(0)
	s_barrier
	s_and_saveexec_b64 s[0:1], vcc
	s_cbranch_execz .LBB182_17
; %bb.16:
	ds_read_b128 v[13:16], v21 offset:64
	ds_read_b128 v[17:20], v21
	s_waitcnt lgkmcnt(0)
	v_add_f64 v[13:14], v[13:14], v[17:18]
	v_add_f64 v[15:16], v[15:16], v[19:20]
	ds_write_b128 v21, v[13:16]
.LBB182_17:
	s_or_b64 exec, exec, s[0:1]
	v_cmp_gt_u16_e32 vcc, 2, v22
	s_waitcnt lgkmcnt(0)
	s_barrier
	s_and_saveexec_b64 s[0:1], vcc
	s_cbranch_execz .LBB182_19
; %bb.18:
	ds_read_b128 v[13:16], v21
	ds_read_b128 v[17:20], v21 offset:32
	s_waitcnt lgkmcnt(0)
	v_add_f64 v[13:14], v[17:18], v[13:14]
	v_add_f64 v[15:16], v[19:20], v[15:16]
	ds_write_b128 v21, v[13:16]
.LBB182_19:
	s_or_b64 exec, exec, s[0:1]
	v_mov_b32_e32 v16, v12
	v_mov_b32_e32 v14, v10
	v_cmp_gt_u32_e32 vcc, 23, v0
	v_mov_b32_e32 v15, v11
	v_mov_b32_e32 v13, v9
	s_waitcnt lgkmcnt(0)
	s_barrier
	s_and_saveexec_b64 s[0:1], vcc
	s_cbranch_execz .LBB182_21
; %bb.20:
	s_movk_i32 s2, 0x160
	v_mad_u32_u24 v17, v0, s2, v21
	ds_read_b128 v[13:16], v17
	ds_read_b128 v[17:20], v17 offset:16
	s_waitcnt lgkmcnt(0)
	v_add_f64 v[13:14], v[17:18], v[13:14]
	v_add_f64 v[15:16], v[19:20], v[15:16]
.LBB182_21:
	s_or_b64 exec, exec, s[0:1]
	s_branch .LBB182_34
.LBB182_22:
                                        ; implicit-def: $vgpr15_vgpr16
                                        ; implicit-def: $vgpr13_vgpr14
	s_cbranch_execz .LBB182_34
; %bb.23:
	s_movk_i32 s0, 0xa1
	v_cmp_gt_u32_e32 vcc, s0, v0
	s_and_saveexec_b64 s[0:1], vcc
	s_cbranch_execz .LBB182_25
; %bb.24:
	ds_read_b128 v[13:16], v21 offset:5888
	ds_read_b128 v[17:20], v21
	s_waitcnt lgkmcnt(0)
	v_add_f64 v[13:14], v[13:14], v[17:18]
	v_add_f64 v[15:16], v[15:16], v[19:20]
	ds_write_b128 v21, v[13:16]
.LBB182_25:
	s_or_b64 exec, exec, s[0:1]
	s_movk_i32 s0, 0xb8
	v_cmp_gt_u32_e32 vcc, s0, v0
	s_waitcnt lgkmcnt(0)
	s_barrier
	s_and_saveexec_b64 s[0:1], vcc
	s_cbranch_execz .LBB182_27
; %bb.26:
	ds_read_b128 v[13:16], v21 offset:2944
	ds_read_b128 v[17:20], v21
	s_waitcnt lgkmcnt(0)
	v_add_f64 v[13:14], v[13:14], v[17:18]
	v_add_f64 v[15:16], v[15:16], v[19:20]
	ds_write_b128 v21, v[13:16]
.LBB182_27:
	s_or_b64 exec, exec, s[0:1]
	s_movk_i32 s0, 0x5c
	v_cmp_gt_u32_e32 vcc, s0, v0
	s_waitcnt lgkmcnt(0)
	s_barrier
	s_and_saveexec_b64 s[0:1], vcc
	s_cbranch_execz .LBB182_29
; %bb.28:
	ds_read_b128 v[13:16], v21 offset:1472
	ds_read_b128 v[17:20], v21
	s_waitcnt lgkmcnt(0)
	v_add_f64 v[13:14], v[13:14], v[17:18]
	v_add_f64 v[15:16], v[15:16], v[19:20]
	ds_write_b128 v21, v[13:16]
.LBB182_29:
	s_or_b64 exec, exec, s[0:1]
	v_cmp_gt_u32_e32 vcc, 46, v0
	s_waitcnt lgkmcnt(0)
	s_barrier
	s_and_saveexec_b64 s[0:1], vcc
	s_cbranch_execz .LBB182_31
; %bb.30:
	ds_read_b128 v[13:16], v21 offset:736
	ds_read_b128 v[17:20], v21
	s_waitcnt lgkmcnt(0)
	v_add_f64 v[13:14], v[13:14], v[17:18]
	v_add_f64 v[15:16], v[15:16], v[19:20]
	ds_write_b128 v21, v[13:16]
.LBB182_31:
	s_or_b64 exec, exec, s[0:1]
	v_cmp_gt_u32_e32 vcc, 23, v0
	s_waitcnt lgkmcnt(0)
	s_and_saveexec_b64 s[0:1], vcc
	s_cbranch_execz .LBB182_33
; %bb.32:
	ds_read_b128 v[9:12], v21 offset:368
	ds_read_b128 v[13:16], v21
	s_waitcnt lgkmcnt(0)
	v_add_f64 v[9:10], v[9:10], v[13:14]
	v_add_f64 v[11:12], v[11:12], v[15:16]
.LBB182_33:
	s_or_b64 exec, exec, s[0:1]
	v_mov_b32_e32 v16, v12
	v_mov_b32_e32 v14, v10
	;; [unrolled: 1-line block ×4, first 2 shown]
.LBB182_34:
	v_cmp_gt_u32_e32 vcc, 23, v0
	s_and_b64 exec, exec, vcc
	s_cbranch_execz .LBB182_39
; %bb.35:
	v_mul_f64 v[9:10], v[15:16], -v[7:8]
	v_mul_f64 v[11:12], v[5:6], v[15:16]
	v_cmp_eq_f64_e32 vcc, 0, v[1:2]
	v_cmp_eq_f64_e64 s[0:1], 0, v[3:4]
	s_mul_i32 s2, s7, 0x170
	s_mul_hi_u32 s3, s6, 0x170
	s_mul_i32 s4, s6, 0x170
	v_fma_f64 v[5:6], v[5:6], v[13:14], v[9:10]
	v_fma_f64 v[7:8], v[7:8], v[13:14], v[11:12]
	s_and_b64 s[0:1], vcc, s[0:1]
	s_and_saveexec_b64 s[6:7], s[0:1]
	s_xor_b64 s[0:1], exec, s[6:7]
	s_cbranch_execz .LBB182_37
; %bb.36:
	s_add_i32 s5, s3, s2
	s_add_u32 s6, s12, s4
	s_addc_u32 s7, s13, s5
	global_store_dwordx4 v21, v[5:8], s[6:7]
                                        ; implicit-def: $vgpr21
                                        ; implicit-def: $vgpr1_vgpr2
                                        ; implicit-def: $vgpr5_vgpr6
.LBB182_37:
	s_andn2_saveexec_b64 s[0:1], s[0:1]
	s_cbranch_execz .LBB182_39
; %bb.38:
	s_add_i32 s3, s3, s2
	s_add_u32 s0, s12, s4
	s_addc_u32 s1, s13, s3
	global_load_dwordx4 v[9:12], v21, s[0:1]
	s_waitcnt vmcnt(0)
	v_fma_f64 v[5:6], v[1:2], v[9:10], v[5:6]
	v_fma_f64 v[7:8], v[3:4], v[9:10], v[7:8]
	v_fma_f64 v[3:4], -v[3:4], v[11:12], v[5:6]
	v_fma_f64 v[5:6], v[1:2], v[11:12], v[7:8]
	global_store_dwordx4 v21, v[3:6], s[0:1]
.LBB182_39:
	s_endpgm
	.section	.rodata,"a",@progbits
	.p2align	6, 0x0
	.amdhsa_kernel _ZN9rocsparseL20bsrxmvn_17_32_kernelILj23E21rocsparse_complex_numIdEllS2_S2_S2_EEvT2_20rocsparse_direction_NS_24const_host_device_scalarIT0_EES3_PKS3_PKT1_SC_S9_PKT3_PKT4_S7_PT5_21rocsparse_index_base_b
		.amdhsa_group_segment_fixed_size 8464
		.amdhsa_private_segment_fixed_size 0
		.amdhsa_kernarg_size 120
		.amdhsa_user_sgpr_count 6
		.amdhsa_user_sgpr_private_segment_buffer 1
		.amdhsa_user_sgpr_dispatch_ptr 0
		.amdhsa_user_sgpr_queue_ptr 0
		.amdhsa_user_sgpr_kernarg_segment_ptr 1
		.amdhsa_user_sgpr_dispatch_id 0
		.amdhsa_user_sgpr_flat_scratch_init 0
		.amdhsa_user_sgpr_private_segment_size 0
		.amdhsa_uses_dynamic_stack 0
		.amdhsa_system_sgpr_private_segment_wavefront_offset 0
		.amdhsa_system_sgpr_workgroup_id_x 1
		.amdhsa_system_sgpr_workgroup_id_y 0
		.amdhsa_system_sgpr_workgroup_id_z 0
		.amdhsa_system_sgpr_workgroup_info 0
		.amdhsa_system_vgpr_workitem_id 0
		.amdhsa_next_free_vgpr 32
		.amdhsa_next_free_sgpr 61
		.amdhsa_reserve_vcc 1
		.amdhsa_reserve_flat_scratch 0
		.amdhsa_float_round_mode_32 0
		.amdhsa_float_round_mode_16_64 0
		.amdhsa_float_denorm_mode_32 3
		.amdhsa_float_denorm_mode_16_64 3
		.amdhsa_dx10_clamp 1
		.amdhsa_ieee_mode 1
		.amdhsa_fp16_overflow 0
		.amdhsa_exception_fp_ieee_invalid_op 0
		.amdhsa_exception_fp_denorm_src 0
		.amdhsa_exception_fp_ieee_div_zero 0
		.amdhsa_exception_fp_ieee_overflow 0
		.amdhsa_exception_fp_ieee_underflow 0
		.amdhsa_exception_fp_ieee_inexact 0
		.amdhsa_exception_int_div_zero 0
	.end_amdhsa_kernel
	.section	.text._ZN9rocsparseL20bsrxmvn_17_32_kernelILj23E21rocsparse_complex_numIdEllS2_S2_S2_EEvT2_20rocsparse_direction_NS_24const_host_device_scalarIT0_EES3_PKS3_PKT1_SC_S9_PKT3_PKT4_S7_PT5_21rocsparse_index_base_b,"axG",@progbits,_ZN9rocsparseL20bsrxmvn_17_32_kernelILj23E21rocsparse_complex_numIdEllS2_S2_S2_EEvT2_20rocsparse_direction_NS_24const_host_device_scalarIT0_EES3_PKS3_PKT1_SC_S9_PKT3_PKT4_S7_PT5_21rocsparse_index_base_b,comdat
.Lfunc_end182:
	.size	_ZN9rocsparseL20bsrxmvn_17_32_kernelILj23E21rocsparse_complex_numIdEllS2_S2_S2_EEvT2_20rocsparse_direction_NS_24const_host_device_scalarIT0_EES3_PKS3_PKT1_SC_S9_PKT3_PKT4_S7_PT5_21rocsparse_index_base_b, .Lfunc_end182-_ZN9rocsparseL20bsrxmvn_17_32_kernelILj23E21rocsparse_complex_numIdEllS2_S2_S2_EEvT2_20rocsparse_direction_NS_24const_host_device_scalarIT0_EES3_PKS3_PKT1_SC_S9_PKT3_PKT4_S7_PT5_21rocsparse_index_base_b
                                        ; -- End function
	.set _ZN9rocsparseL20bsrxmvn_17_32_kernelILj23E21rocsparse_complex_numIdEllS2_S2_S2_EEvT2_20rocsparse_direction_NS_24const_host_device_scalarIT0_EES3_PKS3_PKT1_SC_S9_PKT3_PKT4_S7_PT5_21rocsparse_index_base_b.num_vgpr, 32
	.set _ZN9rocsparseL20bsrxmvn_17_32_kernelILj23E21rocsparse_complex_numIdEllS2_S2_S2_EEvT2_20rocsparse_direction_NS_24const_host_device_scalarIT0_EES3_PKS3_PKT1_SC_S9_PKT3_PKT4_S7_PT5_21rocsparse_index_base_b.num_agpr, 0
	.set _ZN9rocsparseL20bsrxmvn_17_32_kernelILj23E21rocsparse_complex_numIdEllS2_S2_S2_EEvT2_20rocsparse_direction_NS_24const_host_device_scalarIT0_EES3_PKS3_PKT1_SC_S9_PKT3_PKT4_S7_PT5_21rocsparse_index_base_b.numbered_sgpr, 22
	.set _ZN9rocsparseL20bsrxmvn_17_32_kernelILj23E21rocsparse_complex_numIdEllS2_S2_S2_EEvT2_20rocsparse_direction_NS_24const_host_device_scalarIT0_EES3_PKS3_PKT1_SC_S9_PKT3_PKT4_S7_PT5_21rocsparse_index_base_b.num_named_barrier, 0
	.set _ZN9rocsparseL20bsrxmvn_17_32_kernelILj23E21rocsparse_complex_numIdEllS2_S2_S2_EEvT2_20rocsparse_direction_NS_24const_host_device_scalarIT0_EES3_PKS3_PKT1_SC_S9_PKT3_PKT4_S7_PT5_21rocsparse_index_base_b.private_seg_size, 0
	.set _ZN9rocsparseL20bsrxmvn_17_32_kernelILj23E21rocsparse_complex_numIdEllS2_S2_S2_EEvT2_20rocsparse_direction_NS_24const_host_device_scalarIT0_EES3_PKS3_PKT1_SC_S9_PKT3_PKT4_S7_PT5_21rocsparse_index_base_b.uses_vcc, 1
	.set _ZN9rocsparseL20bsrxmvn_17_32_kernelILj23E21rocsparse_complex_numIdEllS2_S2_S2_EEvT2_20rocsparse_direction_NS_24const_host_device_scalarIT0_EES3_PKS3_PKT1_SC_S9_PKT3_PKT4_S7_PT5_21rocsparse_index_base_b.uses_flat_scratch, 0
	.set _ZN9rocsparseL20bsrxmvn_17_32_kernelILj23E21rocsparse_complex_numIdEllS2_S2_S2_EEvT2_20rocsparse_direction_NS_24const_host_device_scalarIT0_EES3_PKS3_PKT1_SC_S9_PKT3_PKT4_S7_PT5_21rocsparse_index_base_b.has_dyn_sized_stack, 0
	.set _ZN9rocsparseL20bsrxmvn_17_32_kernelILj23E21rocsparse_complex_numIdEllS2_S2_S2_EEvT2_20rocsparse_direction_NS_24const_host_device_scalarIT0_EES3_PKS3_PKT1_SC_S9_PKT3_PKT4_S7_PT5_21rocsparse_index_base_b.has_recursion, 0
	.set _ZN9rocsparseL20bsrxmvn_17_32_kernelILj23E21rocsparse_complex_numIdEllS2_S2_S2_EEvT2_20rocsparse_direction_NS_24const_host_device_scalarIT0_EES3_PKS3_PKT1_SC_S9_PKT3_PKT4_S7_PT5_21rocsparse_index_base_b.has_indirect_call, 0
	.section	.AMDGPU.csdata,"",@progbits
; Kernel info:
; codeLenInByte = 1724
; TotalNumSgprs: 26
; NumVgprs: 32
; ScratchSize: 0
; MemoryBound: 1
; FloatMode: 240
; IeeeMode: 1
; LDSByteSize: 8464 bytes/workgroup (compile time only)
; SGPRBlocks: 8
; VGPRBlocks: 7
; NumSGPRsForWavesPerEU: 65
; NumVGPRsForWavesPerEU: 32
; Occupancy: 8
; WaveLimiterHint : 1
; COMPUTE_PGM_RSRC2:SCRATCH_EN: 0
; COMPUTE_PGM_RSRC2:USER_SGPR: 6
; COMPUTE_PGM_RSRC2:TRAP_HANDLER: 0
; COMPUTE_PGM_RSRC2:TGID_X_EN: 1
; COMPUTE_PGM_RSRC2:TGID_Y_EN: 0
; COMPUTE_PGM_RSRC2:TGID_Z_EN: 0
; COMPUTE_PGM_RSRC2:TIDIG_COMP_CNT: 0
	.section	.text._ZN9rocsparseL20bsrxmvn_17_32_kernelILj24E21rocsparse_complex_numIdEllS2_S2_S2_EEvT2_20rocsparse_direction_NS_24const_host_device_scalarIT0_EES3_PKS3_PKT1_SC_S9_PKT3_PKT4_S7_PT5_21rocsparse_index_base_b,"axG",@progbits,_ZN9rocsparseL20bsrxmvn_17_32_kernelILj24E21rocsparse_complex_numIdEllS2_S2_S2_EEvT2_20rocsparse_direction_NS_24const_host_device_scalarIT0_EES3_PKS3_PKT1_SC_S9_PKT3_PKT4_S7_PT5_21rocsparse_index_base_b,comdat
	.globl	_ZN9rocsparseL20bsrxmvn_17_32_kernelILj24E21rocsparse_complex_numIdEllS2_S2_S2_EEvT2_20rocsparse_direction_NS_24const_host_device_scalarIT0_EES3_PKS3_PKT1_SC_S9_PKT3_PKT4_S7_PT5_21rocsparse_index_base_b ; -- Begin function _ZN9rocsparseL20bsrxmvn_17_32_kernelILj24E21rocsparse_complex_numIdEllS2_S2_S2_EEvT2_20rocsparse_direction_NS_24const_host_device_scalarIT0_EES3_PKS3_PKT1_SC_S9_PKT3_PKT4_S7_PT5_21rocsparse_index_base_b
	.p2align	8
	.type	_ZN9rocsparseL20bsrxmvn_17_32_kernelILj24E21rocsparse_complex_numIdEllS2_S2_S2_EEvT2_20rocsparse_direction_NS_24const_host_device_scalarIT0_EES3_PKS3_PKT1_SC_S9_PKT3_PKT4_S7_PT5_21rocsparse_index_base_b,@function
_ZN9rocsparseL20bsrxmvn_17_32_kernelILj24E21rocsparse_complex_numIdEllS2_S2_S2_EEvT2_20rocsparse_direction_NS_24const_host_device_scalarIT0_EES3_PKS3_PKT1_SC_S9_PKT3_PKT4_S7_PT5_21rocsparse_index_base_b: ; @_ZN9rocsparseL20bsrxmvn_17_32_kernelILj24E21rocsparse_complex_numIdEllS2_S2_S2_EEvT2_20rocsparse_direction_NS_24const_host_device_scalarIT0_EES3_PKS3_PKT1_SC_S9_PKT3_PKT4_S7_PT5_21rocsparse_index_base_b
; %bb.0:
	s_load_dwordx2 s[0:1], s[4:5], 0x10
	s_load_dwordx2 s[14:15], s[4:5], 0x70
	s_add_u32 s7, s4, 16
	s_addc_u32 s8, s5, 0
	s_add_u32 s9, s4, 0x58
	s_addc_u32 s10, s5, 0
	s_waitcnt lgkmcnt(0)
	s_bitcmp1_b32 s15, 0
	s_cselect_b32 s1, s8, s1
	s_cselect_b32 s0, s7, s0
	v_mov_b32_e32 v1, s0
	v_mov_b32_e32 v2, s1
	flat_load_dwordx4 v[5:8], v[1:2]
	s_load_dwordx2 s[2:3], s[4:5], 0x58
	s_waitcnt lgkmcnt(0)
	s_cselect_b32 s0, s10, s3
	s_cselect_b32 s1, s9, s2
	v_mov_b32_e32 v1, s1
	v_mov_b32_e32 v2, s0
	flat_load_dwordx4 v[1:4], v[1:2]
	s_waitcnt vmcnt(0)
	v_cmp_eq_f64_e32 vcc, 0, v[5:6]
	v_cmp_eq_f64_e64 s[0:1], 0, v[7:8]
	s_and_b64 s[8:9], vcc, s[0:1]
	s_mov_b64 s[0:1], -1
	s_and_saveexec_b64 s[2:3], s[8:9]
	s_cbranch_execz .LBB183_2
; %bb.1:
	s_waitcnt lgkmcnt(0)
	v_cmp_neq_f64_e32 vcc, 1.0, v[1:2]
	v_cmp_neq_f64_e64 s[0:1], 0, v[3:4]
	s_or_b64 s[0:1], vcc, s[0:1]
	s_orn2_b64 s[0:1], s[0:1], exec
.LBB183_2:
	s_or_b64 exec, exec, s[2:3]
	s_and_saveexec_b64 s[2:3], s[0:1]
	s_cbranch_execz .LBB183_39
; %bb.3:
	s_load_dwordx4 s[0:3], s[4:5], 0x28
	s_load_dwordx2 s[8:9], s[4:5], 0x38
	s_mov_b32 s7, 0
	s_waitcnt lgkmcnt(0)
	s_cmp_eq_u64 s[0:1], 0
	s_cbranch_scc1 .LBB183_5
; %bb.4:
	s_lshl_b64 s[6:7], s[6:7], 3
	s_add_u32 s0, s0, s6
	s_addc_u32 s1, s1, s7
	s_load_dwordx2 s[0:1], s[0:1], 0x0
	s_waitcnt lgkmcnt(0)
	s_sub_u32 s6, s0, s14
	s_subb_u32 s7, s1, 0
.LBB183_5:
	s_load_dword s10, s[4:5], 0x8
	s_load_dwordx2 s[12:13], s[4:5], 0x68
	v_mul_u32_u24_e32 v14, 0xaab, v0
	v_mov_b32_e32 v9, 24
	v_mul_lo_u16_sdwa v9, v14, v9 dst_sel:DWORD dst_unused:UNUSED_PAD src0_sel:WORD_1 src1_sel:DWORD
	s_waitcnt lgkmcnt(0)
	s_cmp_eq_u32 s10, 1
	s_cselect_b64 s[0:1], -1, 0
	s_cmp_lg_u32 s10, 1
	s_cselect_b64 s[16:17], -1, 0
	s_lshl_b64 s[10:11], s[6:7], 3
	s_add_u32 s20, s2, s10
	s_addc_u32 s21, s3, s11
	s_add_u32 s2, s20, 8
	s_addc_u32 s3, s21, 0
	;; [unrolled: 2-line block ×3, first 2 shown]
	s_cmp_eq_u64 s[8:9], 0
	s_cselect_b32 s9, s3, s11
	s_cselect_b32 s8, s2, s10
	s_load_dwordx2 s[2:3], s[8:9], 0x0
	s_load_dwordx2 s[18:19], s[20:21], 0x0
	v_sub_u16_e32 v22, v0, v9
	v_mov_b32_e32 v11, 0
	v_mov_b32_e32 v13, 0
	s_waitcnt lgkmcnt(0)
	v_mov_b32_e32 v10, s3
	v_mov_b32_e32 v9, s2
	v_cmp_ge_i64_e32 vcc, s[18:19], v[9:10]
	v_mov_b32_e32 v9, 0
	v_mov_b32_e32 v12, 0
	v_lshlrev_b32_e32 v21, 4, v0
	v_mov_b32_e32 v10, 0
	s_cbranch_vccnz .LBB183_10
; %bb.6:
	s_load_dwordx2 s[20:21], s[4:5], 0x50
	s_load_dwordx4 s[8:11], s[4:5], 0x40
	s_mov_b32 s4, 0xffff
	s_movk_i32 s5, 0x240
	v_and_b32_sdwa v9, s4, v14 dst_sel:DWORD dst_unused:UNUSED_PAD src0_sel:DWORD src1_sel:WORD_1
	s_sub_u32 s2, s2, s14
	v_subrev_u32_e32 v10, 24, v9
	v_cmp_gt_u32_e32 vcc, s5, v0
	s_subb_u32 s3, s3, 0
	v_cndmask_b32_e32 v9, v10, v9, vcc
	s_sub_u32 s4, s18, s14
	v_cndmask_b32_e64 v12, v22, v9, s[0:1]
	s_subb_u32 s5, s19, 0
	v_lshlrev_b64 v[9:10], 4, v[12:13]
	s_mul_i32 s0, s5, 0x2400
	s_mul_hi_u32 s1, s4, 0x2400
	s_add_i32 s1, s1, s0
	s_mul_i32 s0, s4, 0x2400
	s_waitcnt lgkmcnt(0)
	v_mov_b32_e32 v11, s21
	v_add_co_u32_e32 v13, vcc, s20, v9
	s_add_u32 s0, s10, s0
	v_addc_co_u32_e32 v14, vcc, v11, v10, vcc
	s_addc_u32 s1, s11, s1
	v_mov_b32_e32 v9, s1
	v_add_co_u32_e32 v15, vcc, s0, v21
	v_addc_co_u32_e32 v16, vcc, 0, v9, vcc
	s_movk_i32 s0, 0x23f
	v_cmp_lt_u32_e32 vcc, s0, v0
	v_cndmask_b32_e64 v23, 0, 1, vcc
	v_mov_b32_e32 v9, s19
	v_add_co_u32_e32 v10, vcc, s18, v23
	v_addc_co_u32_e32 v11, vcc, 0, v9, vcc
	v_subrev_co_u32_e32 v9, vcc, s14, v10
	v_subbrev_co_u32_e32 v10, vcc, 0, v11, vcc
	v_lshlrev_b64 v[9:10], 3, v[9:10]
	v_mov_b32_e32 v11, s9
	v_add_co_u32_e32 v17, vcc, s8, v9
	v_addc_co_u32_e32 v18, vcc, v11, v10, vcc
	v_mov_b32_e32 v11, 0
	v_mov_b32_e32 v12, 0
	;; [unrolled: 1-line block ×4, first 2 shown]
	s_movk_i32 s8, 0x180
	v_mov_b32_e32 v19, s2
	v_mov_b32_e32 v10, v12
	s_branch .LBB183_8
.LBB183_7:                              ;   in Loop: Header=BB183_8 Depth=1
	s_or_b64 exec, exec, s[0:1]
	s_add_u32 s4, s4, 1
	s_addc_u32 s5, s5, 0
	v_cmp_lt_i64_e32 vcc, s[4:5], v[19:20]
	v_add_co_u32_e64 v17, s[0:1], 8, v17
	v_addc_co_u32_e64 v18, s[0:1], 0, v18, s[0:1]
	s_cbranch_vccz .LBB183_10
.LBB183_8:                              ; =>This Inner Loop Header: Depth=1
	v_mov_b32_e32 v25, s5
	v_add_co_u32_e32 v24, vcc, s4, v23
	v_addc_co_u32_e32 v25, vcc, 0, v25, vcc
	v_cmp_gt_i64_e32 vcc, s[2:3], v[24:25]
	s_and_saveexec_b64 s[0:1], vcc
	s_cbranch_execz .LBB183_7
; %bb.9:                                ;   in Loop: Header=BB183_8 Depth=1
	global_load_dwordx2 v[24:25], v[17:18], off
	s_waitcnt vmcnt(0)
	v_subrev_co_u32_e32 v24, vcc, s14, v24
	v_mad_u64_u32 v[28:29], s[10:11], v24, s8, v[13:14]
	v_subbrev_co_u32_e32 v25, vcc, 0, v25, vcc
	v_mov_b32_e32 v24, v29
	v_mad_u64_u32 v[29:30], s[10:11], v25, s8, v[24:25]
	global_load_dwordx4 v[24:27], v[15:16], off
	s_nop 0
	global_load_dwordx4 v[28:31], v[28:29], off
	v_add_co_u32_e32 v15, vcc, 0x2400, v15
	v_addc_co_u32_e32 v16, vcc, 0, v16, vcc
	s_waitcnt vmcnt(0)
	v_fma_f64 v[9:10], v[24:25], v[28:29], v[9:10]
	v_fma_f64 v[11:12], v[26:27], v[28:29], v[11:12]
	v_fma_f64 v[9:10], -v[26:27], v[30:31], v[9:10]
	v_fma_f64 v[11:12], v[24:25], v[30:31], v[11:12]
	s_branch .LBB183_7
.LBB183_10:
	s_and_b64 vcc, exec, s[16:17]
	ds_write_b128 v21, v[9:12]
	s_waitcnt lgkmcnt(0)
	s_barrier
	s_cbranch_vccz .LBB183_22
; %bb.11:
	v_cmp_gt_u16_e32 vcc, 8, v22
	s_and_saveexec_b64 s[0:1], vcc
	s_cbranch_execz .LBB183_13
; %bb.12:
	ds_read_b128 v[13:16], v21 offset:256
	ds_read_b128 v[17:20], v21
	s_waitcnt lgkmcnt(0)
	v_add_f64 v[13:14], v[13:14], v[17:18]
	v_add_f64 v[15:16], v[15:16], v[19:20]
	ds_write_b128 v21, v[13:16]
.LBB183_13:
	s_or_b64 exec, exec, s[0:1]
	s_waitcnt lgkmcnt(0)
	s_barrier
	s_and_saveexec_b64 s[0:1], vcc
	s_cbranch_execz .LBB183_15
; %bb.14:
	ds_read_b128 v[13:16], v21 offset:128
	ds_read_b128 v[17:20], v21
	s_waitcnt lgkmcnt(0)
	v_add_f64 v[13:14], v[13:14], v[17:18]
	v_add_f64 v[15:16], v[15:16], v[19:20]
	ds_write_b128 v21, v[13:16]
.LBB183_15:
	s_or_b64 exec, exec, s[0:1]
	v_cmp_gt_u16_e32 vcc, 4, v22
	s_waitcnt lgkmcnt(0)
	s_barrier
	s_and_saveexec_b64 s[0:1], vcc
	s_cbranch_execz .LBB183_17
; %bb.16:
	ds_read_b128 v[13:16], v21 offset:64
	ds_read_b128 v[17:20], v21
	s_waitcnt lgkmcnt(0)
	v_add_f64 v[13:14], v[13:14], v[17:18]
	v_add_f64 v[15:16], v[15:16], v[19:20]
	ds_write_b128 v21, v[13:16]
.LBB183_17:
	s_or_b64 exec, exec, s[0:1]
	v_cmp_gt_u16_e32 vcc, 2, v22
	s_waitcnt lgkmcnt(0)
	s_barrier
	s_and_saveexec_b64 s[0:1], vcc
	s_cbranch_execz .LBB183_19
; %bb.18:
	ds_read_b128 v[13:16], v21
	ds_read_b128 v[17:20], v21 offset:32
	s_waitcnt lgkmcnt(0)
	v_add_f64 v[13:14], v[17:18], v[13:14]
	v_add_f64 v[15:16], v[19:20], v[15:16]
	ds_write_b128 v21, v[13:16]
.LBB183_19:
	s_or_b64 exec, exec, s[0:1]
	v_mov_b32_e32 v16, v12
	v_mov_b32_e32 v14, v10
	v_cmp_gt_u32_e32 vcc, 24, v0
	v_mov_b32_e32 v15, v11
	v_mov_b32_e32 v13, v9
	s_waitcnt lgkmcnt(0)
	s_barrier
	s_and_saveexec_b64 s[0:1], vcc
	s_cbranch_execz .LBB183_21
; %bb.20:
	s_movk_i32 s2, 0x170
	v_mad_u32_u24 v17, v0, s2, v21
	ds_read_b128 v[13:16], v17
	ds_read_b128 v[17:20], v17 offset:16
	s_waitcnt lgkmcnt(0)
	v_add_f64 v[13:14], v[17:18], v[13:14]
	v_add_f64 v[15:16], v[19:20], v[15:16]
.LBB183_21:
	s_or_b64 exec, exec, s[0:1]
	s_branch .LBB183_34
.LBB183_22:
                                        ; implicit-def: $vgpr15_vgpr16
                                        ; implicit-def: $vgpr13_vgpr14
	s_cbranch_execz .LBB183_34
; %bb.23:
	s_movk_i32 s0, 0xc0
	v_cmp_gt_u32_e32 vcc, s0, v0
	s_and_saveexec_b64 s[0:1], vcc
	s_cbranch_execz .LBB183_25
; %bb.24:
	ds_read_b128 v[13:16], v21 offset:6144
	ds_read_b128 v[17:20], v21
	s_waitcnt lgkmcnt(0)
	v_add_f64 v[13:14], v[13:14], v[17:18]
	v_add_f64 v[15:16], v[15:16], v[19:20]
	ds_write_b128 v21, v[13:16]
.LBB183_25:
	s_or_b64 exec, exec, s[0:1]
	s_waitcnt lgkmcnt(0)
	s_barrier
	s_and_saveexec_b64 s[0:1], vcc
	s_cbranch_execz .LBB183_27
; %bb.26:
	ds_read_b128 v[13:16], v21 offset:3072
	ds_read_b128 v[17:20], v21
	s_waitcnt lgkmcnt(0)
	v_add_f64 v[13:14], v[13:14], v[17:18]
	v_add_f64 v[15:16], v[15:16], v[19:20]
	ds_write_b128 v21, v[13:16]
.LBB183_27:
	s_or_b64 exec, exec, s[0:1]
	s_movk_i32 s0, 0x60
	v_cmp_gt_u32_e32 vcc, s0, v0
	s_waitcnt lgkmcnt(0)
	s_barrier
	s_and_saveexec_b64 s[0:1], vcc
	s_cbranch_execz .LBB183_29
; %bb.28:
	ds_read_b128 v[13:16], v21 offset:1536
	ds_read_b128 v[17:20], v21
	s_waitcnt lgkmcnt(0)
	v_add_f64 v[13:14], v[13:14], v[17:18]
	v_add_f64 v[15:16], v[15:16], v[19:20]
	ds_write_b128 v21, v[13:16]
.LBB183_29:
	s_or_b64 exec, exec, s[0:1]
	v_cmp_gt_u32_e32 vcc, 48, v0
	s_waitcnt lgkmcnt(0)
	s_barrier
	s_and_saveexec_b64 s[0:1], vcc
	s_cbranch_execz .LBB183_31
; %bb.30:
	ds_read_b128 v[13:16], v21 offset:768
	ds_read_b128 v[17:20], v21
	s_waitcnt lgkmcnt(0)
	v_add_f64 v[13:14], v[13:14], v[17:18]
	v_add_f64 v[15:16], v[15:16], v[19:20]
	ds_write_b128 v21, v[13:16]
.LBB183_31:
	s_or_b64 exec, exec, s[0:1]
	v_cmp_gt_u32_e32 vcc, 24, v0
	s_waitcnt lgkmcnt(0)
	s_and_saveexec_b64 s[0:1], vcc
	s_cbranch_execz .LBB183_33
; %bb.32:
	ds_read_b128 v[9:12], v21 offset:384
	ds_read_b128 v[13:16], v21
	s_waitcnt lgkmcnt(0)
	v_add_f64 v[9:10], v[9:10], v[13:14]
	v_add_f64 v[11:12], v[11:12], v[15:16]
.LBB183_33:
	s_or_b64 exec, exec, s[0:1]
	v_mov_b32_e32 v16, v12
	v_mov_b32_e32 v14, v10
	;; [unrolled: 1-line block ×4, first 2 shown]
.LBB183_34:
	v_cmp_gt_u32_e32 vcc, 24, v0
	s_and_b64 exec, exec, vcc
	s_cbranch_execz .LBB183_39
; %bb.35:
	v_mul_f64 v[9:10], v[15:16], -v[7:8]
	v_mul_f64 v[11:12], v[5:6], v[15:16]
	v_cmp_eq_f64_e32 vcc, 0, v[1:2]
	v_cmp_eq_f64_e64 s[0:1], 0, v[3:4]
	s_mul_i32 s2, s7, 0x180
	s_mul_hi_u32 s3, s6, 0x180
	s_mul_i32 s4, s6, 0x180
	v_fma_f64 v[5:6], v[5:6], v[13:14], v[9:10]
	v_fma_f64 v[7:8], v[7:8], v[13:14], v[11:12]
	s_and_b64 s[0:1], vcc, s[0:1]
	s_and_saveexec_b64 s[6:7], s[0:1]
	s_xor_b64 s[0:1], exec, s[6:7]
	s_cbranch_execz .LBB183_37
; %bb.36:
	s_add_i32 s5, s3, s2
	s_add_u32 s6, s12, s4
	s_addc_u32 s7, s13, s5
	global_store_dwordx4 v21, v[5:8], s[6:7]
                                        ; implicit-def: $vgpr21
                                        ; implicit-def: $vgpr1_vgpr2
                                        ; implicit-def: $vgpr5_vgpr6
.LBB183_37:
	s_andn2_saveexec_b64 s[0:1], s[0:1]
	s_cbranch_execz .LBB183_39
; %bb.38:
	s_add_i32 s3, s3, s2
	s_add_u32 s0, s12, s4
	s_addc_u32 s1, s13, s3
	global_load_dwordx4 v[9:12], v21, s[0:1]
	s_waitcnt vmcnt(0)
	v_fma_f64 v[5:6], v[1:2], v[9:10], v[5:6]
	v_fma_f64 v[7:8], v[3:4], v[9:10], v[7:8]
	v_fma_f64 v[3:4], -v[3:4], v[11:12], v[5:6]
	v_fma_f64 v[5:6], v[1:2], v[11:12], v[7:8]
	global_store_dwordx4 v21, v[3:6], s[0:1]
.LBB183_39:
	s_endpgm
	.section	.rodata,"a",@progbits
	.p2align	6, 0x0
	.amdhsa_kernel _ZN9rocsparseL20bsrxmvn_17_32_kernelILj24E21rocsparse_complex_numIdEllS2_S2_S2_EEvT2_20rocsparse_direction_NS_24const_host_device_scalarIT0_EES3_PKS3_PKT1_SC_S9_PKT3_PKT4_S7_PT5_21rocsparse_index_base_b
		.amdhsa_group_segment_fixed_size 9216
		.amdhsa_private_segment_fixed_size 0
		.amdhsa_kernarg_size 120
		.amdhsa_user_sgpr_count 6
		.amdhsa_user_sgpr_private_segment_buffer 1
		.amdhsa_user_sgpr_dispatch_ptr 0
		.amdhsa_user_sgpr_queue_ptr 0
		.amdhsa_user_sgpr_kernarg_segment_ptr 1
		.amdhsa_user_sgpr_dispatch_id 0
		.amdhsa_user_sgpr_flat_scratch_init 0
		.amdhsa_user_sgpr_private_segment_size 0
		.amdhsa_uses_dynamic_stack 0
		.amdhsa_system_sgpr_private_segment_wavefront_offset 0
		.amdhsa_system_sgpr_workgroup_id_x 1
		.amdhsa_system_sgpr_workgroup_id_y 0
		.amdhsa_system_sgpr_workgroup_id_z 0
		.amdhsa_system_sgpr_workgroup_info 0
		.amdhsa_system_vgpr_workitem_id 0
		.amdhsa_next_free_vgpr 32
		.amdhsa_next_free_sgpr 61
		.amdhsa_reserve_vcc 1
		.amdhsa_reserve_flat_scratch 0
		.amdhsa_float_round_mode_32 0
		.amdhsa_float_round_mode_16_64 0
		.amdhsa_float_denorm_mode_32 3
		.amdhsa_float_denorm_mode_16_64 3
		.amdhsa_dx10_clamp 1
		.amdhsa_ieee_mode 1
		.amdhsa_fp16_overflow 0
		.amdhsa_exception_fp_ieee_invalid_op 0
		.amdhsa_exception_fp_denorm_src 0
		.amdhsa_exception_fp_ieee_div_zero 0
		.amdhsa_exception_fp_ieee_overflow 0
		.amdhsa_exception_fp_ieee_underflow 0
		.amdhsa_exception_fp_ieee_inexact 0
		.amdhsa_exception_int_div_zero 0
	.end_amdhsa_kernel
	.section	.text._ZN9rocsparseL20bsrxmvn_17_32_kernelILj24E21rocsparse_complex_numIdEllS2_S2_S2_EEvT2_20rocsparse_direction_NS_24const_host_device_scalarIT0_EES3_PKS3_PKT1_SC_S9_PKT3_PKT4_S7_PT5_21rocsparse_index_base_b,"axG",@progbits,_ZN9rocsparseL20bsrxmvn_17_32_kernelILj24E21rocsparse_complex_numIdEllS2_S2_S2_EEvT2_20rocsparse_direction_NS_24const_host_device_scalarIT0_EES3_PKS3_PKT1_SC_S9_PKT3_PKT4_S7_PT5_21rocsparse_index_base_b,comdat
.Lfunc_end183:
	.size	_ZN9rocsparseL20bsrxmvn_17_32_kernelILj24E21rocsparse_complex_numIdEllS2_S2_S2_EEvT2_20rocsparse_direction_NS_24const_host_device_scalarIT0_EES3_PKS3_PKT1_SC_S9_PKT3_PKT4_S7_PT5_21rocsparse_index_base_b, .Lfunc_end183-_ZN9rocsparseL20bsrxmvn_17_32_kernelILj24E21rocsparse_complex_numIdEllS2_S2_S2_EEvT2_20rocsparse_direction_NS_24const_host_device_scalarIT0_EES3_PKS3_PKT1_SC_S9_PKT3_PKT4_S7_PT5_21rocsparse_index_base_b
                                        ; -- End function
	.set _ZN9rocsparseL20bsrxmvn_17_32_kernelILj24E21rocsparse_complex_numIdEllS2_S2_S2_EEvT2_20rocsparse_direction_NS_24const_host_device_scalarIT0_EES3_PKS3_PKT1_SC_S9_PKT3_PKT4_S7_PT5_21rocsparse_index_base_b.num_vgpr, 32
	.set _ZN9rocsparseL20bsrxmvn_17_32_kernelILj24E21rocsparse_complex_numIdEllS2_S2_S2_EEvT2_20rocsparse_direction_NS_24const_host_device_scalarIT0_EES3_PKS3_PKT1_SC_S9_PKT3_PKT4_S7_PT5_21rocsparse_index_base_b.num_agpr, 0
	.set _ZN9rocsparseL20bsrxmvn_17_32_kernelILj24E21rocsparse_complex_numIdEllS2_S2_S2_EEvT2_20rocsparse_direction_NS_24const_host_device_scalarIT0_EES3_PKS3_PKT1_SC_S9_PKT3_PKT4_S7_PT5_21rocsparse_index_base_b.numbered_sgpr, 22
	.set _ZN9rocsparseL20bsrxmvn_17_32_kernelILj24E21rocsparse_complex_numIdEllS2_S2_S2_EEvT2_20rocsparse_direction_NS_24const_host_device_scalarIT0_EES3_PKS3_PKT1_SC_S9_PKT3_PKT4_S7_PT5_21rocsparse_index_base_b.num_named_barrier, 0
	.set _ZN9rocsparseL20bsrxmvn_17_32_kernelILj24E21rocsparse_complex_numIdEllS2_S2_S2_EEvT2_20rocsparse_direction_NS_24const_host_device_scalarIT0_EES3_PKS3_PKT1_SC_S9_PKT3_PKT4_S7_PT5_21rocsparse_index_base_b.private_seg_size, 0
	.set _ZN9rocsparseL20bsrxmvn_17_32_kernelILj24E21rocsparse_complex_numIdEllS2_S2_S2_EEvT2_20rocsparse_direction_NS_24const_host_device_scalarIT0_EES3_PKS3_PKT1_SC_S9_PKT3_PKT4_S7_PT5_21rocsparse_index_base_b.uses_vcc, 1
	.set _ZN9rocsparseL20bsrxmvn_17_32_kernelILj24E21rocsparse_complex_numIdEllS2_S2_S2_EEvT2_20rocsparse_direction_NS_24const_host_device_scalarIT0_EES3_PKS3_PKT1_SC_S9_PKT3_PKT4_S7_PT5_21rocsparse_index_base_b.uses_flat_scratch, 0
	.set _ZN9rocsparseL20bsrxmvn_17_32_kernelILj24E21rocsparse_complex_numIdEllS2_S2_S2_EEvT2_20rocsparse_direction_NS_24const_host_device_scalarIT0_EES3_PKS3_PKT1_SC_S9_PKT3_PKT4_S7_PT5_21rocsparse_index_base_b.has_dyn_sized_stack, 0
	.set _ZN9rocsparseL20bsrxmvn_17_32_kernelILj24E21rocsparse_complex_numIdEllS2_S2_S2_EEvT2_20rocsparse_direction_NS_24const_host_device_scalarIT0_EES3_PKS3_PKT1_SC_S9_PKT3_PKT4_S7_PT5_21rocsparse_index_base_b.has_recursion, 0
	.set _ZN9rocsparseL20bsrxmvn_17_32_kernelILj24E21rocsparse_complex_numIdEllS2_S2_S2_EEvT2_20rocsparse_direction_NS_24const_host_device_scalarIT0_EES3_PKS3_PKT1_SC_S9_PKT3_PKT4_S7_PT5_21rocsparse_index_base_b.has_indirect_call, 0
	.section	.AMDGPU.csdata,"",@progbits
; Kernel info:
; codeLenInByte = 1712
; TotalNumSgprs: 26
; NumVgprs: 32
; ScratchSize: 0
; MemoryBound: 1
; FloatMode: 240
; IeeeMode: 1
; LDSByteSize: 9216 bytes/workgroup (compile time only)
; SGPRBlocks: 8
; VGPRBlocks: 7
; NumSGPRsForWavesPerEU: 65
; NumVGPRsForWavesPerEU: 32
; Occupancy: 8
; WaveLimiterHint : 1
; COMPUTE_PGM_RSRC2:SCRATCH_EN: 0
; COMPUTE_PGM_RSRC2:USER_SGPR: 6
; COMPUTE_PGM_RSRC2:TRAP_HANDLER: 0
; COMPUTE_PGM_RSRC2:TGID_X_EN: 1
; COMPUTE_PGM_RSRC2:TGID_Y_EN: 0
; COMPUTE_PGM_RSRC2:TGID_Z_EN: 0
; COMPUTE_PGM_RSRC2:TIDIG_COMP_CNT: 0
	.section	.text._ZN9rocsparseL20bsrxmvn_17_32_kernelILj25E21rocsparse_complex_numIdEllS2_S2_S2_EEvT2_20rocsparse_direction_NS_24const_host_device_scalarIT0_EES3_PKS3_PKT1_SC_S9_PKT3_PKT4_S7_PT5_21rocsparse_index_base_b,"axG",@progbits,_ZN9rocsparseL20bsrxmvn_17_32_kernelILj25E21rocsparse_complex_numIdEllS2_S2_S2_EEvT2_20rocsparse_direction_NS_24const_host_device_scalarIT0_EES3_PKS3_PKT1_SC_S9_PKT3_PKT4_S7_PT5_21rocsparse_index_base_b,comdat
	.globl	_ZN9rocsparseL20bsrxmvn_17_32_kernelILj25E21rocsparse_complex_numIdEllS2_S2_S2_EEvT2_20rocsparse_direction_NS_24const_host_device_scalarIT0_EES3_PKS3_PKT1_SC_S9_PKT3_PKT4_S7_PT5_21rocsparse_index_base_b ; -- Begin function _ZN9rocsparseL20bsrxmvn_17_32_kernelILj25E21rocsparse_complex_numIdEllS2_S2_S2_EEvT2_20rocsparse_direction_NS_24const_host_device_scalarIT0_EES3_PKS3_PKT1_SC_S9_PKT3_PKT4_S7_PT5_21rocsparse_index_base_b
	.p2align	8
	.type	_ZN9rocsparseL20bsrxmvn_17_32_kernelILj25E21rocsparse_complex_numIdEllS2_S2_S2_EEvT2_20rocsparse_direction_NS_24const_host_device_scalarIT0_EES3_PKS3_PKT1_SC_S9_PKT3_PKT4_S7_PT5_21rocsparse_index_base_b,@function
_ZN9rocsparseL20bsrxmvn_17_32_kernelILj25E21rocsparse_complex_numIdEllS2_S2_S2_EEvT2_20rocsparse_direction_NS_24const_host_device_scalarIT0_EES3_PKS3_PKT1_SC_S9_PKT3_PKT4_S7_PT5_21rocsparse_index_base_b: ; @_ZN9rocsparseL20bsrxmvn_17_32_kernelILj25E21rocsparse_complex_numIdEllS2_S2_S2_EEvT2_20rocsparse_direction_NS_24const_host_device_scalarIT0_EES3_PKS3_PKT1_SC_S9_PKT3_PKT4_S7_PT5_21rocsparse_index_base_b
; %bb.0:
	s_load_dwordx2 s[0:1], s[4:5], 0x10
	s_load_dwordx2 s[14:15], s[4:5], 0x70
	s_add_u32 s7, s4, 16
	s_addc_u32 s8, s5, 0
	s_add_u32 s9, s4, 0x58
	s_addc_u32 s10, s5, 0
	s_waitcnt lgkmcnt(0)
	s_bitcmp1_b32 s15, 0
	s_cselect_b32 s1, s8, s1
	s_cselect_b32 s0, s7, s0
	v_mov_b32_e32 v1, s0
	v_mov_b32_e32 v2, s1
	flat_load_dwordx4 v[5:8], v[1:2]
	s_load_dwordx2 s[2:3], s[4:5], 0x58
	s_waitcnt lgkmcnt(0)
	s_cselect_b32 s0, s10, s3
	s_cselect_b32 s1, s9, s2
	v_mov_b32_e32 v1, s1
	v_mov_b32_e32 v2, s0
	flat_load_dwordx4 v[1:4], v[1:2]
	s_waitcnt vmcnt(0)
	v_cmp_eq_f64_e32 vcc, 0, v[5:6]
	v_cmp_eq_f64_e64 s[0:1], 0, v[7:8]
	s_and_b64 s[8:9], vcc, s[0:1]
	s_mov_b64 s[0:1], -1
	s_and_saveexec_b64 s[2:3], s[8:9]
	s_cbranch_execz .LBB184_2
; %bb.1:
	s_waitcnt lgkmcnt(0)
	v_cmp_neq_f64_e32 vcc, 1.0, v[1:2]
	v_cmp_neq_f64_e64 s[0:1], 0, v[3:4]
	s_or_b64 s[0:1], vcc, s[0:1]
	s_orn2_b64 s[0:1], s[0:1], exec
.LBB184_2:
	s_or_b64 exec, exec, s[2:3]
	s_and_saveexec_b64 s[2:3], s[0:1]
	s_cbranch_execz .LBB184_39
; %bb.3:
	s_load_dwordx4 s[0:3], s[4:5], 0x28
	s_load_dwordx2 s[8:9], s[4:5], 0x38
	s_mov_b32 s7, 0
	s_waitcnt lgkmcnt(0)
	s_cmp_eq_u64 s[0:1], 0
	s_cbranch_scc1 .LBB184_5
; %bb.4:
	s_lshl_b64 s[6:7], s[6:7], 3
	s_add_u32 s0, s0, s6
	s_addc_u32 s1, s1, s7
	s_load_dwordx2 s[0:1], s[0:1], 0x0
	s_waitcnt lgkmcnt(0)
	s_sub_u32 s6, s0, s14
	s_subb_u32 s7, s1, 0
.LBB184_5:
	s_load_dword s10, s[4:5], 0x8
	s_load_dwordx2 s[12:13], s[4:5], 0x68
	v_mul_u32_u24_e32 v14, 0xa3e, v0
	v_mov_b32_e32 v9, 25
	v_mul_lo_u16_sdwa v9, v14, v9 dst_sel:DWORD dst_unused:UNUSED_PAD src0_sel:WORD_1 src1_sel:DWORD
	s_waitcnt lgkmcnt(0)
	s_cmp_eq_u32 s10, 1
	s_cselect_b64 s[0:1], -1, 0
	s_cmp_lg_u32 s10, 1
	s_cselect_b64 s[16:17], -1, 0
	s_lshl_b64 s[10:11], s[6:7], 3
	s_add_u32 s20, s2, s10
	s_addc_u32 s21, s3, s11
	s_add_u32 s2, s20, 8
	s_addc_u32 s3, s21, 0
	;; [unrolled: 2-line block ×3, first 2 shown]
	s_cmp_eq_u64 s[8:9], 0
	s_cselect_b32 s9, s3, s11
	s_cselect_b32 s8, s2, s10
	s_load_dwordx2 s[2:3], s[8:9], 0x0
	s_load_dwordx2 s[18:19], s[20:21], 0x0
	v_sub_u16_e32 v22, v0, v9
	v_mov_b32_e32 v11, 0
	v_mov_b32_e32 v13, 0
	s_waitcnt lgkmcnt(0)
	v_mov_b32_e32 v10, s3
	v_mov_b32_e32 v9, s2
	v_cmp_ge_i64_e32 vcc, s[18:19], v[9:10]
	v_mov_b32_e32 v9, 0
	v_mov_b32_e32 v12, 0
	v_lshlrev_b32_e32 v21, 4, v0
	v_mov_b32_e32 v10, 0
	s_cbranch_vccnz .LBB184_10
; %bb.6:
	s_load_dwordx2 s[20:21], s[4:5], 0x50
	s_load_dwordx4 s[8:11], s[4:5], 0x40
	s_mov_b32 s4, 0xffff
	s_movk_i32 s5, 0x271
	v_and_b32_sdwa v9, s4, v14 dst_sel:DWORD dst_unused:UNUSED_PAD src0_sel:DWORD src1_sel:WORD_1
	s_sub_u32 s2, s2, s14
	v_subrev_u32_e32 v10, 25, v9
	v_cmp_gt_u32_e32 vcc, s5, v0
	s_subb_u32 s3, s3, 0
	v_cndmask_b32_e32 v9, v10, v9, vcc
	s_sub_u32 s4, s18, s14
	v_cndmask_b32_e64 v12, v22, v9, s[0:1]
	s_subb_u32 s5, s19, 0
	v_lshlrev_b64 v[9:10], 4, v[12:13]
	s_mul_i32 s0, s5, 0x2710
	s_mul_hi_u32 s1, s4, 0x2710
	s_add_i32 s1, s1, s0
	s_mul_i32 s0, s4, 0x2710
	s_waitcnt lgkmcnt(0)
	v_mov_b32_e32 v11, s21
	v_add_co_u32_e32 v13, vcc, s20, v9
	s_add_u32 s0, s10, s0
	v_addc_co_u32_e32 v14, vcc, v11, v10, vcc
	s_addc_u32 s1, s11, s1
	v_mov_b32_e32 v9, s1
	v_add_co_u32_e32 v15, vcc, s0, v21
	v_addc_co_u32_e32 v16, vcc, 0, v9, vcc
	s_movk_i32 s0, 0x270
	v_cmp_lt_u32_e32 vcc, s0, v0
	v_cndmask_b32_e64 v23, 0, 1, vcc
	v_mov_b32_e32 v9, s19
	v_add_co_u32_e32 v10, vcc, s18, v23
	v_addc_co_u32_e32 v11, vcc, 0, v9, vcc
	v_subrev_co_u32_e32 v9, vcc, s14, v10
	v_subbrev_co_u32_e32 v10, vcc, 0, v11, vcc
	v_lshlrev_b64 v[9:10], 3, v[9:10]
	v_mov_b32_e32 v11, s9
	v_add_co_u32_e32 v17, vcc, s8, v9
	v_addc_co_u32_e32 v18, vcc, v11, v10, vcc
	v_mov_b32_e32 v11, 0
	v_mov_b32_e32 v12, 0
	;; [unrolled: 1-line block ×4, first 2 shown]
	s_movk_i32 s8, 0x190
	v_mov_b32_e32 v19, s2
	v_mov_b32_e32 v10, v12
	s_branch .LBB184_8
.LBB184_7:                              ;   in Loop: Header=BB184_8 Depth=1
	s_or_b64 exec, exec, s[0:1]
	s_add_u32 s4, s4, 1
	s_addc_u32 s5, s5, 0
	v_cmp_lt_i64_e32 vcc, s[4:5], v[19:20]
	v_add_co_u32_e64 v17, s[0:1], 8, v17
	v_addc_co_u32_e64 v18, s[0:1], 0, v18, s[0:1]
	s_cbranch_vccz .LBB184_10
.LBB184_8:                              ; =>This Inner Loop Header: Depth=1
	v_mov_b32_e32 v25, s5
	v_add_co_u32_e32 v24, vcc, s4, v23
	v_addc_co_u32_e32 v25, vcc, 0, v25, vcc
	v_cmp_gt_i64_e32 vcc, s[2:3], v[24:25]
	s_and_saveexec_b64 s[0:1], vcc
	s_cbranch_execz .LBB184_7
; %bb.9:                                ;   in Loop: Header=BB184_8 Depth=1
	global_load_dwordx2 v[24:25], v[17:18], off
	s_waitcnt vmcnt(0)
	v_subrev_co_u32_e32 v24, vcc, s14, v24
	v_mad_u64_u32 v[28:29], s[10:11], v24, s8, v[13:14]
	v_subbrev_co_u32_e32 v25, vcc, 0, v25, vcc
	v_mov_b32_e32 v24, v29
	v_mad_u64_u32 v[29:30], s[10:11], v25, s8, v[24:25]
	global_load_dwordx4 v[24:27], v[15:16], off
	s_nop 0
	global_load_dwordx4 v[28:31], v[28:29], off
	v_add_co_u32_e32 v15, vcc, 0x2710, v15
	v_addc_co_u32_e32 v16, vcc, 0, v16, vcc
	s_waitcnt vmcnt(0)
	v_fma_f64 v[9:10], v[24:25], v[28:29], v[9:10]
	v_fma_f64 v[11:12], v[26:27], v[28:29], v[11:12]
	v_fma_f64 v[9:10], -v[26:27], v[30:31], v[9:10]
	v_fma_f64 v[11:12], v[24:25], v[30:31], v[11:12]
	s_branch .LBB184_7
.LBB184_10:
	s_and_b64 vcc, exec, s[16:17]
	ds_write_b128 v21, v[9:12]
	s_waitcnt lgkmcnt(0)
	s_barrier
	s_cbranch_vccz .LBB184_22
; %bb.11:
	v_cmp_gt_u16_e32 vcc, 9, v22
	s_and_saveexec_b64 s[0:1], vcc
	s_cbranch_execz .LBB184_13
; %bb.12:
	ds_read_b128 v[13:16], v21 offset:256
	ds_read_b128 v[17:20], v21
	s_waitcnt lgkmcnt(0)
	v_add_f64 v[13:14], v[13:14], v[17:18]
	v_add_f64 v[15:16], v[15:16], v[19:20]
	ds_write_b128 v21, v[13:16]
.LBB184_13:
	s_or_b64 exec, exec, s[0:1]
	v_cmp_gt_u16_e32 vcc, 8, v22
	s_waitcnt lgkmcnt(0)
	s_barrier
	s_and_saveexec_b64 s[0:1], vcc
	s_cbranch_execz .LBB184_15
; %bb.14:
	ds_read_b128 v[13:16], v21 offset:128
	ds_read_b128 v[17:20], v21
	s_waitcnt lgkmcnt(0)
	v_add_f64 v[13:14], v[13:14], v[17:18]
	v_add_f64 v[15:16], v[15:16], v[19:20]
	ds_write_b128 v21, v[13:16]
.LBB184_15:
	s_or_b64 exec, exec, s[0:1]
	v_cmp_gt_u16_e32 vcc, 4, v22
	s_waitcnt lgkmcnt(0)
	s_barrier
	;; [unrolled: 14-line block ×3, first 2 shown]
	s_and_saveexec_b64 s[0:1], vcc
	s_cbranch_execz .LBB184_19
; %bb.18:
	ds_read_b128 v[13:16], v21
	ds_read_b128 v[17:20], v21 offset:32
	s_waitcnt lgkmcnt(0)
	v_add_f64 v[13:14], v[17:18], v[13:14]
	v_add_f64 v[15:16], v[19:20], v[15:16]
	ds_write_b128 v21, v[13:16]
.LBB184_19:
	s_or_b64 exec, exec, s[0:1]
	v_mov_b32_e32 v16, v12
	v_mov_b32_e32 v14, v10
	v_cmp_gt_u32_e32 vcc, 25, v0
	v_mov_b32_e32 v15, v11
	v_mov_b32_e32 v13, v9
	s_waitcnt lgkmcnt(0)
	s_barrier
	s_and_saveexec_b64 s[0:1], vcc
	s_cbranch_execz .LBB184_21
; %bb.20:
	s_movk_i32 s2, 0x180
	v_mad_u32_u24 v17, v0, s2, v21
	ds_read_b128 v[13:16], v17
	ds_read_b128 v[17:20], v17 offset:16
	s_waitcnt lgkmcnt(0)
	v_add_f64 v[13:14], v[17:18], v[13:14]
	v_add_f64 v[15:16], v[19:20], v[15:16]
.LBB184_21:
	s_or_b64 exec, exec, s[0:1]
	s_branch .LBB184_34
.LBB184_22:
                                        ; implicit-def: $vgpr15_vgpr16
                                        ; implicit-def: $vgpr13_vgpr14
	s_cbranch_execz .LBB184_34
; %bb.23:
	s_movk_i32 s0, 0xe1
	v_cmp_gt_u32_e32 vcc, s0, v0
	s_and_saveexec_b64 s[0:1], vcc
	s_cbranch_execz .LBB184_25
; %bb.24:
	ds_read_b128 v[13:16], v21 offset:6400
	ds_read_b128 v[17:20], v21
	s_waitcnt lgkmcnt(0)
	v_add_f64 v[13:14], v[13:14], v[17:18]
	v_add_f64 v[15:16], v[15:16], v[19:20]
	ds_write_b128 v21, v[13:16]
.LBB184_25:
	s_or_b64 exec, exec, s[0:1]
	s_movk_i32 s0, 0xc8
	v_cmp_gt_u32_e32 vcc, s0, v0
	s_waitcnt lgkmcnt(0)
	s_barrier
	s_and_saveexec_b64 s[0:1], vcc
	s_cbranch_execz .LBB184_27
; %bb.26:
	ds_read_b128 v[13:16], v21 offset:3200
	ds_read_b128 v[17:20], v21
	s_waitcnt lgkmcnt(0)
	v_add_f64 v[13:14], v[13:14], v[17:18]
	v_add_f64 v[15:16], v[15:16], v[19:20]
	ds_write_b128 v21, v[13:16]
.LBB184_27:
	s_or_b64 exec, exec, s[0:1]
	s_movk_i32 s0, 0x64
	v_cmp_gt_u32_e32 vcc, s0, v0
	s_waitcnt lgkmcnt(0)
	s_barrier
	s_and_saveexec_b64 s[0:1], vcc
	s_cbranch_execz .LBB184_29
; %bb.28:
	ds_read_b128 v[13:16], v21 offset:1600
	ds_read_b128 v[17:20], v21
	s_waitcnt lgkmcnt(0)
	v_add_f64 v[13:14], v[13:14], v[17:18]
	v_add_f64 v[15:16], v[15:16], v[19:20]
	ds_write_b128 v21, v[13:16]
.LBB184_29:
	s_or_b64 exec, exec, s[0:1]
	v_cmp_gt_u32_e32 vcc, 50, v0
	s_waitcnt lgkmcnt(0)
	s_barrier
	s_and_saveexec_b64 s[0:1], vcc
	s_cbranch_execz .LBB184_31
; %bb.30:
	ds_read_b128 v[13:16], v21 offset:800
	ds_read_b128 v[17:20], v21
	s_waitcnt lgkmcnt(0)
	v_add_f64 v[13:14], v[13:14], v[17:18]
	v_add_f64 v[15:16], v[15:16], v[19:20]
	ds_write_b128 v21, v[13:16]
.LBB184_31:
	s_or_b64 exec, exec, s[0:1]
	v_cmp_gt_u32_e32 vcc, 25, v0
	s_waitcnt lgkmcnt(0)
	s_and_saveexec_b64 s[0:1], vcc
	s_cbranch_execz .LBB184_33
; %bb.32:
	ds_read_b128 v[9:12], v21 offset:400
	ds_read_b128 v[13:16], v21
	s_waitcnt lgkmcnt(0)
	v_add_f64 v[9:10], v[9:10], v[13:14]
	v_add_f64 v[11:12], v[11:12], v[15:16]
.LBB184_33:
	s_or_b64 exec, exec, s[0:1]
	v_mov_b32_e32 v16, v12
	v_mov_b32_e32 v14, v10
	;; [unrolled: 1-line block ×4, first 2 shown]
.LBB184_34:
	v_cmp_gt_u32_e32 vcc, 25, v0
	s_and_b64 exec, exec, vcc
	s_cbranch_execz .LBB184_39
; %bb.35:
	v_mul_f64 v[9:10], v[15:16], -v[7:8]
	v_mul_f64 v[11:12], v[5:6], v[15:16]
	v_cmp_eq_f64_e32 vcc, 0, v[1:2]
	v_cmp_eq_f64_e64 s[0:1], 0, v[3:4]
	s_mul_i32 s2, s7, 0x190
	s_mul_hi_u32 s3, s6, 0x190
	s_mul_i32 s4, s6, 0x190
	v_fma_f64 v[5:6], v[5:6], v[13:14], v[9:10]
	v_fma_f64 v[7:8], v[7:8], v[13:14], v[11:12]
	s_and_b64 s[0:1], vcc, s[0:1]
	s_and_saveexec_b64 s[6:7], s[0:1]
	s_xor_b64 s[0:1], exec, s[6:7]
	s_cbranch_execz .LBB184_37
; %bb.36:
	s_add_i32 s5, s3, s2
	s_add_u32 s6, s12, s4
	s_addc_u32 s7, s13, s5
	global_store_dwordx4 v21, v[5:8], s[6:7]
                                        ; implicit-def: $vgpr21
                                        ; implicit-def: $vgpr1_vgpr2
                                        ; implicit-def: $vgpr5_vgpr6
.LBB184_37:
	s_andn2_saveexec_b64 s[0:1], s[0:1]
	s_cbranch_execz .LBB184_39
; %bb.38:
	s_add_i32 s3, s3, s2
	s_add_u32 s0, s12, s4
	s_addc_u32 s1, s13, s3
	global_load_dwordx4 v[9:12], v21, s[0:1]
	s_waitcnt vmcnt(0)
	v_fma_f64 v[5:6], v[1:2], v[9:10], v[5:6]
	v_fma_f64 v[7:8], v[3:4], v[9:10], v[7:8]
	v_fma_f64 v[3:4], -v[3:4], v[11:12], v[5:6]
	v_fma_f64 v[5:6], v[1:2], v[11:12], v[7:8]
	global_store_dwordx4 v21, v[3:6], s[0:1]
.LBB184_39:
	s_endpgm
	.section	.rodata,"a",@progbits
	.p2align	6, 0x0
	.amdhsa_kernel _ZN9rocsparseL20bsrxmvn_17_32_kernelILj25E21rocsparse_complex_numIdEllS2_S2_S2_EEvT2_20rocsparse_direction_NS_24const_host_device_scalarIT0_EES3_PKS3_PKT1_SC_S9_PKT3_PKT4_S7_PT5_21rocsparse_index_base_b
		.amdhsa_group_segment_fixed_size 10000
		.amdhsa_private_segment_fixed_size 0
		.amdhsa_kernarg_size 120
		.amdhsa_user_sgpr_count 6
		.amdhsa_user_sgpr_private_segment_buffer 1
		.amdhsa_user_sgpr_dispatch_ptr 0
		.amdhsa_user_sgpr_queue_ptr 0
		.amdhsa_user_sgpr_kernarg_segment_ptr 1
		.amdhsa_user_sgpr_dispatch_id 0
		.amdhsa_user_sgpr_flat_scratch_init 0
		.amdhsa_user_sgpr_private_segment_size 0
		.amdhsa_uses_dynamic_stack 0
		.amdhsa_system_sgpr_private_segment_wavefront_offset 0
		.amdhsa_system_sgpr_workgroup_id_x 1
		.amdhsa_system_sgpr_workgroup_id_y 0
		.amdhsa_system_sgpr_workgroup_id_z 0
		.amdhsa_system_sgpr_workgroup_info 0
		.amdhsa_system_vgpr_workitem_id 0
		.amdhsa_next_free_vgpr 32
		.amdhsa_next_free_sgpr 22
		.amdhsa_reserve_vcc 1
		.amdhsa_reserve_flat_scratch 0
		.amdhsa_float_round_mode_32 0
		.amdhsa_float_round_mode_16_64 0
		.amdhsa_float_denorm_mode_32 3
		.amdhsa_float_denorm_mode_16_64 3
		.amdhsa_dx10_clamp 1
		.amdhsa_ieee_mode 1
		.amdhsa_fp16_overflow 0
		.amdhsa_exception_fp_ieee_invalid_op 0
		.amdhsa_exception_fp_denorm_src 0
		.amdhsa_exception_fp_ieee_div_zero 0
		.amdhsa_exception_fp_ieee_overflow 0
		.amdhsa_exception_fp_ieee_underflow 0
		.amdhsa_exception_fp_ieee_inexact 0
		.amdhsa_exception_int_div_zero 0
	.end_amdhsa_kernel
	.section	.text._ZN9rocsparseL20bsrxmvn_17_32_kernelILj25E21rocsparse_complex_numIdEllS2_S2_S2_EEvT2_20rocsparse_direction_NS_24const_host_device_scalarIT0_EES3_PKS3_PKT1_SC_S9_PKT3_PKT4_S7_PT5_21rocsparse_index_base_b,"axG",@progbits,_ZN9rocsparseL20bsrxmvn_17_32_kernelILj25E21rocsparse_complex_numIdEllS2_S2_S2_EEvT2_20rocsparse_direction_NS_24const_host_device_scalarIT0_EES3_PKS3_PKT1_SC_S9_PKT3_PKT4_S7_PT5_21rocsparse_index_base_b,comdat
.Lfunc_end184:
	.size	_ZN9rocsparseL20bsrxmvn_17_32_kernelILj25E21rocsparse_complex_numIdEllS2_S2_S2_EEvT2_20rocsparse_direction_NS_24const_host_device_scalarIT0_EES3_PKS3_PKT1_SC_S9_PKT3_PKT4_S7_PT5_21rocsparse_index_base_b, .Lfunc_end184-_ZN9rocsparseL20bsrxmvn_17_32_kernelILj25E21rocsparse_complex_numIdEllS2_S2_S2_EEvT2_20rocsparse_direction_NS_24const_host_device_scalarIT0_EES3_PKS3_PKT1_SC_S9_PKT3_PKT4_S7_PT5_21rocsparse_index_base_b
                                        ; -- End function
	.set _ZN9rocsparseL20bsrxmvn_17_32_kernelILj25E21rocsparse_complex_numIdEllS2_S2_S2_EEvT2_20rocsparse_direction_NS_24const_host_device_scalarIT0_EES3_PKS3_PKT1_SC_S9_PKT3_PKT4_S7_PT5_21rocsparse_index_base_b.num_vgpr, 32
	.set _ZN9rocsparseL20bsrxmvn_17_32_kernelILj25E21rocsparse_complex_numIdEllS2_S2_S2_EEvT2_20rocsparse_direction_NS_24const_host_device_scalarIT0_EES3_PKS3_PKT1_SC_S9_PKT3_PKT4_S7_PT5_21rocsparse_index_base_b.num_agpr, 0
	.set _ZN9rocsparseL20bsrxmvn_17_32_kernelILj25E21rocsparse_complex_numIdEllS2_S2_S2_EEvT2_20rocsparse_direction_NS_24const_host_device_scalarIT0_EES3_PKS3_PKT1_SC_S9_PKT3_PKT4_S7_PT5_21rocsparse_index_base_b.numbered_sgpr, 22
	.set _ZN9rocsparseL20bsrxmvn_17_32_kernelILj25E21rocsparse_complex_numIdEllS2_S2_S2_EEvT2_20rocsparse_direction_NS_24const_host_device_scalarIT0_EES3_PKS3_PKT1_SC_S9_PKT3_PKT4_S7_PT5_21rocsparse_index_base_b.num_named_barrier, 0
	.set _ZN9rocsparseL20bsrxmvn_17_32_kernelILj25E21rocsparse_complex_numIdEllS2_S2_S2_EEvT2_20rocsparse_direction_NS_24const_host_device_scalarIT0_EES3_PKS3_PKT1_SC_S9_PKT3_PKT4_S7_PT5_21rocsparse_index_base_b.private_seg_size, 0
	.set _ZN9rocsparseL20bsrxmvn_17_32_kernelILj25E21rocsparse_complex_numIdEllS2_S2_S2_EEvT2_20rocsparse_direction_NS_24const_host_device_scalarIT0_EES3_PKS3_PKT1_SC_S9_PKT3_PKT4_S7_PT5_21rocsparse_index_base_b.uses_vcc, 1
	.set _ZN9rocsparseL20bsrxmvn_17_32_kernelILj25E21rocsparse_complex_numIdEllS2_S2_S2_EEvT2_20rocsparse_direction_NS_24const_host_device_scalarIT0_EES3_PKS3_PKT1_SC_S9_PKT3_PKT4_S7_PT5_21rocsparse_index_base_b.uses_flat_scratch, 0
	.set _ZN9rocsparseL20bsrxmvn_17_32_kernelILj25E21rocsparse_complex_numIdEllS2_S2_S2_EEvT2_20rocsparse_direction_NS_24const_host_device_scalarIT0_EES3_PKS3_PKT1_SC_S9_PKT3_PKT4_S7_PT5_21rocsparse_index_base_b.has_dyn_sized_stack, 0
	.set _ZN9rocsparseL20bsrxmvn_17_32_kernelILj25E21rocsparse_complex_numIdEllS2_S2_S2_EEvT2_20rocsparse_direction_NS_24const_host_device_scalarIT0_EES3_PKS3_PKT1_SC_S9_PKT3_PKT4_S7_PT5_21rocsparse_index_base_b.has_recursion, 0
	.set _ZN9rocsparseL20bsrxmvn_17_32_kernelILj25E21rocsparse_complex_numIdEllS2_S2_S2_EEvT2_20rocsparse_direction_NS_24const_host_device_scalarIT0_EES3_PKS3_PKT1_SC_S9_PKT3_PKT4_S7_PT5_21rocsparse_index_base_b.has_indirect_call, 0
	.section	.AMDGPU.csdata,"",@progbits
; Kernel info:
; codeLenInByte = 1724
; TotalNumSgprs: 26
; NumVgprs: 32
; ScratchSize: 0
; MemoryBound: 1
; FloatMode: 240
; IeeeMode: 1
; LDSByteSize: 10000 bytes/workgroup (compile time only)
; SGPRBlocks: 3
; VGPRBlocks: 7
; NumSGPRsForWavesPerEU: 26
; NumVGPRsForWavesPerEU: 32
; Occupancy: 8
; WaveLimiterHint : 1
; COMPUTE_PGM_RSRC2:SCRATCH_EN: 0
; COMPUTE_PGM_RSRC2:USER_SGPR: 6
; COMPUTE_PGM_RSRC2:TRAP_HANDLER: 0
; COMPUTE_PGM_RSRC2:TGID_X_EN: 1
; COMPUTE_PGM_RSRC2:TGID_Y_EN: 0
; COMPUTE_PGM_RSRC2:TGID_Z_EN: 0
; COMPUTE_PGM_RSRC2:TIDIG_COMP_CNT: 0
	.section	.text._ZN9rocsparseL20bsrxmvn_17_32_kernelILj26E21rocsparse_complex_numIdEllS2_S2_S2_EEvT2_20rocsparse_direction_NS_24const_host_device_scalarIT0_EES3_PKS3_PKT1_SC_S9_PKT3_PKT4_S7_PT5_21rocsparse_index_base_b,"axG",@progbits,_ZN9rocsparseL20bsrxmvn_17_32_kernelILj26E21rocsparse_complex_numIdEllS2_S2_S2_EEvT2_20rocsparse_direction_NS_24const_host_device_scalarIT0_EES3_PKS3_PKT1_SC_S9_PKT3_PKT4_S7_PT5_21rocsparse_index_base_b,comdat
	.globl	_ZN9rocsparseL20bsrxmvn_17_32_kernelILj26E21rocsparse_complex_numIdEllS2_S2_S2_EEvT2_20rocsparse_direction_NS_24const_host_device_scalarIT0_EES3_PKS3_PKT1_SC_S9_PKT3_PKT4_S7_PT5_21rocsparse_index_base_b ; -- Begin function _ZN9rocsparseL20bsrxmvn_17_32_kernelILj26E21rocsparse_complex_numIdEllS2_S2_S2_EEvT2_20rocsparse_direction_NS_24const_host_device_scalarIT0_EES3_PKS3_PKT1_SC_S9_PKT3_PKT4_S7_PT5_21rocsparse_index_base_b
	.p2align	8
	.type	_ZN9rocsparseL20bsrxmvn_17_32_kernelILj26E21rocsparse_complex_numIdEllS2_S2_S2_EEvT2_20rocsparse_direction_NS_24const_host_device_scalarIT0_EES3_PKS3_PKT1_SC_S9_PKT3_PKT4_S7_PT5_21rocsparse_index_base_b,@function
_ZN9rocsparseL20bsrxmvn_17_32_kernelILj26E21rocsparse_complex_numIdEllS2_S2_S2_EEvT2_20rocsparse_direction_NS_24const_host_device_scalarIT0_EES3_PKS3_PKT1_SC_S9_PKT3_PKT4_S7_PT5_21rocsparse_index_base_b: ; @_ZN9rocsparseL20bsrxmvn_17_32_kernelILj26E21rocsparse_complex_numIdEllS2_S2_S2_EEvT2_20rocsparse_direction_NS_24const_host_device_scalarIT0_EES3_PKS3_PKT1_SC_S9_PKT3_PKT4_S7_PT5_21rocsparse_index_base_b
; %bb.0:
	s_load_dwordx2 s[0:1], s[4:5], 0x10
	s_load_dwordx2 s[14:15], s[4:5], 0x70
	s_add_u32 s7, s4, 16
	s_addc_u32 s8, s5, 0
	s_add_u32 s9, s4, 0x58
	s_addc_u32 s10, s5, 0
	s_waitcnt lgkmcnt(0)
	s_bitcmp1_b32 s15, 0
	s_cselect_b32 s1, s8, s1
	s_cselect_b32 s0, s7, s0
	v_mov_b32_e32 v1, s0
	v_mov_b32_e32 v2, s1
	flat_load_dwordx4 v[5:8], v[1:2]
	s_load_dwordx2 s[2:3], s[4:5], 0x58
	s_waitcnt lgkmcnt(0)
	s_cselect_b32 s0, s10, s3
	s_cselect_b32 s1, s9, s2
	v_mov_b32_e32 v1, s1
	v_mov_b32_e32 v2, s0
	flat_load_dwordx4 v[1:4], v[1:2]
	s_waitcnt vmcnt(0)
	v_cmp_eq_f64_e32 vcc, 0, v[5:6]
	v_cmp_eq_f64_e64 s[0:1], 0, v[7:8]
	s_and_b64 s[8:9], vcc, s[0:1]
	s_mov_b64 s[0:1], -1
	s_and_saveexec_b64 s[2:3], s[8:9]
	s_cbranch_execz .LBB185_2
; %bb.1:
	s_waitcnt lgkmcnt(0)
	v_cmp_neq_f64_e32 vcc, 1.0, v[1:2]
	v_cmp_neq_f64_e64 s[0:1], 0, v[3:4]
	s_or_b64 s[0:1], vcc, s[0:1]
	s_orn2_b64 s[0:1], s[0:1], exec
.LBB185_2:
	s_or_b64 exec, exec, s[2:3]
	s_and_saveexec_b64 s[2:3], s[0:1]
	s_cbranch_execz .LBB185_39
; %bb.3:
	s_load_dwordx4 s[0:3], s[4:5], 0x28
	s_load_dwordx2 s[8:9], s[4:5], 0x38
	s_mov_b32 s7, 0
	s_waitcnt lgkmcnt(0)
	s_cmp_eq_u64 s[0:1], 0
	s_cbranch_scc1 .LBB185_5
; %bb.4:
	s_lshl_b64 s[6:7], s[6:7], 3
	s_add_u32 s0, s0, s6
	s_addc_u32 s1, s1, s7
	s_load_dwordx2 s[0:1], s[0:1], 0x0
	s_waitcnt lgkmcnt(0)
	s_sub_u32 s6, s0, s14
	s_subb_u32 s7, s1, 0
.LBB185_5:
	s_load_dword s10, s[4:5], 0x8
	s_load_dwordx2 s[12:13], s[4:5], 0x68
	v_mul_u32_u24_e32 v14, 0x9d9, v0
	v_mov_b32_e32 v9, 26
	v_mul_lo_u16_sdwa v9, v14, v9 dst_sel:DWORD dst_unused:UNUSED_PAD src0_sel:WORD_1 src1_sel:DWORD
	s_waitcnt lgkmcnt(0)
	s_cmp_eq_u32 s10, 1
	s_cselect_b64 s[0:1], -1, 0
	s_cmp_lg_u32 s10, 1
	s_cselect_b64 s[16:17], -1, 0
	s_lshl_b64 s[10:11], s[6:7], 3
	s_add_u32 s20, s2, s10
	s_addc_u32 s21, s3, s11
	s_add_u32 s2, s20, 8
	s_addc_u32 s3, s21, 0
	;; [unrolled: 2-line block ×3, first 2 shown]
	s_cmp_eq_u64 s[8:9], 0
	s_cselect_b32 s9, s3, s11
	s_cselect_b32 s8, s2, s10
	s_load_dwordx2 s[2:3], s[8:9], 0x0
	s_load_dwordx2 s[18:19], s[20:21], 0x0
	v_sub_u16_e32 v22, v0, v9
	v_mov_b32_e32 v11, 0
	v_mov_b32_e32 v13, 0
	s_waitcnt lgkmcnt(0)
	v_mov_b32_e32 v10, s3
	v_mov_b32_e32 v9, s2
	v_cmp_ge_i64_e32 vcc, s[18:19], v[9:10]
	v_mov_b32_e32 v9, 0
	v_mov_b32_e32 v12, 0
	v_lshlrev_b32_e32 v21, 4, v0
	v_mov_b32_e32 v10, 0
	s_cbranch_vccnz .LBB185_10
; %bb.6:
	s_load_dwordx2 s[20:21], s[4:5], 0x50
	s_load_dwordx4 s[8:11], s[4:5], 0x40
	s_mov_b32 s4, 0xffff
	s_movk_i32 s5, 0x2a4
	v_and_b32_sdwa v9, s4, v14 dst_sel:DWORD dst_unused:UNUSED_PAD src0_sel:DWORD src1_sel:WORD_1
	s_sub_u32 s2, s2, s14
	v_subrev_u32_e32 v10, 26, v9
	v_cmp_gt_u32_e32 vcc, s5, v0
	s_subb_u32 s3, s3, 0
	v_cndmask_b32_e32 v9, v10, v9, vcc
	s_sub_u32 s4, s18, s14
	v_cndmask_b32_e64 v12, v22, v9, s[0:1]
	s_subb_u32 s5, s19, 0
	v_lshlrev_b64 v[9:10], 4, v[12:13]
	s_mul_i32 s0, s5, 0x2a40
	s_mul_hi_u32 s1, s4, 0x2a40
	s_add_i32 s1, s1, s0
	s_mul_i32 s0, s4, 0x2a40
	s_waitcnt lgkmcnt(0)
	v_mov_b32_e32 v11, s21
	v_add_co_u32_e32 v13, vcc, s20, v9
	s_add_u32 s0, s10, s0
	v_addc_co_u32_e32 v14, vcc, v11, v10, vcc
	s_addc_u32 s1, s11, s1
	v_mov_b32_e32 v9, s1
	v_add_co_u32_e32 v15, vcc, s0, v21
	v_addc_co_u32_e32 v16, vcc, 0, v9, vcc
	s_movk_i32 s0, 0x2a3
	v_cmp_lt_u32_e32 vcc, s0, v0
	v_cndmask_b32_e64 v23, 0, 1, vcc
	v_mov_b32_e32 v9, s19
	v_add_co_u32_e32 v10, vcc, s18, v23
	v_addc_co_u32_e32 v11, vcc, 0, v9, vcc
	v_subrev_co_u32_e32 v9, vcc, s14, v10
	v_subbrev_co_u32_e32 v10, vcc, 0, v11, vcc
	v_lshlrev_b64 v[9:10], 3, v[9:10]
	v_mov_b32_e32 v11, s9
	v_add_co_u32_e32 v17, vcc, s8, v9
	v_addc_co_u32_e32 v18, vcc, v11, v10, vcc
	v_mov_b32_e32 v11, 0
	v_mov_b32_e32 v12, 0
	;; [unrolled: 1-line block ×4, first 2 shown]
	s_movk_i32 s8, 0x1a0
	v_mov_b32_e32 v19, s2
	v_mov_b32_e32 v10, v12
	s_branch .LBB185_8
.LBB185_7:                              ;   in Loop: Header=BB185_8 Depth=1
	s_or_b64 exec, exec, s[0:1]
	s_add_u32 s4, s4, 1
	s_addc_u32 s5, s5, 0
	v_cmp_lt_i64_e32 vcc, s[4:5], v[19:20]
	v_add_co_u32_e64 v17, s[0:1], 8, v17
	v_addc_co_u32_e64 v18, s[0:1], 0, v18, s[0:1]
	s_cbranch_vccz .LBB185_10
.LBB185_8:                              ; =>This Inner Loop Header: Depth=1
	v_mov_b32_e32 v25, s5
	v_add_co_u32_e32 v24, vcc, s4, v23
	v_addc_co_u32_e32 v25, vcc, 0, v25, vcc
	v_cmp_gt_i64_e32 vcc, s[2:3], v[24:25]
	s_and_saveexec_b64 s[0:1], vcc
	s_cbranch_execz .LBB185_7
; %bb.9:                                ;   in Loop: Header=BB185_8 Depth=1
	global_load_dwordx2 v[24:25], v[17:18], off
	s_waitcnt vmcnt(0)
	v_subrev_co_u32_e32 v24, vcc, s14, v24
	v_mad_u64_u32 v[28:29], s[10:11], v24, s8, v[13:14]
	v_subbrev_co_u32_e32 v25, vcc, 0, v25, vcc
	v_mov_b32_e32 v24, v29
	v_mad_u64_u32 v[29:30], s[10:11], v25, s8, v[24:25]
	global_load_dwordx4 v[24:27], v[15:16], off
	s_nop 0
	global_load_dwordx4 v[28:31], v[28:29], off
	v_add_co_u32_e32 v15, vcc, 0x2a40, v15
	v_addc_co_u32_e32 v16, vcc, 0, v16, vcc
	s_waitcnt vmcnt(0)
	v_fma_f64 v[9:10], v[24:25], v[28:29], v[9:10]
	v_fma_f64 v[11:12], v[26:27], v[28:29], v[11:12]
	v_fma_f64 v[9:10], -v[26:27], v[30:31], v[9:10]
	v_fma_f64 v[11:12], v[24:25], v[30:31], v[11:12]
	s_branch .LBB185_7
.LBB185_10:
	s_and_b64 vcc, exec, s[16:17]
	ds_write_b128 v21, v[9:12]
	s_waitcnt lgkmcnt(0)
	s_barrier
	s_cbranch_vccz .LBB185_22
; %bb.11:
	v_cmp_gt_u16_e32 vcc, 10, v22
	s_and_saveexec_b64 s[0:1], vcc
	s_cbranch_execz .LBB185_13
; %bb.12:
	ds_read_b128 v[13:16], v21 offset:256
	ds_read_b128 v[17:20], v21
	s_waitcnt lgkmcnt(0)
	v_add_f64 v[13:14], v[13:14], v[17:18]
	v_add_f64 v[15:16], v[15:16], v[19:20]
	ds_write_b128 v21, v[13:16]
.LBB185_13:
	s_or_b64 exec, exec, s[0:1]
	v_cmp_gt_u16_e32 vcc, 8, v22
	s_waitcnt lgkmcnt(0)
	s_barrier
	s_and_saveexec_b64 s[0:1], vcc
	s_cbranch_execz .LBB185_15
; %bb.14:
	ds_read_b128 v[13:16], v21 offset:128
	ds_read_b128 v[17:20], v21
	s_waitcnt lgkmcnt(0)
	v_add_f64 v[13:14], v[13:14], v[17:18]
	v_add_f64 v[15:16], v[15:16], v[19:20]
	ds_write_b128 v21, v[13:16]
.LBB185_15:
	s_or_b64 exec, exec, s[0:1]
	v_cmp_gt_u16_e32 vcc, 4, v22
	s_waitcnt lgkmcnt(0)
	s_barrier
	;; [unrolled: 14-line block ×3, first 2 shown]
	s_and_saveexec_b64 s[0:1], vcc
	s_cbranch_execz .LBB185_19
; %bb.18:
	ds_read_b128 v[13:16], v21
	ds_read_b128 v[17:20], v21 offset:32
	s_waitcnt lgkmcnt(0)
	v_add_f64 v[13:14], v[17:18], v[13:14]
	v_add_f64 v[15:16], v[19:20], v[15:16]
	ds_write_b128 v21, v[13:16]
.LBB185_19:
	s_or_b64 exec, exec, s[0:1]
	v_mov_b32_e32 v16, v12
	v_mov_b32_e32 v14, v10
	v_cmp_gt_u32_e32 vcc, 26, v0
	v_mov_b32_e32 v15, v11
	v_mov_b32_e32 v13, v9
	s_waitcnt lgkmcnt(0)
	s_barrier
	s_and_saveexec_b64 s[0:1], vcc
	s_cbranch_execz .LBB185_21
; %bb.20:
	s_movk_i32 s2, 0x190
	v_mad_u32_u24 v17, v0, s2, v21
	ds_read_b128 v[13:16], v17
	ds_read_b128 v[17:20], v17 offset:16
	s_waitcnt lgkmcnt(0)
	v_add_f64 v[13:14], v[17:18], v[13:14]
	v_add_f64 v[15:16], v[19:20], v[15:16]
.LBB185_21:
	s_or_b64 exec, exec, s[0:1]
	s_branch .LBB185_34
.LBB185_22:
                                        ; implicit-def: $vgpr15_vgpr16
                                        ; implicit-def: $vgpr13_vgpr14
	s_cbranch_execz .LBB185_34
; %bb.23:
	s_movk_i32 s0, 0x104
	v_cmp_gt_u32_e32 vcc, s0, v0
	s_and_saveexec_b64 s[0:1], vcc
	s_cbranch_execz .LBB185_25
; %bb.24:
	ds_read_b128 v[13:16], v21 offset:6656
	ds_read_b128 v[17:20], v21
	s_waitcnt lgkmcnt(0)
	v_add_f64 v[13:14], v[13:14], v[17:18]
	v_add_f64 v[15:16], v[15:16], v[19:20]
	ds_write_b128 v21, v[13:16]
.LBB185_25:
	s_or_b64 exec, exec, s[0:1]
	s_movk_i32 s0, 0xd0
	v_cmp_gt_u32_e32 vcc, s0, v0
	s_waitcnt lgkmcnt(0)
	s_barrier
	s_and_saveexec_b64 s[0:1], vcc
	s_cbranch_execz .LBB185_27
; %bb.26:
	ds_read_b128 v[13:16], v21 offset:3328
	ds_read_b128 v[17:20], v21
	s_waitcnt lgkmcnt(0)
	v_add_f64 v[13:14], v[13:14], v[17:18]
	v_add_f64 v[15:16], v[15:16], v[19:20]
	ds_write_b128 v21, v[13:16]
.LBB185_27:
	s_or_b64 exec, exec, s[0:1]
	s_movk_i32 s0, 0x68
	v_cmp_gt_u32_e32 vcc, s0, v0
	s_waitcnt lgkmcnt(0)
	s_barrier
	s_and_saveexec_b64 s[0:1], vcc
	s_cbranch_execz .LBB185_29
; %bb.28:
	ds_read_b128 v[13:16], v21 offset:1664
	ds_read_b128 v[17:20], v21
	s_waitcnt lgkmcnt(0)
	v_add_f64 v[13:14], v[13:14], v[17:18]
	v_add_f64 v[15:16], v[15:16], v[19:20]
	ds_write_b128 v21, v[13:16]
.LBB185_29:
	s_or_b64 exec, exec, s[0:1]
	v_cmp_gt_u32_e32 vcc, 52, v0
	s_waitcnt lgkmcnt(0)
	s_barrier
	s_and_saveexec_b64 s[0:1], vcc
	s_cbranch_execz .LBB185_31
; %bb.30:
	ds_read_b128 v[13:16], v21 offset:832
	ds_read_b128 v[17:20], v21
	s_waitcnt lgkmcnt(0)
	v_add_f64 v[13:14], v[13:14], v[17:18]
	v_add_f64 v[15:16], v[15:16], v[19:20]
	ds_write_b128 v21, v[13:16]
.LBB185_31:
	s_or_b64 exec, exec, s[0:1]
	v_cmp_gt_u32_e32 vcc, 26, v0
	s_waitcnt lgkmcnt(0)
	s_and_saveexec_b64 s[0:1], vcc
	s_cbranch_execz .LBB185_33
; %bb.32:
	ds_read_b128 v[9:12], v21 offset:416
	ds_read_b128 v[13:16], v21
	s_waitcnt lgkmcnt(0)
	v_add_f64 v[9:10], v[9:10], v[13:14]
	v_add_f64 v[11:12], v[11:12], v[15:16]
.LBB185_33:
	s_or_b64 exec, exec, s[0:1]
	v_mov_b32_e32 v16, v12
	v_mov_b32_e32 v14, v10
	;; [unrolled: 1-line block ×4, first 2 shown]
.LBB185_34:
	v_cmp_gt_u32_e32 vcc, 26, v0
	s_and_b64 exec, exec, vcc
	s_cbranch_execz .LBB185_39
; %bb.35:
	v_mul_f64 v[9:10], v[15:16], -v[7:8]
	v_mul_f64 v[11:12], v[5:6], v[15:16]
	v_cmp_eq_f64_e32 vcc, 0, v[1:2]
	v_cmp_eq_f64_e64 s[0:1], 0, v[3:4]
	s_mul_i32 s2, s7, 0x1a0
	s_mul_hi_u32 s3, s6, 0x1a0
	s_mul_i32 s4, s6, 0x1a0
	v_fma_f64 v[5:6], v[5:6], v[13:14], v[9:10]
	v_fma_f64 v[7:8], v[7:8], v[13:14], v[11:12]
	s_and_b64 s[0:1], vcc, s[0:1]
	s_and_saveexec_b64 s[6:7], s[0:1]
	s_xor_b64 s[0:1], exec, s[6:7]
	s_cbranch_execz .LBB185_37
; %bb.36:
	s_add_i32 s5, s3, s2
	s_add_u32 s6, s12, s4
	s_addc_u32 s7, s13, s5
	global_store_dwordx4 v21, v[5:8], s[6:7]
                                        ; implicit-def: $vgpr21
                                        ; implicit-def: $vgpr1_vgpr2
                                        ; implicit-def: $vgpr5_vgpr6
.LBB185_37:
	s_andn2_saveexec_b64 s[0:1], s[0:1]
	s_cbranch_execz .LBB185_39
; %bb.38:
	s_add_i32 s3, s3, s2
	s_add_u32 s0, s12, s4
	s_addc_u32 s1, s13, s3
	global_load_dwordx4 v[9:12], v21, s[0:1]
	s_waitcnt vmcnt(0)
	v_fma_f64 v[5:6], v[1:2], v[9:10], v[5:6]
	v_fma_f64 v[7:8], v[3:4], v[9:10], v[7:8]
	v_fma_f64 v[3:4], -v[3:4], v[11:12], v[5:6]
	v_fma_f64 v[5:6], v[1:2], v[11:12], v[7:8]
	global_store_dwordx4 v21, v[3:6], s[0:1]
.LBB185_39:
	s_endpgm
	.section	.rodata,"a",@progbits
	.p2align	6, 0x0
	.amdhsa_kernel _ZN9rocsparseL20bsrxmvn_17_32_kernelILj26E21rocsparse_complex_numIdEllS2_S2_S2_EEvT2_20rocsparse_direction_NS_24const_host_device_scalarIT0_EES3_PKS3_PKT1_SC_S9_PKT3_PKT4_S7_PT5_21rocsparse_index_base_b
		.amdhsa_group_segment_fixed_size 10816
		.amdhsa_private_segment_fixed_size 0
		.amdhsa_kernarg_size 120
		.amdhsa_user_sgpr_count 6
		.amdhsa_user_sgpr_private_segment_buffer 1
		.amdhsa_user_sgpr_dispatch_ptr 0
		.amdhsa_user_sgpr_queue_ptr 0
		.amdhsa_user_sgpr_kernarg_segment_ptr 1
		.amdhsa_user_sgpr_dispatch_id 0
		.amdhsa_user_sgpr_flat_scratch_init 0
		.amdhsa_user_sgpr_private_segment_size 0
		.amdhsa_uses_dynamic_stack 0
		.amdhsa_system_sgpr_private_segment_wavefront_offset 0
		.amdhsa_system_sgpr_workgroup_id_x 1
		.amdhsa_system_sgpr_workgroup_id_y 0
		.amdhsa_system_sgpr_workgroup_id_z 0
		.amdhsa_system_sgpr_workgroup_info 0
		.amdhsa_system_vgpr_workitem_id 0
		.amdhsa_next_free_vgpr 32
		.amdhsa_next_free_sgpr 61
		.amdhsa_reserve_vcc 1
		.amdhsa_reserve_flat_scratch 0
		.amdhsa_float_round_mode_32 0
		.amdhsa_float_round_mode_16_64 0
		.amdhsa_float_denorm_mode_32 3
		.amdhsa_float_denorm_mode_16_64 3
		.amdhsa_dx10_clamp 1
		.amdhsa_ieee_mode 1
		.amdhsa_fp16_overflow 0
		.amdhsa_exception_fp_ieee_invalid_op 0
		.amdhsa_exception_fp_denorm_src 0
		.amdhsa_exception_fp_ieee_div_zero 0
		.amdhsa_exception_fp_ieee_overflow 0
		.amdhsa_exception_fp_ieee_underflow 0
		.amdhsa_exception_fp_ieee_inexact 0
		.amdhsa_exception_int_div_zero 0
	.end_amdhsa_kernel
	.section	.text._ZN9rocsparseL20bsrxmvn_17_32_kernelILj26E21rocsparse_complex_numIdEllS2_S2_S2_EEvT2_20rocsparse_direction_NS_24const_host_device_scalarIT0_EES3_PKS3_PKT1_SC_S9_PKT3_PKT4_S7_PT5_21rocsparse_index_base_b,"axG",@progbits,_ZN9rocsparseL20bsrxmvn_17_32_kernelILj26E21rocsparse_complex_numIdEllS2_S2_S2_EEvT2_20rocsparse_direction_NS_24const_host_device_scalarIT0_EES3_PKS3_PKT1_SC_S9_PKT3_PKT4_S7_PT5_21rocsparse_index_base_b,comdat
.Lfunc_end185:
	.size	_ZN9rocsparseL20bsrxmvn_17_32_kernelILj26E21rocsparse_complex_numIdEllS2_S2_S2_EEvT2_20rocsparse_direction_NS_24const_host_device_scalarIT0_EES3_PKS3_PKT1_SC_S9_PKT3_PKT4_S7_PT5_21rocsparse_index_base_b, .Lfunc_end185-_ZN9rocsparseL20bsrxmvn_17_32_kernelILj26E21rocsparse_complex_numIdEllS2_S2_S2_EEvT2_20rocsparse_direction_NS_24const_host_device_scalarIT0_EES3_PKS3_PKT1_SC_S9_PKT3_PKT4_S7_PT5_21rocsparse_index_base_b
                                        ; -- End function
	.set _ZN9rocsparseL20bsrxmvn_17_32_kernelILj26E21rocsparse_complex_numIdEllS2_S2_S2_EEvT2_20rocsparse_direction_NS_24const_host_device_scalarIT0_EES3_PKS3_PKT1_SC_S9_PKT3_PKT4_S7_PT5_21rocsparse_index_base_b.num_vgpr, 32
	.set _ZN9rocsparseL20bsrxmvn_17_32_kernelILj26E21rocsparse_complex_numIdEllS2_S2_S2_EEvT2_20rocsparse_direction_NS_24const_host_device_scalarIT0_EES3_PKS3_PKT1_SC_S9_PKT3_PKT4_S7_PT5_21rocsparse_index_base_b.num_agpr, 0
	.set _ZN9rocsparseL20bsrxmvn_17_32_kernelILj26E21rocsparse_complex_numIdEllS2_S2_S2_EEvT2_20rocsparse_direction_NS_24const_host_device_scalarIT0_EES3_PKS3_PKT1_SC_S9_PKT3_PKT4_S7_PT5_21rocsparse_index_base_b.numbered_sgpr, 22
	.set _ZN9rocsparseL20bsrxmvn_17_32_kernelILj26E21rocsparse_complex_numIdEllS2_S2_S2_EEvT2_20rocsparse_direction_NS_24const_host_device_scalarIT0_EES3_PKS3_PKT1_SC_S9_PKT3_PKT4_S7_PT5_21rocsparse_index_base_b.num_named_barrier, 0
	.set _ZN9rocsparseL20bsrxmvn_17_32_kernelILj26E21rocsparse_complex_numIdEllS2_S2_S2_EEvT2_20rocsparse_direction_NS_24const_host_device_scalarIT0_EES3_PKS3_PKT1_SC_S9_PKT3_PKT4_S7_PT5_21rocsparse_index_base_b.private_seg_size, 0
	.set _ZN9rocsparseL20bsrxmvn_17_32_kernelILj26E21rocsparse_complex_numIdEllS2_S2_S2_EEvT2_20rocsparse_direction_NS_24const_host_device_scalarIT0_EES3_PKS3_PKT1_SC_S9_PKT3_PKT4_S7_PT5_21rocsparse_index_base_b.uses_vcc, 1
	.set _ZN9rocsparseL20bsrxmvn_17_32_kernelILj26E21rocsparse_complex_numIdEllS2_S2_S2_EEvT2_20rocsparse_direction_NS_24const_host_device_scalarIT0_EES3_PKS3_PKT1_SC_S9_PKT3_PKT4_S7_PT5_21rocsparse_index_base_b.uses_flat_scratch, 0
	.set _ZN9rocsparseL20bsrxmvn_17_32_kernelILj26E21rocsparse_complex_numIdEllS2_S2_S2_EEvT2_20rocsparse_direction_NS_24const_host_device_scalarIT0_EES3_PKS3_PKT1_SC_S9_PKT3_PKT4_S7_PT5_21rocsparse_index_base_b.has_dyn_sized_stack, 0
	.set _ZN9rocsparseL20bsrxmvn_17_32_kernelILj26E21rocsparse_complex_numIdEllS2_S2_S2_EEvT2_20rocsparse_direction_NS_24const_host_device_scalarIT0_EES3_PKS3_PKT1_SC_S9_PKT3_PKT4_S7_PT5_21rocsparse_index_base_b.has_recursion, 0
	.set _ZN9rocsparseL20bsrxmvn_17_32_kernelILj26E21rocsparse_complex_numIdEllS2_S2_S2_EEvT2_20rocsparse_direction_NS_24const_host_device_scalarIT0_EES3_PKS3_PKT1_SC_S9_PKT3_PKT4_S7_PT5_21rocsparse_index_base_b.has_indirect_call, 0
	.section	.AMDGPU.csdata,"",@progbits
; Kernel info:
; codeLenInByte = 1724
; TotalNumSgprs: 26
; NumVgprs: 32
; ScratchSize: 0
; MemoryBound: 1
; FloatMode: 240
; IeeeMode: 1
; LDSByteSize: 10816 bytes/workgroup (compile time only)
; SGPRBlocks: 8
; VGPRBlocks: 7
; NumSGPRsForWavesPerEU: 65
; NumVGPRsForWavesPerEU: 32
; Occupancy: 8
; WaveLimiterHint : 1
; COMPUTE_PGM_RSRC2:SCRATCH_EN: 0
; COMPUTE_PGM_RSRC2:USER_SGPR: 6
; COMPUTE_PGM_RSRC2:TRAP_HANDLER: 0
; COMPUTE_PGM_RSRC2:TGID_X_EN: 1
; COMPUTE_PGM_RSRC2:TGID_Y_EN: 0
; COMPUTE_PGM_RSRC2:TGID_Z_EN: 0
; COMPUTE_PGM_RSRC2:TIDIG_COMP_CNT: 0
	.section	.text._ZN9rocsparseL20bsrxmvn_17_32_kernelILj27E21rocsparse_complex_numIdEllS2_S2_S2_EEvT2_20rocsparse_direction_NS_24const_host_device_scalarIT0_EES3_PKS3_PKT1_SC_S9_PKT3_PKT4_S7_PT5_21rocsparse_index_base_b,"axG",@progbits,_ZN9rocsparseL20bsrxmvn_17_32_kernelILj27E21rocsparse_complex_numIdEllS2_S2_S2_EEvT2_20rocsparse_direction_NS_24const_host_device_scalarIT0_EES3_PKS3_PKT1_SC_S9_PKT3_PKT4_S7_PT5_21rocsparse_index_base_b,comdat
	.globl	_ZN9rocsparseL20bsrxmvn_17_32_kernelILj27E21rocsparse_complex_numIdEllS2_S2_S2_EEvT2_20rocsparse_direction_NS_24const_host_device_scalarIT0_EES3_PKS3_PKT1_SC_S9_PKT3_PKT4_S7_PT5_21rocsparse_index_base_b ; -- Begin function _ZN9rocsparseL20bsrxmvn_17_32_kernelILj27E21rocsparse_complex_numIdEllS2_S2_S2_EEvT2_20rocsparse_direction_NS_24const_host_device_scalarIT0_EES3_PKS3_PKT1_SC_S9_PKT3_PKT4_S7_PT5_21rocsparse_index_base_b
	.p2align	8
	.type	_ZN9rocsparseL20bsrxmvn_17_32_kernelILj27E21rocsparse_complex_numIdEllS2_S2_S2_EEvT2_20rocsparse_direction_NS_24const_host_device_scalarIT0_EES3_PKS3_PKT1_SC_S9_PKT3_PKT4_S7_PT5_21rocsparse_index_base_b,@function
_ZN9rocsparseL20bsrxmvn_17_32_kernelILj27E21rocsparse_complex_numIdEllS2_S2_S2_EEvT2_20rocsparse_direction_NS_24const_host_device_scalarIT0_EES3_PKS3_PKT1_SC_S9_PKT3_PKT4_S7_PT5_21rocsparse_index_base_b: ; @_ZN9rocsparseL20bsrxmvn_17_32_kernelILj27E21rocsparse_complex_numIdEllS2_S2_S2_EEvT2_20rocsparse_direction_NS_24const_host_device_scalarIT0_EES3_PKS3_PKT1_SC_S9_PKT3_PKT4_S7_PT5_21rocsparse_index_base_b
; %bb.0:
	s_load_dwordx2 s[0:1], s[4:5], 0x10
	s_load_dwordx2 s[14:15], s[4:5], 0x70
	s_add_u32 s7, s4, 16
	s_addc_u32 s8, s5, 0
	s_add_u32 s9, s4, 0x58
	s_addc_u32 s10, s5, 0
	s_waitcnt lgkmcnt(0)
	s_bitcmp1_b32 s15, 0
	s_cselect_b32 s1, s8, s1
	s_cselect_b32 s0, s7, s0
	v_mov_b32_e32 v1, s0
	v_mov_b32_e32 v2, s1
	flat_load_dwordx4 v[5:8], v[1:2]
	s_load_dwordx2 s[2:3], s[4:5], 0x58
	s_waitcnt lgkmcnt(0)
	s_cselect_b32 s0, s10, s3
	s_cselect_b32 s1, s9, s2
	v_mov_b32_e32 v1, s1
	v_mov_b32_e32 v2, s0
	flat_load_dwordx4 v[1:4], v[1:2]
	s_waitcnt vmcnt(0)
	v_cmp_eq_f64_e32 vcc, 0, v[5:6]
	v_cmp_eq_f64_e64 s[0:1], 0, v[7:8]
	s_and_b64 s[8:9], vcc, s[0:1]
	s_mov_b64 s[0:1], -1
	s_and_saveexec_b64 s[2:3], s[8:9]
	s_cbranch_execz .LBB186_2
; %bb.1:
	s_waitcnt lgkmcnt(0)
	v_cmp_neq_f64_e32 vcc, 1.0, v[1:2]
	v_cmp_neq_f64_e64 s[0:1], 0, v[3:4]
	s_or_b64 s[0:1], vcc, s[0:1]
	s_orn2_b64 s[0:1], s[0:1], exec
.LBB186_2:
	s_or_b64 exec, exec, s[2:3]
	s_and_saveexec_b64 s[2:3], s[0:1]
	s_cbranch_execz .LBB186_39
; %bb.3:
	s_load_dwordx4 s[0:3], s[4:5], 0x28
	s_load_dwordx2 s[8:9], s[4:5], 0x38
	s_mov_b32 s7, 0
	s_waitcnt lgkmcnt(0)
	s_cmp_eq_u64 s[0:1], 0
	s_cbranch_scc1 .LBB186_5
; %bb.4:
	s_lshl_b64 s[6:7], s[6:7], 3
	s_add_u32 s0, s0, s6
	s_addc_u32 s1, s1, s7
	s_load_dwordx2 s[0:1], s[0:1], 0x0
	s_waitcnt lgkmcnt(0)
	s_sub_u32 s6, s0, s14
	s_subb_u32 s7, s1, 0
.LBB186_5:
	s_load_dword s10, s[4:5], 0x8
	s_load_dwordx2 s[12:13], s[4:5], 0x68
	v_mul_u32_u24_e32 v14, 0x97c, v0
	v_mov_b32_e32 v9, 27
	v_mul_lo_u16_sdwa v9, v14, v9 dst_sel:DWORD dst_unused:UNUSED_PAD src0_sel:WORD_1 src1_sel:DWORD
	s_waitcnt lgkmcnt(0)
	s_cmp_eq_u32 s10, 1
	s_cselect_b64 s[0:1], -1, 0
	s_cmp_lg_u32 s10, 1
	s_cselect_b64 s[16:17], -1, 0
	s_lshl_b64 s[10:11], s[6:7], 3
	s_add_u32 s20, s2, s10
	s_addc_u32 s21, s3, s11
	s_add_u32 s2, s20, 8
	s_addc_u32 s3, s21, 0
	;; [unrolled: 2-line block ×3, first 2 shown]
	s_cmp_eq_u64 s[8:9], 0
	s_cselect_b32 s9, s3, s11
	s_cselect_b32 s8, s2, s10
	s_load_dwordx2 s[2:3], s[8:9], 0x0
	s_load_dwordx2 s[18:19], s[20:21], 0x0
	v_sub_u16_e32 v22, v0, v9
	v_mov_b32_e32 v11, 0
	v_mov_b32_e32 v13, 0
	s_waitcnt lgkmcnt(0)
	v_mov_b32_e32 v10, s3
	v_mov_b32_e32 v9, s2
	v_cmp_ge_i64_e32 vcc, s[18:19], v[9:10]
	v_mov_b32_e32 v9, 0
	v_mov_b32_e32 v12, 0
	v_lshlrev_b32_e32 v21, 4, v0
	v_mov_b32_e32 v10, 0
	s_cbranch_vccnz .LBB186_10
; %bb.6:
	s_load_dwordx2 s[20:21], s[4:5], 0x50
	s_load_dwordx4 s[8:11], s[4:5], 0x40
	s_mov_b32 s4, 0xffff
	s_movk_i32 s5, 0x2d9
	v_and_b32_sdwa v9, s4, v14 dst_sel:DWORD dst_unused:UNUSED_PAD src0_sel:DWORD src1_sel:WORD_1
	s_sub_u32 s2, s2, s14
	v_subrev_u32_e32 v10, 27, v9
	v_cmp_gt_u32_e32 vcc, s5, v0
	s_subb_u32 s3, s3, 0
	v_cndmask_b32_e32 v9, v10, v9, vcc
	s_sub_u32 s4, s18, s14
	v_cndmask_b32_e64 v12, v22, v9, s[0:1]
	s_subb_u32 s5, s19, 0
	v_lshlrev_b64 v[9:10], 4, v[12:13]
	s_mul_i32 s0, s5, 0x2d90
	s_mul_hi_u32 s1, s4, 0x2d90
	s_add_i32 s1, s1, s0
	s_mul_i32 s0, s4, 0x2d90
	s_waitcnt lgkmcnt(0)
	v_mov_b32_e32 v11, s21
	v_add_co_u32_e32 v13, vcc, s20, v9
	s_add_u32 s0, s10, s0
	v_addc_co_u32_e32 v14, vcc, v11, v10, vcc
	s_addc_u32 s1, s11, s1
	v_mov_b32_e32 v9, s1
	v_add_co_u32_e32 v15, vcc, s0, v21
	v_addc_co_u32_e32 v16, vcc, 0, v9, vcc
	s_movk_i32 s0, 0x2d8
	v_cmp_lt_u32_e32 vcc, s0, v0
	v_cndmask_b32_e64 v23, 0, 1, vcc
	v_mov_b32_e32 v9, s19
	v_add_co_u32_e32 v10, vcc, s18, v23
	v_addc_co_u32_e32 v11, vcc, 0, v9, vcc
	v_subrev_co_u32_e32 v9, vcc, s14, v10
	v_subbrev_co_u32_e32 v10, vcc, 0, v11, vcc
	v_lshlrev_b64 v[9:10], 3, v[9:10]
	v_mov_b32_e32 v11, s9
	v_add_co_u32_e32 v17, vcc, s8, v9
	v_addc_co_u32_e32 v18, vcc, v11, v10, vcc
	v_mov_b32_e32 v11, 0
	v_mov_b32_e32 v12, 0
	;; [unrolled: 1-line block ×4, first 2 shown]
	s_movk_i32 s8, 0x1b0
	v_mov_b32_e32 v19, s2
	v_mov_b32_e32 v10, v12
	s_branch .LBB186_8
.LBB186_7:                              ;   in Loop: Header=BB186_8 Depth=1
	s_or_b64 exec, exec, s[0:1]
	s_add_u32 s4, s4, 1
	s_addc_u32 s5, s5, 0
	v_cmp_lt_i64_e32 vcc, s[4:5], v[19:20]
	v_add_co_u32_e64 v17, s[0:1], 8, v17
	v_addc_co_u32_e64 v18, s[0:1], 0, v18, s[0:1]
	s_cbranch_vccz .LBB186_10
.LBB186_8:                              ; =>This Inner Loop Header: Depth=1
	v_mov_b32_e32 v25, s5
	v_add_co_u32_e32 v24, vcc, s4, v23
	v_addc_co_u32_e32 v25, vcc, 0, v25, vcc
	v_cmp_gt_i64_e32 vcc, s[2:3], v[24:25]
	s_and_saveexec_b64 s[0:1], vcc
	s_cbranch_execz .LBB186_7
; %bb.9:                                ;   in Loop: Header=BB186_8 Depth=1
	global_load_dwordx2 v[24:25], v[17:18], off
	s_waitcnt vmcnt(0)
	v_subrev_co_u32_e32 v24, vcc, s14, v24
	v_mad_u64_u32 v[28:29], s[10:11], v24, s8, v[13:14]
	v_subbrev_co_u32_e32 v25, vcc, 0, v25, vcc
	v_mov_b32_e32 v24, v29
	v_mad_u64_u32 v[29:30], s[10:11], v25, s8, v[24:25]
	global_load_dwordx4 v[24:27], v[15:16], off
	s_nop 0
	global_load_dwordx4 v[28:31], v[28:29], off
	v_add_co_u32_e32 v15, vcc, 0x2d90, v15
	v_addc_co_u32_e32 v16, vcc, 0, v16, vcc
	s_waitcnt vmcnt(0)
	v_fma_f64 v[9:10], v[24:25], v[28:29], v[9:10]
	v_fma_f64 v[11:12], v[26:27], v[28:29], v[11:12]
	v_fma_f64 v[9:10], -v[26:27], v[30:31], v[9:10]
	v_fma_f64 v[11:12], v[24:25], v[30:31], v[11:12]
	s_branch .LBB186_7
.LBB186_10:
	s_and_b64 vcc, exec, s[16:17]
	ds_write_b128 v21, v[9:12]
	s_waitcnt lgkmcnt(0)
	s_barrier
	s_cbranch_vccz .LBB186_22
; %bb.11:
	v_cmp_gt_u16_e32 vcc, 11, v22
	s_and_saveexec_b64 s[0:1], vcc
	s_cbranch_execz .LBB186_13
; %bb.12:
	ds_read_b128 v[13:16], v21 offset:256
	ds_read_b128 v[17:20], v21
	s_waitcnt lgkmcnt(0)
	v_add_f64 v[13:14], v[13:14], v[17:18]
	v_add_f64 v[15:16], v[15:16], v[19:20]
	ds_write_b128 v21, v[13:16]
.LBB186_13:
	s_or_b64 exec, exec, s[0:1]
	v_cmp_gt_u16_e32 vcc, 8, v22
	s_waitcnt lgkmcnt(0)
	s_barrier
	s_and_saveexec_b64 s[0:1], vcc
	s_cbranch_execz .LBB186_15
; %bb.14:
	ds_read_b128 v[13:16], v21 offset:128
	ds_read_b128 v[17:20], v21
	s_waitcnt lgkmcnt(0)
	v_add_f64 v[13:14], v[13:14], v[17:18]
	v_add_f64 v[15:16], v[15:16], v[19:20]
	ds_write_b128 v21, v[13:16]
.LBB186_15:
	s_or_b64 exec, exec, s[0:1]
	v_cmp_gt_u16_e32 vcc, 4, v22
	s_waitcnt lgkmcnt(0)
	s_barrier
	;; [unrolled: 14-line block ×3, first 2 shown]
	s_and_saveexec_b64 s[0:1], vcc
	s_cbranch_execz .LBB186_19
; %bb.18:
	ds_read_b128 v[13:16], v21
	ds_read_b128 v[17:20], v21 offset:32
	s_waitcnt lgkmcnt(0)
	v_add_f64 v[13:14], v[17:18], v[13:14]
	v_add_f64 v[15:16], v[19:20], v[15:16]
	ds_write_b128 v21, v[13:16]
.LBB186_19:
	s_or_b64 exec, exec, s[0:1]
	v_mov_b32_e32 v16, v12
	v_mov_b32_e32 v14, v10
	v_cmp_gt_u32_e32 vcc, 27, v0
	v_mov_b32_e32 v15, v11
	v_mov_b32_e32 v13, v9
	s_waitcnt lgkmcnt(0)
	s_barrier
	s_and_saveexec_b64 s[0:1], vcc
	s_cbranch_execz .LBB186_21
; %bb.20:
	s_movk_i32 s2, 0x1a0
	v_mad_u32_u24 v17, v0, s2, v21
	ds_read_b128 v[13:16], v17
	ds_read_b128 v[17:20], v17 offset:16
	s_waitcnt lgkmcnt(0)
	v_add_f64 v[13:14], v[17:18], v[13:14]
	v_add_f64 v[15:16], v[19:20], v[15:16]
.LBB186_21:
	s_or_b64 exec, exec, s[0:1]
	s_branch .LBB186_34
.LBB186_22:
                                        ; implicit-def: $vgpr15_vgpr16
                                        ; implicit-def: $vgpr13_vgpr14
	s_cbranch_execz .LBB186_34
; %bb.23:
	s_movk_i32 s0, 0x129
	v_cmp_gt_u32_e32 vcc, s0, v0
	s_and_saveexec_b64 s[0:1], vcc
	s_cbranch_execz .LBB186_25
; %bb.24:
	ds_read_b128 v[13:16], v21 offset:6912
	ds_read_b128 v[17:20], v21
	s_waitcnt lgkmcnt(0)
	v_add_f64 v[13:14], v[13:14], v[17:18]
	v_add_f64 v[15:16], v[15:16], v[19:20]
	ds_write_b128 v21, v[13:16]
.LBB186_25:
	s_or_b64 exec, exec, s[0:1]
	s_movk_i32 s0, 0xd8
	v_cmp_gt_u32_e32 vcc, s0, v0
	s_waitcnt lgkmcnt(0)
	s_barrier
	s_and_saveexec_b64 s[0:1], vcc
	s_cbranch_execz .LBB186_27
; %bb.26:
	ds_read_b128 v[13:16], v21 offset:3456
	ds_read_b128 v[17:20], v21
	s_waitcnt lgkmcnt(0)
	v_add_f64 v[13:14], v[13:14], v[17:18]
	v_add_f64 v[15:16], v[15:16], v[19:20]
	ds_write_b128 v21, v[13:16]
.LBB186_27:
	s_or_b64 exec, exec, s[0:1]
	s_movk_i32 s0, 0x6c
	v_cmp_gt_u32_e32 vcc, s0, v0
	s_waitcnt lgkmcnt(0)
	s_barrier
	s_and_saveexec_b64 s[0:1], vcc
	s_cbranch_execz .LBB186_29
; %bb.28:
	ds_read_b128 v[13:16], v21 offset:1728
	ds_read_b128 v[17:20], v21
	s_waitcnt lgkmcnt(0)
	v_add_f64 v[13:14], v[13:14], v[17:18]
	v_add_f64 v[15:16], v[15:16], v[19:20]
	ds_write_b128 v21, v[13:16]
.LBB186_29:
	s_or_b64 exec, exec, s[0:1]
	v_cmp_gt_u32_e32 vcc, 54, v0
	s_waitcnt lgkmcnt(0)
	s_barrier
	s_and_saveexec_b64 s[0:1], vcc
	s_cbranch_execz .LBB186_31
; %bb.30:
	ds_read_b128 v[13:16], v21 offset:864
	ds_read_b128 v[17:20], v21
	s_waitcnt lgkmcnt(0)
	v_add_f64 v[13:14], v[13:14], v[17:18]
	v_add_f64 v[15:16], v[15:16], v[19:20]
	ds_write_b128 v21, v[13:16]
.LBB186_31:
	s_or_b64 exec, exec, s[0:1]
	v_cmp_gt_u32_e32 vcc, 27, v0
	s_waitcnt lgkmcnt(0)
	s_and_saveexec_b64 s[0:1], vcc
	s_cbranch_execz .LBB186_33
; %bb.32:
	ds_read_b128 v[9:12], v21 offset:432
	ds_read_b128 v[13:16], v21
	s_waitcnt lgkmcnt(0)
	v_add_f64 v[9:10], v[9:10], v[13:14]
	v_add_f64 v[11:12], v[11:12], v[15:16]
.LBB186_33:
	s_or_b64 exec, exec, s[0:1]
	v_mov_b32_e32 v16, v12
	v_mov_b32_e32 v14, v10
	;; [unrolled: 1-line block ×4, first 2 shown]
.LBB186_34:
	v_cmp_gt_u32_e32 vcc, 27, v0
	s_and_b64 exec, exec, vcc
	s_cbranch_execz .LBB186_39
; %bb.35:
	v_mul_f64 v[9:10], v[15:16], -v[7:8]
	v_mul_f64 v[11:12], v[5:6], v[15:16]
	v_cmp_eq_f64_e32 vcc, 0, v[1:2]
	v_cmp_eq_f64_e64 s[0:1], 0, v[3:4]
	s_mul_i32 s2, s7, 0x1b0
	s_mul_hi_u32 s3, s6, 0x1b0
	s_mul_i32 s4, s6, 0x1b0
	v_fma_f64 v[5:6], v[5:6], v[13:14], v[9:10]
	v_fma_f64 v[7:8], v[7:8], v[13:14], v[11:12]
	s_and_b64 s[0:1], vcc, s[0:1]
	s_and_saveexec_b64 s[6:7], s[0:1]
	s_xor_b64 s[0:1], exec, s[6:7]
	s_cbranch_execz .LBB186_37
; %bb.36:
	s_add_i32 s5, s3, s2
	s_add_u32 s6, s12, s4
	s_addc_u32 s7, s13, s5
	global_store_dwordx4 v21, v[5:8], s[6:7]
                                        ; implicit-def: $vgpr21
                                        ; implicit-def: $vgpr1_vgpr2
                                        ; implicit-def: $vgpr5_vgpr6
.LBB186_37:
	s_andn2_saveexec_b64 s[0:1], s[0:1]
	s_cbranch_execz .LBB186_39
; %bb.38:
	s_add_i32 s3, s3, s2
	s_add_u32 s0, s12, s4
	s_addc_u32 s1, s13, s3
	global_load_dwordx4 v[9:12], v21, s[0:1]
	s_waitcnt vmcnt(0)
	v_fma_f64 v[5:6], v[1:2], v[9:10], v[5:6]
	v_fma_f64 v[7:8], v[3:4], v[9:10], v[7:8]
	v_fma_f64 v[3:4], -v[3:4], v[11:12], v[5:6]
	v_fma_f64 v[5:6], v[1:2], v[11:12], v[7:8]
	global_store_dwordx4 v21, v[3:6], s[0:1]
.LBB186_39:
	s_endpgm
	.section	.rodata,"a",@progbits
	.p2align	6, 0x0
	.amdhsa_kernel _ZN9rocsparseL20bsrxmvn_17_32_kernelILj27E21rocsparse_complex_numIdEllS2_S2_S2_EEvT2_20rocsparse_direction_NS_24const_host_device_scalarIT0_EES3_PKS3_PKT1_SC_S9_PKT3_PKT4_S7_PT5_21rocsparse_index_base_b
		.amdhsa_group_segment_fixed_size 11664
		.amdhsa_private_segment_fixed_size 0
		.amdhsa_kernarg_size 120
		.amdhsa_user_sgpr_count 6
		.amdhsa_user_sgpr_private_segment_buffer 1
		.amdhsa_user_sgpr_dispatch_ptr 0
		.amdhsa_user_sgpr_queue_ptr 0
		.amdhsa_user_sgpr_kernarg_segment_ptr 1
		.amdhsa_user_sgpr_dispatch_id 0
		.amdhsa_user_sgpr_flat_scratch_init 0
		.amdhsa_user_sgpr_private_segment_size 0
		.amdhsa_uses_dynamic_stack 0
		.amdhsa_system_sgpr_private_segment_wavefront_offset 0
		.amdhsa_system_sgpr_workgroup_id_x 1
		.amdhsa_system_sgpr_workgroup_id_y 0
		.amdhsa_system_sgpr_workgroup_id_z 0
		.amdhsa_system_sgpr_workgroup_info 0
		.amdhsa_system_vgpr_workitem_id 0
		.amdhsa_next_free_vgpr 32
		.amdhsa_next_free_sgpr 61
		.amdhsa_reserve_vcc 1
		.amdhsa_reserve_flat_scratch 0
		.amdhsa_float_round_mode_32 0
		.amdhsa_float_round_mode_16_64 0
		.amdhsa_float_denorm_mode_32 3
		.amdhsa_float_denorm_mode_16_64 3
		.amdhsa_dx10_clamp 1
		.amdhsa_ieee_mode 1
		.amdhsa_fp16_overflow 0
		.amdhsa_exception_fp_ieee_invalid_op 0
		.amdhsa_exception_fp_denorm_src 0
		.amdhsa_exception_fp_ieee_div_zero 0
		.amdhsa_exception_fp_ieee_overflow 0
		.amdhsa_exception_fp_ieee_underflow 0
		.amdhsa_exception_fp_ieee_inexact 0
		.amdhsa_exception_int_div_zero 0
	.end_amdhsa_kernel
	.section	.text._ZN9rocsparseL20bsrxmvn_17_32_kernelILj27E21rocsparse_complex_numIdEllS2_S2_S2_EEvT2_20rocsparse_direction_NS_24const_host_device_scalarIT0_EES3_PKS3_PKT1_SC_S9_PKT3_PKT4_S7_PT5_21rocsparse_index_base_b,"axG",@progbits,_ZN9rocsparseL20bsrxmvn_17_32_kernelILj27E21rocsparse_complex_numIdEllS2_S2_S2_EEvT2_20rocsparse_direction_NS_24const_host_device_scalarIT0_EES3_PKS3_PKT1_SC_S9_PKT3_PKT4_S7_PT5_21rocsparse_index_base_b,comdat
.Lfunc_end186:
	.size	_ZN9rocsparseL20bsrxmvn_17_32_kernelILj27E21rocsparse_complex_numIdEllS2_S2_S2_EEvT2_20rocsparse_direction_NS_24const_host_device_scalarIT0_EES3_PKS3_PKT1_SC_S9_PKT3_PKT4_S7_PT5_21rocsparse_index_base_b, .Lfunc_end186-_ZN9rocsparseL20bsrxmvn_17_32_kernelILj27E21rocsparse_complex_numIdEllS2_S2_S2_EEvT2_20rocsparse_direction_NS_24const_host_device_scalarIT0_EES3_PKS3_PKT1_SC_S9_PKT3_PKT4_S7_PT5_21rocsparse_index_base_b
                                        ; -- End function
	.set _ZN9rocsparseL20bsrxmvn_17_32_kernelILj27E21rocsparse_complex_numIdEllS2_S2_S2_EEvT2_20rocsparse_direction_NS_24const_host_device_scalarIT0_EES3_PKS3_PKT1_SC_S9_PKT3_PKT4_S7_PT5_21rocsparse_index_base_b.num_vgpr, 32
	.set _ZN9rocsparseL20bsrxmvn_17_32_kernelILj27E21rocsparse_complex_numIdEllS2_S2_S2_EEvT2_20rocsparse_direction_NS_24const_host_device_scalarIT0_EES3_PKS3_PKT1_SC_S9_PKT3_PKT4_S7_PT5_21rocsparse_index_base_b.num_agpr, 0
	.set _ZN9rocsparseL20bsrxmvn_17_32_kernelILj27E21rocsparse_complex_numIdEllS2_S2_S2_EEvT2_20rocsparse_direction_NS_24const_host_device_scalarIT0_EES3_PKS3_PKT1_SC_S9_PKT3_PKT4_S7_PT5_21rocsparse_index_base_b.numbered_sgpr, 22
	.set _ZN9rocsparseL20bsrxmvn_17_32_kernelILj27E21rocsparse_complex_numIdEllS2_S2_S2_EEvT2_20rocsparse_direction_NS_24const_host_device_scalarIT0_EES3_PKS3_PKT1_SC_S9_PKT3_PKT4_S7_PT5_21rocsparse_index_base_b.num_named_barrier, 0
	.set _ZN9rocsparseL20bsrxmvn_17_32_kernelILj27E21rocsparse_complex_numIdEllS2_S2_S2_EEvT2_20rocsparse_direction_NS_24const_host_device_scalarIT0_EES3_PKS3_PKT1_SC_S9_PKT3_PKT4_S7_PT5_21rocsparse_index_base_b.private_seg_size, 0
	.set _ZN9rocsparseL20bsrxmvn_17_32_kernelILj27E21rocsparse_complex_numIdEllS2_S2_S2_EEvT2_20rocsparse_direction_NS_24const_host_device_scalarIT0_EES3_PKS3_PKT1_SC_S9_PKT3_PKT4_S7_PT5_21rocsparse_index_base_b.uses_vcc, 1
	.set _ZN9rocsparseL20bsrxmvn_17_32_kernelILj27E21rocsparse_complex_numIdEllS2_S2_S2_EEvT2_20rocsparse_direction_NS_24const_host_device_scalarIT0_EES3_PKS3_PKT1_SC_S9_PKT3_PKT4_S7_PT5_21rocsparse_index_base_b.uses_flat_scratch, 0
	.set _ZN9rocsparseL20bsrxmvn_17_32_kernelILj27E21rocsparse_complex_numIdEllS2_S2_S2_EEvT2_20rocsparse_direction_NS_24const_host_device_scalarIT0_EES3_PKS3_PKT1_SC_S9_PKT3_PKT4_S7_PT5_21rocsparse_index_base_b.has_dyn_sized_stack, 0
	.set _ZN9rocsparseL20bsrxmvn_17_32_kernelILj27E21rocsparse_complex_numIdEllS2_S2_S2_EEvT2_20rocsparse_direction_NS_24const_host_device_scalarIT0_EES3_PKS3_PKT1_SC_S9_PKT3_PKT4_S7_PT5_21rocsparse_index_base_b.has_recursion, 0
	.set _ZN9rocsparseL20bsrxmvn_17_32_kernelILj27E21rocsparse_complex_numIdEllS2_S2_S2_EEvT2_20rocsparse_direction_NS_24const_host_device_scalarIT0_EES3_PKS3_PKT1_SC_S9_PKT3_PKT4_S7_PT5_21rocsparse_index_base_b.has_indirect_call, 0
	.section	.AMDGPU.csdata,"",@progbits
; Kernel info:
; codeLenInByte = 1724
; TotalNumSgprs: 26
; NumVgprs: 32
; ScratchSize: 0
; MemoryBound: 1
; FloatMode: 240
; IeeeMode: 1
; LDSByteSize: 11664 bytes/workgroup (compile time only)
; SGPRBlocks: 8
; VGPRBlocks: 7
; NumSGPRsForWavesPerEU: 65
; NumVGPRsForWavesPerEU: 32
; Occupancy: 8
; WaveLimiterHint : 1
; COMPUTE_PGM_RSRC2:SCRATCH_EN: 0
; COMPUTE_PGM_RSRC2:USER_SGPR: 6
; COMPUTE_PGM_RSRC2:TRAP_HANDLER: 0
; COMPUTE_PGM_RSRC2:TGID_X_EN: 1
; COMPUTE_PGM_RSRC2:TGID_Y_EN: 0
; COMPUTE_PGM_RSRC2:TGID_Z_EN: 0
; COMPUTE_PGM_RSRC2:TIDIG_COMP_CNT: 0
	.section	.text._ZN9rocsparseL20bsrxmvn_17_32_kernelILj28E21rocsparse_complex_numIdEllS2_S2_S2_EEvT2_20rocsparse_direction_NS_24const_host_device_scalarIT0_EES3_PKS3_PKT1_SC_S9_PKT3_PKT4_S7_PT5_21rocsparse_index_base_b,"axG",@progbits,_ZN9rocsparseL20bsrxmvn_17_32_kernelILj28E21rocsparse_complex_numIdEllS2_S2_S2_EEvT2_20rocsparse_direction_NS_24const_host_device_scalarIT0_EES3_PKS3_PKT1_SC_S9_PKT3_PKT4_S7_PT5_21rocsparse_index_base_b,comdat
	.globl	_ZN9rocsparseL20bsrxmvn_17_32_kernelILj28E21rocsparse_complex_numIdEllS2_S2_S2_EEvT2_20rocsparse_direction_NS_24const_host_device_scalarIT0_EES3_PKS3_PKT1_SC_S9_PKT3_PKT4_S7_PT5_21rocsparse_index_base_b ; -- Begin function _ZN9rocsparseL20bsrxmvn_17_32_kernelILj28E21rocsparse_complex_numIdEllS2_S2_S2_EEvT2_20rocsparse_direction_NS_24const_host_device_scalarIT0_EES3_PKS3_PKT1_SC_S9_PKT3_PKT4_S7_PT5_21rocsparse_index_base_b
	.p2align	8
	.type	_ZN9rocsparseL20bsrxmvn_17_32_kernelILj28E21rocsparse_complex_numIdEllS2_S2_S2_EEvT2_20rocsparse_direction_NS_24const_host_device_scalarIT0_EES3_PKS3_PKT1_SC_S9_PKT3_PKT4_S7_PT5_21rocsparse_index_base_b,@function
_ZN9rocsparseL20bsrxmvn_17_32_kernelILj28E21rocsparse_complex_numIdEllS2_S2_S2_EEvT2_20rocsparse_direction_NS_24const_host_device_scalarIT0_EES3_PKS3_PKT1_SC_S9_PKT3_PKT4_S7_PT5_21rocsparse_index_base_b: ; @_ZN9rocsparseL20bsrxmvn_17_32_kernelILj28E21rocsparse_complex_numIdEllS2_S2_S2_EEvT2_20rocsparse_direction_NS_24const_host_device_scalarIT0_EES3_PKS3_PKT1_SC_S9_PKT3_PKT4_S7_PT5_21rocsparse_index_base_b
; %bb.0:
	s_load_dwordx2 s[0:1], s[4:5], 0x10
	s_load_dwordx2 s[14:15], s[4:5], 0x70
	s_add_u32 s7, s4, 16
	s_addc_u32 s8, s5, 0
	s_add_u32 s9, s4, 0x58
	s_addc_u32 s10, s5, 0
	s_waitcnt lgkmcnt(0)
	s_bitcmp1_b32 s15, 0
	s_cselect_b32 s1, s8, s1
	s_cselect_b32 s0, s7, s0
	v_mov_b32_e32 v1, s0
	v_mov_b32_e32 v2, s1
	flat_load_dwordx4 v[5:8], v[1:2]
	s_load_dwordx2 s[2:3], s[4:5], 0x58
	s_waitcnt lgkmcnt(0)
	s_cselect_b32 s0, s10, s3
	s_cselect_b32 s1, s9, s2
	v_mov_b32_e32 v1, s1
	v_mov_b32_e32 v2, s0
	flat_load_dwordx4 v[1:4], v[1:2]
	s_waitcnt vmcnt(0)
	v_cmp_eq_f64_e32 vcc, 0, v[5:6]
	v_cmp_eq_f64_e64 s[0:1], 0, v[7:8]
	s_and_b64 s[8:9], vcc, s[0:1]
	s_mov_b64 s[0:1], -1
	s_and_saveexec_b64 s[2:3], s[8:9]
	s_cbranch_execz .LBB187_2
; %bb.1:
	s_waitcnt lgkmcnt(0)
	v_cmp_neq_f64_e32 vcc, 1.0, v[1:2]
	v_cmp_neq_f64_e64 s[0:1], 0, v[3:4]
	s_or_b64 s[0:1], vcc, s[0:1]
	s_orn2_b64 s[0:1], s[0:1], exec
.LBB187_2:
	s_or_b64 exec, exec, s[2:3]
	s_and_saveexec_b64 s[2:3], s[0:1]
	s_cbranch_execz .LBB187_39
; %bb.3:
	s_load_dwordx4 s[0:3], s[4:5], 0x28
	s_load_dwordx2 s[8:9], s[4:5], 0x38
	s_mov_b32 s7, 0
	s_waitcnt lgkmcnt(0)
	s_cmp_eq_u64 s[0:1], 0
	s_cbranch_scc1 .LBB187_5
; %bb.4:
	s_lshl_b64 s[6:7], s[6:7], 3
	s_add_u32 s0, s0, s6
	s_addc_u32 s1, s1, s7
	s_load_dwordx2 s[0:1], s[0:1], 0x0
	s_waitcnt lgkmcnt(0)
	s_sub_u32 s6, s0, s14
	s_subb_u32 s7, s1, 0
.LBB187_5:
	s_load_dword s10, s[4:5], 0x8
	s_load_dwordx2 s[12:13], s[4:5], 0x68
	v_mul_u32_u24_e32 v14, 0x925, v0
	v_mov_b32_e32 v9, 28
	v_mul_lo_u16_sdwa v9, v14, v9 dst_sel:DWORD dst_unused:UNUSED_PAD src0_sel:WORD_1 src1_sel:DWORD
	s_waitcnt lgkmcnt(0)
	s_cmp_eq_u32 s10, 1
	s_cselect_b64 s[0:1], -1, 0
	s_cmp_lg_u32 s10, 1
	s_cselect_b64 s[16:17], -1, 0
	s_lshl_b64 s[10:11], s[6:7], 3
	s_add_u32 s20, s2, s10
	s_addc_u32 s21, s3, s11
	s_add_u32 s2, s20, 8
	s_addc_u32 s3, s21, 0
	;; [unrolled: 2-line block ×3, first 2 shown]
	s_cmp_eq_u64 s[8:9], 0
	s_cselect_b32 s9, s3, s11
	s_cselect_b32 s8, s2, s10
	s_load_dwordx2 s[2:3], s[8:9], 0x0
	s_load_dwordx2 s[18:19], s[20:21], 0x0
	v_sub_u16_e32 v20, v0, v9
	v_mov_b32_e32 v11, 0
	v_mov_b32_e32 v13, 0
	s_waitcnt lgkmcnt(0)
	v_mov_b32_e32 v10, s3
	v_mov_b32_e32 v9, s2
	v_cmp_ge_i64_e32 vcc, s[18:19], v[9:10]
	v_mov_b32_e32 v9, 0
	v_mov_b32_e32 v12, 0
	v_lshlrev_b32_e32 v19, 4, v0
	v_mov_b32_e32 v10, 0
	s_cbranch_vccnz .LBB187_10
; %bb.6:
	s_load_dwordx2 s[20:21], s[4:5], 0x50
	s_load_dwordx4 s[8:11], s[4:5], 0x40
	s_mov_b32 s4, 0xffff
	s_movk_i32 s5, 0x310
	v_and_b32_sdwa v9, s4, v14 dst_sel:DWORD dst_unused:UNUSED_PAD src0_sel:DWORD src1_sel:WORD_1
	s_sub_u32 s2, s2, s14
	v_subrev_u32_e32 v10, 28, v9
	v_cmp_gt_u32_e32 vcc, s5, v0
	s_subb_u32 s3, s3, 0
	v_cndmask_b32_e32 v9, v10, v9, vcc
	s_sub_u32 s4, s18, s14
	v_cndmask_b32_e64 v12, v20, v9, s[0:1]
	s_subb_u32 s5, s19, 0
	v_lshlrev_b64 v[9:10], 4, v[12:13]
	s_mul_i32 s0, s5, 0x3100
	s_mul_hi_u32 s1, s4, 0x3100
	s_add_i32 s1, s1, s0
	s_mul_i32 s0, s4, 0x3100
	s_waitcnt lgkmcnt(0)
	v_mov_b32_e32 v11, s21
	v_add_co_u32_e32 v13, vcc, s20, v9
	s_add_u32 s0, s10, s0
	v_addc_co_u32_e32 v14, vcc, v11, v10, vcc
	s_addc_u32 s1, s11, s1
	v_mov_b32_e32 v9, s1
	v_add_co_u32_e32 v15, vcc, s0, v19
	v_addc_co_u32_e32 v16, vcc, 0, v9, vcc
	s_movk_i32 s0, 0x30f
	v_cmp_lt_u32_e32 vcc, s0, v0
	v_cndmask_b32_e64 v21, 0, 1, vcc
	v_mov_b32_e32 v9, s19
	v_add_co_u32_e32 v10, vcc, s18, v21
	v_addc_co_u32_e32 v11, vcc, 0, v9, vcc
	v_subrev_co_u32_e32 v9, vcc, s14, v10
	v_subbrev_co_u32_e32 v10, vcc, 0, v11, vcc
	v_lshlrev_b64 v[9:10], 3, v[9:10]
	v_mov_b32_e32 v11, s9
	v_add_co_u32_e32 v17, vcc, s8, v9
	v_addc_co_u32_e32 v18, vcc, v11, v10, vcc
	v_mov_b32_e32 v11, 0
	v_mov_b32_e32 v12, 0
	;; [unrolled: 1-line block ×3, first 2 shown]
	s_movk_i32 s8, 0x1c0
	v_mov_b32_e32 v10, v12
	s_branch .LBB187_8
.LBB187_7:                              ;   in Loop: Header=BB187_8 Depth=1
	s_or_b64 exec, exec, s[0:1]
	s_add_u32 s4, s4, 1
	v_mov_b32_e32 v23, s3
	s_addc_u32 s5, s5, 0
	v_mov_b32_e32 v22, s2
	v_cmp_lt_i64_e32 vcc, s[4:5], v[22:23]
	v_add_co_u32_e64 v17, s[0:1], 8, v17
	v_addc_co_u32_e64 v18, s[0:1], 0, v18, s[0:1]
	s_cbranch_vccz .LBB187_10
.LBB187_8:                              ; =>This Inner Loop Header: Depth=1
	v_mov_b32_e32 v23, s5
	v_add_co_u32_e32 v22, vcc, s4, v21
	v_addc_co_u32_e32 v23, vcc, 0, v23, vcc
	v_cmp_gt_i64_e32 vcc, s[2:3], v[22:23]
	s_and_saveexec_b64 s[0:1], vcc
	s_cbranch_execz .LBB187_7
; %bb.9:                                ;   in Loop: Header=BB187_8 Depth=1
	global_load_dwordx2 v[22:23], v[17:18], off
	s_waitcnt vmcnt(0)
	v_subrev_co_u32_e32 v22, vcc, s14, v22
	v_mad_u64_u32 v[26:27], s[10:11], v22, s8, v[13:14]
	v_subbrev_co_u32_e32 v23, vcc, 0, v23, vcc
	v_mov_b32_e32 v22, v27
	v_mad_u64_u32 v[27:28], s[10:11], v23, s8, v[22:23]
	global_load_dwordx4 v[22:25], v[15:16], off
	s_nop 0
	global_load_dwordx4 v[26:29], v[26:27], off
	v_add_co_u32_e32 v15, vcc, 0x3100, v15
	v_addc_co_u32_e32 v16, vcc, 0, v16, vcc
	s_waitcnt vmcnt(0)
	v_fma_f64 v[9:10], v[22:23], v[26:27], v[9:10]
	v_fma_f64 v[11:12], v[24:25], v[26:27], v[11:12]
	v_fma_f64 v[9:10], -v[24:25], v[28:29], v[9:10]
	v_fma_f64 v[11:12], v[22:23], v[28:29], v[11:12]
	s_branch .LBB187_7
.LBB187_10:
	s_and_b64 vcc, exec, s[16:17]
	ds_write_b128 v19, v[9:12]
	s_waitcnt lgkmcnt(0)
	s_barrier
	s_cbranch_vccz .LBB187_22
; %bb.11:
	v_cmp_gt_u16_e32 vcc, 12, v20
	s_and_saveexec_b64 s[0:1], vcc
	s_cbranch_execz .LBB187_13
; %bb.12:
	ds_read_b128 v[13:16], v19 offset:256
	ds_read_b128 v[21:24], v19
	s_waitcnt lgkmcnt(0)
	v_add_f64 v[13:14], v[13:14], v[21:22]
	v_add_f64 v[15:16], v[15:16], v[23:24]
	ds_write_b128 v19, v[13:16]
.LBB187_13:
	s_or_b64 exec, exec, s[0:1]
	v_cmp_gt_u16_e32 vcc, 8, v20
	s_waitcnt lgkmcnt(0)
	s_barrier
	s_and_saveexec_b64 s[0:1], vcc
	s_cbranch_execz .LBB187_15
; %bb.14:
	ds_read_b128 v[13:16], v19 offset:128
	ds_read_b128 v[21:24], v19
	s_waitcnt lgkmcnt(0)
	v_add_f64 v[13:14], v[13:14], v[21:22]
	v_add_f64 v[15:16], v[15:16], v[23:24]
	ds_write_b128 v19, v[13:16]
.LBB187_15:
	s_or_b64 exec, exec, s[0:1]
	v_cmp_gt_u16_e32 vcc, 4, v20
	s_waitcnt lgkmcnt(0)
	s_barrier
	s_and_saveexec_b64 s[0:1], vcc
	s_cbranch_execz .LBB187_17
; %bb.16:
	ds_read_b128 v[13:16], v19 offset:64
	ds_read_b128 v[21:24], v19
	s_waitcnt lgkmcnt(0)
	v_add_f64 v[13:14], v[13:14], v[21:22]
	v_add_f64 v[15:16], v[15:16], v[23:24]
	ds_write_b128 v19, v[13:16]
.LBB187_17:
	s_or_b64 exec, exec, s[0:1]
	v_cmp_gt_u16_e32 vcc, 2, v20
	s_waitcnt lgkmcnt(0)
	s_barrier
	s_and_saveexec_b64 s[0:1], vcc
	s_cbranch_execz .LBB187_19
; %bb.18:
	ds_read_b128 v[13:16], v19
	ds_read_b128 v[20:23], v19 offset:32
	s_waitcnt lgkmcnt(0)
	v_add_f64 v[13:14], v[20:21], v[13:14]
	v_add_f64 v[15:16], v[22:23], v[15:16]
	ds_write_b128 v19, v[13:16]
.LBB187_19:
	s_or_b64 exec, exec, s[0:1]
	v_mov_b32_e32 v16, v12
	v_mov_b32_e32 v14, v10
	v_cmp_gt_u32_e32 vcc, 28, v0
	v_mov_b32_e32 v15, v11
	v_mov_b32_e32 v13, v9
	s_waitcnt lgkmcnt(0)
	s_barrier
	s_and_saveexec_b64 s[0:1], vcc
	s_cbranch_execz .LBB187_21
; %bb.20:
	s_movk_i32 s2, 0x1b0
	v_mad_u32_u24 v17, v0, s2, v19
	ds_read_b128 v[13:16], v17
	ds_read_b128 v[20:23], v17 offset:16
	s_waitcnt lgkmcnt(0)
	v_add_f64 v[13:14], v[20:21], v[13:14]
	v_add_f64 v[15:16], v[22:23], v[15:16]
.LBB187_21:
	s_or_b64 exec, exec, s[0:1]
	s_branch .LBB187_34
.LBB187_22:
                                        ; implicit-def: $vgpr15_vgpr16
                                        ; implicit-def: $vgpr13_vgpr14
	s_cbranch_execz .LBB187_34
; %bb.23:
	s_movk_i32 s0, 0x150
	v_cmp_gt_u32_e32 vcc, s0, v0
	s_and_saveexec_b64 s[0:1], vcc
	s_cbranch_execz .LBB187_25
; %bb.24:
	ds_read_b128 v[13:16], v19 offset:7168
	ds_read_b128 v[20:23], v19
	s_waitcnt lgkmcnt(0)
	v_add_f64 v[13:14], v[13:14], v[20:21]
	v_add_f64 v[15:16], v[15:16], v[22:23]
	ds_write_b128 v19, v[13:16]
.LBB187_25:
	s_or_b64 exec, exec, s[0:1]
	s_movk_i32 s0, 0xe0
	v_cmp_gt_u32_e32 vcc, s0, v0
	s_waitcnt lgkmcnt(0)
	s_barrier
	s_and_saveexec_b64 s[0:1], vcc
	s_cbranch_execz .LBB187_27
; %bb.26:
	ds_read_b128 v[13:16], v19 offset:3584
	ds_read_b128 v[20:23], v19
	s_waitcnt lgkmcnt(0)
	v_add_f64 v[13:14], v[13:14], v[20:21]
	v_add_f64 v[15:16], v[15:16], v[22:23]
	ds_write_b128 v19, v[13:16]
.LBB187_27:
	s_or_b64 exec, exec, s[0:1]
	s_movk_i32 s0, 0x70
	v_cmp_gt_u32_e32 vcc, s0, v0
	s_waitcnt lgkmcnt(0)
	s_barrier
	s_and_saveexec_b64 s[0:1], vcc
	s_cbranch_execz .LBB187_29
; %bb.28:
	ds_read_b128 v[13:16], v19 offset:1792
	ds_read_b128 v[20:23], v19
	s_waitcnt lgkmcnt(0)
	v_add_f64 v[13:14], v[13:14], v[20:21]
	v_add_f64 v[15:16], v[15:16], v[22:23]
	ds_write_b128 v19, v[13:16]
.LBB187_29:
	s_or_b64 exec, exec, s[0:1]
	v_cmp_gt_u32_e32 vcc, 56, v0
	s_waitcnt lgkmcnt(0)
	s_barrier
	s_and_saveexec_b64 s[0:1], vcc
	s_cbranch_execz .LBB187_31
; %bb.30:
	ds_read_b128 v[13:16], v19 offset:896
	ds_read_b128 v[20:23], v19
	s_waitcnt lgkmcnt(0)
	v_add_f64 v[13:14], v[13:14], v[20:21]
	v_add_f64 v[15:16], v[15:16], v[22:23]
	ds_write_b128 v19, v[13:16]
.LBB187_31:
	s_or_b64 exec, exec, s[0:1]
	v_cmp_gt_u32_e32 vcc, 28, v0
	s_waitcnt lgkmcnt(0)
	s_and_saveexec_b64 s[0:1], vcc
	s_cbranch_execz .LBB187_33
; %bb.32:
	ds_read_b128 v[9:12], v19 offset:448
	ds_read_b128 v[13:16], v19
	s_waitcnt lgkmcnt(0)
	v_add_f64 v[9:10], v[9:10], v[13:14]
	v_add_f64 v[11:12], v[11:12], v[15:16]
.LBB187_33:
	s_or_b64 exec, exec, s[0:1]
	v_mov_b32_e32 v16, v12
	v_mov_b32_e32 v14, v10
	;; [unrolled: 1-line block ×4, first 2 shown]
.LBB187_34:
	v_cmp_gt_u32_e32 vcc, 28, v0
	s_and_b64 exec, exec, vcc
	s_cbranch_execz .LBB187_39
; %bb.35:
	v_mul_f64 v[9:10], v[15:16], -v[7:8]
	v_mul_f64 v[11:12], v[5:6], v[15:16]
	v_cmp_eq_f64_e32 vcc, 0, v[1:2]
	v_cmp_eq_f64_e64 s[0:1], 0, v[3:4]
	s_mul_i32 s2, s7, 0x1c0
	s_mul_hi_u32 s3, s6, 0x1c0
	s_mul_i32 s4, s6, 0x1c0
	v_fma_f64 v[5:6], v[5:6], v[13:14], v[9:10]
	v_fma_f64 v[7:8], v[7:8], v[13:14], v[11:12]
	s_and_b64 s[0:1], vcc, s[0:1]
	s_and_saveexec_b64 s[6:7], s[0:1]
	s_xor_b64 s[0:1], exec, s[6:7]
	s_cbranch_execz .LBB187_37
; %bb.36:
	s_add_i32 s5, s3, s2
	s_add_u32 s6, s12, s4
	s_addc_u32 s7, s13, s5
	global_store_dwordx4 v19, v[5:8], s[6:7]
                                        ; implicit-def: $vgpr19
                                        ; implicit-def: $vgpr1_vgpr2
                                        ; implicit-def: $vgpr5_vgpr6
.LBB187_37:
	s_andn2_saveexec_b64 s[0:1], s[0:1]
	s_cbranch_execz .LBB187_39
; %bb.38:
	s_add_i32 s3, s3, s2
	s_add_u32 s0, s12, s4
	s_addc_u32 s1, s13, s3
	global_load_dwordx4 v[9:12], v19, s[0:1]
	s_waitcnt vmcnt(0)
	v_fma_f64 v[5:6], v[1:2], v[9:10], v[5:6]
	v_fma_f64 v[7:8], v[3:4], v[9:10], v[7:8]
	v_fma_f64 v[3:4], -v[3:4], v[11:12], v[5:6]
	v_fma_f64 v[5:6], v[1:2], v[11:12], v[7:8]
	global_store_dwordx4 v19, v[3:6], s[0:1]
.LBB187_39:
	s_endpgm
	.section	.rodata,"a",@progbits
	.p2align	6, 0x0
	.amdhsa_kernel _ZN9rocsparseL20bsrxmvn_17_32_kernelILj28E21rocsparse_complex_numIdEllS2_S2_S2_EEvT2_20rocsparse_direction_NS_24const_host_device_scalarIT0_EES3_PKS3_PKT1_SC_S9_PKT3_PKT4_S7_PT5_21rocsparse_index_base_b
		.amdhsa_group_segment_fixed_size 12544
		.amdhsa_private_segment_fixed_size 0
		.amdhsa_kernarg_size 120
		.amdhsa_user_sgpr_count 6
		.amdhsa_user_sgpr_private_segment_buffer 1
		.amdhsa_user_sgpr_dispatch_ptr 0
		.amdhsa_user_sgpr_queue_ptr 0
		.amdhsa_user_sgpr_kernarg_segment_ptr 1
		.amdhsa_user_sgpr_dispatch_id 0
		.amdhsa_user_sgpr_flat_scratch_init 0
		.amdhsa_user_sgpr_private_segment_size 0
		.amdhsa_uses_dynamic_stack 0
		.amdhsa_system_sgpr_private_segment_wavefront_offset 0
		.amdhsa_system_sgpr_workgroup_id_x 1
		.amdhsa_system_sgpr_workgroup_id_y 0
		.amdhsa_system_sgpr_workgroup_id_z 0
		.amdhsa_system_sgpr_workgroup_info 0
		.amdhsa_system_vgpr_workitem_id 0
		.amdhsa_next_free_vgpr 30
		.amdhsa_next_free_sgpr 22
		.amdhsa_reserve_vcc 1
		.amdhsa_reserve_flat_scratch 0
		.amdhsa_float_round_mode_32 0
		.amdhsa_float_round_mode_16_64 0
		.amdhsa_float_denorm_mode_32 3
		.amdhsa_float_denorm_mode_16_64 3
		.amdhsa_dx10_clamp 1
		.amdhsa_ieee_mode 1
		.amdhsa_fp16_overflow 0
		.amdhsa_exception_fp_ieee_invalid_op 0
		.amdhsa_exception_fp_denorm_src 0
		.amdhsa_exception_fp_ieee_div_zero 0
		.amdhsa_exception_fp_ieee_overflow 0
		.amdhsa_exception_fp_ieee_underflow 0
		.amdhsa_exception_fp_ieee_inexact 0
		.amdhsa_exception_int_div_zero 0
	.end_amdhsa_kernel
	.section	.text._ZN9rocsparseL20bsrxmvn_17_32_kernelILj28E21rocsparse_complex_numIdEllS2_S2_S2_EEvT2_20rocsparse_direction_NS_24const_host_device_scalarIT0_EES3_PKS3_PKT1_SC_S9_PKT3_PKT4_S7_PT5_21rocsparse_index_base_b,"axG",@progbits,_ZN9rocsparseL20bsrxmvn_17_32_kernelILj28E21rocsparse_complex_numIdEllS2_S2_S2_EEvT2_20rocsparse_direction_NS_24const_host_device_scalarIT0_EES3_PKS3_PKT1_SC_S9_PKT3_PKT4_S7_PT5_21rocsparse_index_base_b,comdat
.Lfunc_end187:
	.size	_ZN9rocsparseL20bsrxmvn_17_32_kernelILj28E21rocsparse_complex_numIdEllS2_S2_S2_EEvT2_20rocsparse_direction_NS_24const_host_device_scalarIT0_EES3_PKS3_PKT1_SC_S9_PKT3_PKT4_S7_PT5_21rocsparse_index_base_b, .Lfunc_end187-_ZN9rocsparseL20bsrxmvn_17_32_kernelILj28E21rocsparse_complex_numIdEllS2_S2_S2_EEvT2_20rocsparse_direction_NS_24const_host_device_scalarIT0_EES3_PKS3_PKT1_SC_S9_PKT3_PKT4_S7_PT5_21rocsparse_index_base_b
                                        ; -- End function
	.set _ZN9rocsparseL20bsrxmvn_17_32_kernelILj28E21rocsparse_complex_numIdEllS2_S2_S2_EEvT2_20rocsparse_direction_NS_24const_host_device_scalarIT0_EES3_PKS3_PKT1_SC_S9_PKT3_PKT4_S7_PT5_21rocsparse_index_base_b.num_vgpr, 30
	.set _ZN9rocsparseL20bsrxmvn_17_32_kernelILj28E21rocsparse_complex_numIdEllS2_S2_S2_EEvT2_20rocsparse_direction_NS_24const_host_device_scalarIT0_EES3_PKS3_PKT1_SC_S9_PKT3_PKT4_S7_PT5_21rocsparse_index_base_b.num_agpr, 0
	.set _ZN9rocsparseL20bsrxmvn_17_32_kernelILj28E21rocsparse_complex_numIdEllS2_S2_S2_EEvT2_20rocsparse_direction_NS_24const_host_device_scalarIT0_EES3_PKS3_PKT1_SC_S9_PKT3_PKT4_S7_PT5_21rocsparse_index_base_b.numbered_sgpr, 22
	.set _ZN9rocsparseL20bsrxmvn_17_32_kernelILj28E21rocsparse_complex_numIdEllS2_S2_S2_EEvT2_20rocsparse_direction_NS_24const_host_device_scalarIT0_EES3_PKS3_PKT1_SC_S9_PKT3_PKT4_S7_PT5_21rocsparse_index_base_b.num_named_barrier, 0
	.set _ZN9rocsparseL20bsrxmvn_17_32_kernelILj28E21rocsparse_complex_numIdEllS2_S2_S2_EEvT2_20rocsparse_direction_NS_24const_host_device_scalarIT0_EES3_PKS3_PKT1_SC_S9_PKT3_PKT4_S7_PT5_21rocsparse_index_base_b.private_seg_size, 0
	.set _ZN9rocsparseL20bsrxmvn_17_32_kernelILj28E21rocsparse_complex_numIdEllS2_S2_S2_EEvT2_20rocsparse_direction_NS_24const_host_device_scalarIT0_EES3_PKS3_PKT1_SC_S9_PKT3_PKT4_S7_PT5_21rocsparse_index_base_b.uses_vcc, 1
	.set _ZN9rocsparseL20bsrxmvn_17_32_kernelILj28E21rocsparse_complex_numIdEllS2_S2_S2_EEvT2_20rocsparse_direction_NS_24const_host_device_scalarIT0_EES3_PKS3_PKT1_SC_S9_PKT3_PKT4_S7_PT5_21rocsparse_index_base_b.uses_flat_scratch, 0
	.set _ZN9rocsparseL20bsrxmvn_17_32_kernelILj28E21rocsparse_complex_numIdEllS2_S2_S2_EEvT2_20rocsparse_direction_NS_24const_host_device_scalarIT0_EES3_PKS3_PKT1_SC_S9_PKT3_PKT4_S7_PT5_21rocsparse_index_base_b.has_dyn_sized_stack, 0
	.set _ZN9rocsparseL20bsrxmvn_17_32_kernelILj28E21rocsparse_complex_numIdEllS2_S2_S2_EEvT2_20rocsparse_direction_NS_24const_host_device_scalarIT0_EES3_PKS3_PKT1_SC_S9_PKT3_PKT4_S7_PT5_21rocsparse_index_base_b.has_recursion, 0
	.set _ZN9rocsparseL20bsrxmvn_17_32_kernelILj28E21rocsparse_complex_numIdEllS2_S2_S2_EEvT2_20rocsparse_direction_NS_24const_host_device_scalarIT0_EES3_PKS3_PKT1_SC_S9_PKT3_PKT4_S7_PT5_21rocsparse_index_base_b.has_indirect_call, 0
	.section	.AMDGPU.csdata,"",@progbits
; Kernel info:
; codeLenInByte = 1724
; TotalNumSgprs: 26
; NumVgprs: 30
; ScratchSize: 0
; MemoryBound: 1
; FloatMode: 240
; IeeeMode: 1
; LDSByteSize: 12544 bytes/workgroup (compile time only)
; SGPRBlocks: 3
; VGPRBlocks: 7
; NumSGPRsForWavesPerEU: 26
; NumVGPRsForWavesPerEU: 30
; Occupancy: 8
; WaveLimiterHint : 1
; COMPUTE_PGM_RSRC2:SCRATCH_EN: 0
; COMPUTE_PGM_RSRC2:USER_SGPR: 6
; COMPUTE_PGM_RSRC2:TRAP_HANDLER: 0
; COMPUTE_PGM_RSRC2:TGID_X_EN: 1
; COMPUTE_PGM_RSRC2:TGID_Y_EN: 0
; COMPUTE_PGM_RSRC2:TGID_Z_EN: 0
; COMPUTE_PGM_RSRC2:TIDIG_COMP_CNT: 0
	.section	.text._ZN9rocsparseL20bsrxmvn_17_32_kernelILj29E21rocsparse_complex_numIdEllS2_S2_S2_EEvT2_20rocsparse_direction_NS_24const_host_device_scalarIT0_EES3_PKS3_PKT1_SC_S9_PKT3_PKT4_S7_PT5_21rocsparse_index_base_b,"axG",@progbits,_ZN9rocsparseL20bsrxmvn_17_32_kernelILj29E21rocsparse_complex_numIdEllS2_S2_S2_EEvT2_20rocsparse_direction_NS_24const_host_device_scalarIT0_EES3_PKS3_PKT1_SC_S9_PKT3_PKT4_S7_PT5_21rocsparse_index_base_b,comdat
	.globl	_ZN9rocsparseL20bsrxmvn_17_32_kernelILj29E21rocsparse_complex_numIdEllS2_S2_S2_EEvT2_20rocsparse_direction_NS_24const_host_device_scalarIT0_EES3_PKS3_PKT1_SC_S9_PKT3_PKT4_S7_PT5_21rocsparse_index_base_b ; -- Begin function _ZN9rocsparseL20bsrxmvn_17_32_kernelILj29E21rocsparse_complex_numIdEllS2_S2_S2_EEvT2_20rocsparse_direction_NS_24const_host_device_scalarIT0_EES3_PKS3_PKT1_SC_S9_PKT3_PKT4_S7_PT5_21rocsparse_index_base_b
	.p2align	8
	.type	_ZN9rocsparseL20bsrxmvn_17_32_kernelILj29E21rocsparse_complex_numIdEllS2_S2_S2_EEvT2_20rocsparse_direction_NS_24const_host_device_scalarIT0_EES3_PKS3_PKT1_SC_S9_PKT3_PKT4_S7_PT5_21rocsparse_index_base_b,@function
_ZN9rocsparseL20bsrxmvn_17_32_kernelILj29E21rocsparse_complex_numIdEllS2_S2_S2_EEvT2_20rocsparse_direction_NS_24const_host_device_scalarIT0_EES3_PKS3_PKT1_SC_S9_PKT3_PKT4_S7_PT5_21rocsparse_index_base_b: ; @_ZN9rocsparseL20bsrxmvn_17_32_kernelILj29E21rocsparse_complex_numIdEllS2_S2_S2_EEvT2_20rocsparse_direction_NS_24const_host_device_scalarIT0_EES3_PKS3_PKT1_SC_S9_PKT3_PKT4_S7_PT5_21rocsparse_index_base_b
; %bb.0:
	s_load_dwordx2 s[0:1], s[4:5], 0x10
	s_load_dwordx2 s[14:15], s[4:5], 0x70
	s_add_u32 s7, s4, 16
	s_addc_u32 s8, s5, 0
	s_add_u32 s9, s4, 0x58
	s_addc_u32 s10, s5, 0
	s_waitcnt lgkmcnt(0)
	s_bitcmp1_b32 s15, 0
	s_cselect_b32 s1, s8, s1
	s_cselect_b32 s0, s7, s0
	v_mov_b32_e32 v1, s0
	v_mov_b32_e32 v2, s1
	flat_load_dwordx4 v[5:8], v[1:2]
	s_load_dwordx2 s[2:3], s[4:5], 0x58
	s_waitcnt lgkmcnt(0)
	s_cselect_b32 s0, s10, s3
	s_cselect_b32 s1, s9, s2
	v_mov_b32_e32 v1, s1
	v_mov_b32_e32 v2, s0
	flat_load_dwordx4 v[1:4], v[1:2]
	s_waitcnt vmcnt(0)
	v_cmp_eq_f64_e32 vcc, 0, v[5:6]
	v_cmp_eq_f64_e64 s[0:1], 0, v[7:8]
	s_and_b64 s[8:9], vcc, s[0:1]
	s_mov_b64 s[0:1], -1
	s_and_saveexec_b64 s[2:3], s[8:9]
	s_cbranch_execz .LBB188_2
; %bb.1:
	s_waitcnt lgkmcnt(0)
	v_cmp_neq_f64_e32 vcc, 1.0, v[1:2]
	v_cmp_neq_f64_e64 s[0:1], 0, v[3:4]
	s_or_b64 s[0:1], vcc, s[0:1]
	s_orn2_b64 s[0:1], s[0:1], exec
.LBB188_2:
	s_or_b64 exec, exec, s[2:3]
	s_and_saveexec_b64 s[2:3], s[0:1]
	s_cbranch_execz .LBB188_39
; %bb.3:
	s_load_dwordx4 s[0:3], s[4:5], 0x28
	s_load_dwordx2 s[8:9], s[4:5], 0x38
	s_mov_b32 s7, 0
	s_waitcnt lgkmcnt(0)
	s_cmp_eq_u64 s[0:1], 0
	s_cbranch_scc1 .LBB188_5
; %bb.4:
	s_lshl_b64 s[6:7], s[6:7], 3
	s_add_u32 s0, s0, s6
	s_addc_u32 s1, s1, s7
	s_load_dwordx2 s[0:1], s[0:1], 0x0
	s_waitcnt lgkmcnt(0)
	s_sub_u32 s6, s0, s14
	s_subb_u32 s7, s1, 0
.LBB188_5:
	s_load_dword s10, s[4:5], 0x8
	s_load_dwordx2 s[12:13], s[4:5], 0x68
	v_mul_u32_u24_e32 v14, 0x8d4, v0
	v_mov_b32_e32 v9, 29
	v_mul_lo_u16_sdwa v9, v14, v9 dst_sel:DWORD dst_unused:UNUSED_PAD src0_sel:WORD_1 src1_sel:DWORD
	s_waitcnt lgkmcnt(0)
	s_cmp_eq_u32 s10, 1
	s_cselect_b64 s[0:1], -1, 0
	s_cmp_lg_u32 s10, 1
	s_cselect_b64 s[16:17], -1, 0
	s_lshl_b64 s[10:11], s[6:7], 3
	s_add_u32 s20, s2, s10
	s_addc_u32 s21, s3, s11
	s_add_u32 s2, s20, 8
	s_addc_u32 s3, s21, 0
	;; [unrolled: 2-line block ×3, first 2 shown]
	s_cmp_eq_u64 s[8:9], 0
	s_cselect_b32 s9, s3, s11
	s_cselect_b32 s8, s2, s10
	s_load_dwordx2 s[2:3], s[8:9], 0x0
	s_load_dwordx2 s[18:19], s[20:21], 0x0
	v_sub_u16_e32 v20, v0, v9
	v_mov_b32_e32 v11, 0
	v_mov_b32_e32 v13, 0
	s_waitcnt lgkmcnt(0)
	v_mov_b32_e32 v10, s3
	v_mov_b32_e32 v9, s2
	v_cmp_ge_i64_e32 vcc, s[18:19], v[9:10]
	v_mov_b32_e32 v9, 0
	v_mov_b32_e32 v12, 0
	v_lshlrev_b32_e32 v19, 4, v0
	v_mov_b32_e32 v10, 0
	s_cbranch_vccnz .LBB188_10
; %bb.6:
	s_load_dwordx2 s[20:21], s[4:5], 0x50
	s_load_dwordx4 s[8:11], s[4:5], 0x40
	s_mov_b32 s4, 0xffff
	s_movk_i32 s5, 0x349
	v_and_b32_sdwa v9, s4, v14 dst_sel:DWORD dst_unused:UNUSED_PAD src0_sel:DWORD src1_sel:WORD_1
	s_sub_u32 s2, s2, s14
	v_subrev_u32_e32 v10, 29, v9
	v_cmp_gt_u32_e32 vcc, s5, v0
	s_subb_u32 s3, s3, 0
	v_cndmask_b32_e32 v9, v10, v9, vcc
	s_sub_u32 s4, s18, s14
	v_cndmask_b32_e64 v12, v20, v9, s[0:1]
	s_subb_u32 s5, s19, 0
	v_lshlrev_b64 v[9:10], 4, v[12:13]
	s_mul_i32 s0, s5, 0x3490
	s_mul_hi_u32 s1, s4, 0x3490
	s_add_i32 s1, s1, s0
	s_mul_i32 s0, s4, 0x3490
	s_waitcnt lgkmcnt(0)
	v_mov_b32_e32 v11, s21
	v_add_co_u32_e32 v13, vcc, s20, v9
	s_add_u32 s0, s10, s0
	v_addc_co_u32_e32 v14, vcc, v11, v10, vcc
	s_addc_u32 s1, s11, s1
	v_mov_b32_e32 v9, s1
	v_add_co_u32_e32 v15, vcc, s0, v19
	v_addc_co_u32_e32 v16, vcc, 0, v9, vcc
	s_movk_i32 s0, 0x348
	v_cmp_lt_u32_e32 vcc, s0, v0
	v_cndmask_b32_e64 v21, 0, 1, vcc
	v_mov_b32_e32 v9, s19
	v_add_co_u32_e32 v10, vcc, s18, v21
	v_addc_co_u32_e32 v11, vcc, 0, v9, vcc
	v_subrev_co_u32_e32 v9, vcc, s14, v10
	v_subbrev_co_u32_e32 v10, vcc, 0, v11, vcc
	v_lshlrev_b64 v[9:10], 3, v[9:10]
	v_mov_b32_e32 v11, s9
	v_add_co_u32_e32 v17, vcc, s8, v9
	v_addc_co_u32_e32 v18, vcc, v11, v10, vcc
	v_mov_b32_e32 v11, 0
	v_mov_b32_e32 v12, 0
	;; [unrolled: 1-line block ×3, first 2 shown]
	s_movk_i32 s8, 0x1d0
	v_mov_b32_e32 v10, v12
	s_branch .LBB188_8
.LBB188_7:                              ;   in Loop: Header=BB188_8 Depth=1
	s_or_b64 exec, exec, s[0:1]
	s_add_u32 s4, s4, 1
	v_mov_b32_e32 v23, s3
	s_addc_u32 s5, s5, 0
	v_mov_b32_e32 v22, s2
	v_cmp_lt_i64_e32 vcc, s[4:5], v[22:23]
	v_add_co_u32_e64 v17, s[0:1], 8, v17
	v_addc_co_u32_e64 v18, s[0:1], 0, v18, s[0:1]
	s_cbranch_vccz .LBB188_10
.LBB188_8:                              ; =>This Inner Loop Header: Depth=1
	v_mov_b32_e32 v23, s5
	v_add_co_u32_e32 v22, vcc, s4, v21
	v_addc_co_u32_e32 v23, vcc, 0, v23, vcc
	v_cmp_gt_i64_e32 vcc, s[2:3], v[22:23]
	s_and_saveexec_b64 s[0:1], vcc
	s_cbranch_execz .LBB188_7
; %bb.9:                                ;   in Loop: Header=BB188_8 Depth=1
	global_load_dwordx2 v[22:23], v[17:18], off
	s_waitcnt vmcnt(0)
	v_subrev_co_u32_e32 v22, vcc, s14, v22
	v_mad_u64_u32 v[26:27], s[10:11], v22, s8, v[13:14]
	v_subbrev_co_u32_e32 v23, vcc, 0, v23, vcc
	v_mov_b32_e32 v22, v27
	v_mad_u64_u32 v[27:28], s[10:11], v23, s8, v[22:23]
	global_load_dwordx4 v[22:25], v[15:16], off
	s_nop 0
	global_load_dwordx4 v[26:29], v[26:27], off
	v_add_co_u32_e32 v15, vcc, 0x3490, v15
	v_addc_co_u32_e32 v16, vcc, 0, v16, vcc
	s_waitcnt vmcnt(0)
	v_fma_f64 v[9:10], v[22:23], v[26:27], v[9:10]
	v_fma_f64 v[11:12], v[24:25], v[26:27], v[11:12]
	v_fma_f64 v[9:10], -v[24:25], v[28:29], v[9:10]
	v_fma_f64 v[11:12], v[22:23], v[28:29], v[11:12]
	s_branch .LBB188_7
.LBB188_10:
	s_and_b64 vcc, exec, s[16:17]
	ds_write_b128 v19, v[9:12]
	s_waitcnt lgkmcnt(0)
	s_barrier
	s_cbranch_vccz .LBB188_22
; %bb.11:
	v_cmp_gt_u16_e32 vcc, 13, v20
	s_and_saveexec_b64 s[0:1], vcc
	s_cbranch_execz .LBB188_13
; %bb.12:
	ds_read_b128 v[13:16], v19 offset:256
	ds_read_b128 v[21:24], v19
	s_waitcnt lgkmcnt(0)
	v_add_f64 v[13:14], v[13:14], v[21:22]
	v_add_f64 v[15:16], v[15:16], v[23:24]
	ds_write_b128 v19, v[13:16]
.LBB188_13:
	s_or_b64 exec, exec, s[0:1]
	v_cmp_gt_u16_e32 vcc, 8, v20
	s_waitcnt lgkmcnt(0)
	s_barrier
	s_and_saveexec_b64 s[0:1], vcc
	s_cbranch_execz .LBB188_15
; %bb.14:
	ds_read_b128 v[13:16], v19 offset:128
	ds_read_b128 v[21:24], v19
	s_waitcnt lgkmcnt(0)
	v_add_f64 v[13:14], v[13:14], v[21:22]
	v_add_f64 v[15:16], v[15:16], v[23:24]
	ds_write_b128 v19, v[13:16]
.LBB188_15:
	s_or_b64 exec, exec, s[0:1]
	v_cmp_gt_u16_e32 vcc, 4, v20
	s_waitcnt lgkmcnt(0)
	s_barrier
	;; [unrolled: 14-line block ×3, first 2 shown]
	s_and_saveexec_b64 s[0:1], vcc
	s_cbranch_execz .LBB188_19
; %bb.18:
	ds_read_b128 v[13:16], v19
	ds_read_b128 v[20:23], v19 offset:32
	s_waitcnt lgkmcnt(0)
	v_add_f64 v[13:14], v[20:21], v[13:14]
	v_add_f64 v[15:16], v[22:23], v[15:16]
	ds_write_b128 v19, v[13:16]
.LBB188_19:
	s_or_b64 exec, exec, s[0:1]
	v_mov_b32_e32 v16, v12
	v_mov_b32_e32 v14, v10
	v_cmp_gt_u32_e32 vcc, 29, v0
	v_mov_b32_e32 v15, v11
	v_mov_b32_e32 v13, v9
	s_waitcnt lgkmcnt(0)
	s_barrier
	s_and_saveexec_b64 s[0:1], vcc
	s_cbranch_execz .LBB188_21
; %bb.20:
	s_movk_i32 s2, 0x1c0
	v_mad_u32_u24 v17, v0, s2, v19
	ds_read_b128 v[13:16], v17
	ds_read_b128 v[20:23], v17 offset:16
	s_waitcnt lgkmcnt(0)
	v_add_f64 v[13:14], v[20:21], v[13:14]
	v_add_f64 v[15:16], v[22:23], v[15:16]
.LBB188_21:
	s_or_b64 exec, exec, s[0:1]
	s_branch .LBB188_34
.LBB188_22:
                                        ; implicit-def: $vgpr15_vgpr16
                                        ; implicit-def: $vgpr13_vgpr14
	s_cbranch_execz .LBB188_34
; %bb.23:
	s_movk_i32 s0, 0x179
	v_cmp_gt_u32_e32 vcc, s0, v0
	s_and_saveexec_b64 s[0:1], vcc
	s_cbranch_execz .LBB188_25
; %bb.24:
	ds_read_b128 v[13:16], v19 offset:7424
	ds_read_b128 v[20:23], v19
	s_waitcnt lgkmcnt(0)
	v_add_f64 v[13:14], v[13:14], v[20:21]
	v_add_f64 v[15:16], v[15:16], v[22:23]
	ds_write_b128 v19, v[13:16]
.LBB188_25:
	s_or_b64 exec, exec, s[0:1]
	s_movk_i32 s0, 0xe8
	v_cmp_gt_u32_e32 vcc, s0, v0
	s_waitcnt lgkmcnt(0)
	s_barrier
	s_and_saveexec_b64 s[0:1], vcc
	s_cbranch_execz .LBB188_27
; %bb.26:
	ds_read_b128 v[13:16], v19 offset:3712
	ds_read_b128 v[20:23], v19
	s_waitcnt lgkmcnt(0)
	v_add_f64 v[13:14], v[13:14], v[20:21]
	v_add_f64 v[15:16], v[15:16], v[22:23]
	ds_write_b128 v19, v[13:16]
.LBB188_27:
	s_or_b64 exec, exec, s[0:1]
	s_movk_i32 s0, 0x74
	v_cmp_gt_u32_e32 vcc, s0, v0
	s_waitcnt lgkmcnt(0)
	s_barrier
	s_and_saveexec_b64 s[0:1], vcc
	s_cbranch_execz .LBB188_29
; %bb.28:
	ds_read_b128 v[13:16], v19 offset:1856
	ds_read_b128 v[20:23], v19
	s_waitcnt lgkmcnt(0)
	v_add_f64 v[13:14], v[13:14], v[20:21]
	v_add_f64 v[15:16], v[15:16], v[22:23]
	ds_write_b128 v19, v[13:16]
.LBB188_29:
	s_or_b64 exec, exec, s[0:1]
	v_cmp_gt_u32_e32 vcc, 58, v0
	s_waitcnt lgkmcnt(0)
	s_barrier
	s_and_saveexec_b64 s[0:1], vcc
	s_cbranch_execz .LBB188_31
; %bb.30:
	ds_read_b128 v[13:16], v19 offset:928
	ds_read_b128 v[20:23], v19
	s_waitcnt lgkmcnt(0)
	v_add_f64 v[13:14], v[13:14], v[20:21]
	v_add_f64 v[15:16], v[15:16], v[22:23]
	ds_write_b128 v19, v[13:16]
.LBB188_31:
	s_or_b64 exec, exec, s[0:1]
	v_cmp_gt_u32_e32 vcc, 29, v0
	s_waitcnt lgkmcnt(0)
	s_and_saveexec_b64 s[0:1], vcc
	s_cbranch_execz .LBB188_33
; %bb.32:
	ds_read_b128 v[9:12], v19 offset:464
	ds_read_b128 v[13:16], v19
	s_waitcnt lgkmcnt(0)
	v_add_f64 v[9:10], v[9:10], v[13:14]
	v_add_f64 v[11:12], v[11:12], v[15:16]
.LBB188_33:
	s_or_b64 exec, exec, s[0:1]
	v_mov_b32_e32 v16, v12
	v_mov_b32_e32 v14, v10
	;; [unrolled: 1-line block ×4, first 2 shown]
.LBB188_34:
	v_cmp_gt_u32_e32 vcc, 29, v0
	s_and_b64 exec, exec, vcc
	s_cbranch_execz .LBB188_39
; %bb.35:
	v_mul_f64 v[9:10], v[15:16], -v[7:8]
	v_mul_f64 v[11:12], v[5:6], v[15:16]
	v_cmp_eq_f64_e32 vcc, 0, v[1:2]
	v_cmp_eq_f64_e64 s[0:1], 0, v[3:4]
	s_mul_i32 s2, s7, 0x1d0
	s_mul_hi_u32 s3, s6, 0x1d0
	s_mul_i32 s4, s6, 0x1d0
	v_fma_f64 v[5:6], v[5:6], v[13:14], v[9:10]
	v_fma_f64 v[7:8], v[7:8], v[13:14], v[11:12]
	s_and_b64 s[0:1], vcc, s[0:1]
	s_and_saveexec_b64 s[6:7], s[0:1]
	s_xor_b64 s[0:1], exec, s[6:7]
	s_cbranch_execz .LBB188_37
; %bb.36:
	s_add_i32 s5, s3, s2
	s_add_u32 s6, s12, s4
	s_addc_u32 s7, s13, s5
	global_store_dwordx4 v19, v[5:8], s[6:7]
                                        ; implicit-def: $vgpr19
                                        ; implicit-def: $vgpr1_vgpr2
                                        ; implicit-def: $vgpr5_vgpr6
.LBB188_37:
	s_andn2_saveexec_b64 s[0:1], s[0:1]
	s_cbranch_execz .LBB188_39
; %bb.38:
	s_add_i32 s3, s3, s2
	s_add_u32 s0, s12, s4
	s_addc_u32 s1, s13, s3
	global_load_dwordx4 v[9:12], v19, s[0:1]
	s_waitcnt vmcnt(0)
	v_fma_f64 v[5:6], v[1:2], v[9:10], v[5:6]
	v_fma_f64 v[7:8], v[3:4], v[9:10], v[7:8]
	v_fma_f64 v[3:4], -v[3:4], v[11:12], v[5:6]
	v_fma_f64 v[5:6], v[1:2], v[11:12], v[7:8]
	global_store_dwordx4 v19, v[3:6], s[0:1]
.LBB188_39:
	s_endpgm
	.section	.rodata,"a",@progbits
	.p2align	6, 0x0
	.amdhsa_kernel _ZN9rocsparseL20bsrxmvn_17_32_kernelILj29E21rocsparse_complex_numIdEllS2_S2_S2_EEvT2_20rocsparse_direction_NS_24const_host_device_scalarIT0_EES3_PKS3_PKT1_SC_S9_PKT3_PKT4_S7_PT5_21rocsparse_index_base_b
		.amdhsa_group_segment_fixed_size 13456
		.amdhsa_private_segment_fixed_size 0
		.amdhsa_kernarg_size 120
		.amdhsa_user_sgpr_count 6
		.amdhsa_user_sgpr_private_segment_buffer 1
		.amdhsa_user_sgpr_dispatch_ptr 0
		.amdhsa_user_sgpr_queue_ptr 0
		.amdhsa_user_sgpr_kernarg_segment_ptr 1
		.amdhsa_user_sgpr_dispatch_id 0
		.amdhsa_user_sgpr_flat_scratch_init 0
		.amdhsa_user_sgpr_private_segment_size 0
		.amdhsa_uses_dynamic_stack 0
		.amdhsa_system_sgpr_private_segment_wavefront_offset 0
		.amdhsa_system_sgpr_workgroup_id_x 1
		.amdhsa_system_sgpr_workgroup_id_y 0
		.amdhsa_system_sgpr_workgroup_id_z 0
		.amdhsa_system_sgpr_workgroup_info 0
		.amdhsa_system_vgpr_workitem_id 0
		.amdhsa_next_free_vgpr 33
		.amdhsa_next_free_sgpr 77
		.amdhsa_reserve_vcc 1
		.amdhsa_reserve_flat_scratch 0
		.amdhsa_float_round_mode_32 0
		.amdhsa_float_round_mode_16_64 0
		.amdhsa_float_denorm_mode_32 3
		.amdhsa_float_denorm_mode_16_64 3
		.amdhsa_dx10_clamp 1
		.amdhsa_ieee_mode 1
		.amdhsa_fp16_overflow 0
		.amdhsa_exception_fp_ieee_invalid_op 0
		.amdhsa_exception_fp_denorm_src 0
		.amdhsa_exception_fp_ieee_div_zero 0
		.amdhsa_exception_fp_ieee_overflow 0
		.amdhsa_exception_fp_ieee_underflow 0
		.amdhsa_exception_fp_ieee_inexact 0
		.amdhsa_exception_int_div_zero 0
	.end_amdhsa_kernel
	.section	.text._ZN9rocsparseL20bsrxmvn_17_32_kernelILj29E21rocsparse_complex_numIdEllS2_S2_S2_EEvT2_20rocsparse_direction_NS_24const_host_device_scalarIT0_EES3_PKS3_PKT1_SC_S9_PKT3_PKT4_S7_PT5_21rocsparse_index_base_b,"axG",@progbits,_ZN9rocsparseL20bsrxmvn_17_32_kernelILj29E21rocsparse_complex_numIdEllS2_S2_S2_EEvT2_20rocsparse_direction_NS_24const_host_device_scalarIT0_EES3_PKS3_PKT1_SC_S9_PKT3_PKT4_S7_PT5_21rocsparse_index_base_b,comdat
.Lfunc_end188:
	.size	_ZN9rocsparseL20bsrxmvn_17_32_kernelILj29E21rocsparse_complex_numIdEllS2_S2_S2_EEvT2_20rocsparse_direction_NS_24const_host_device_scalarIT0_EES3_PKS3_PKT1_SC_S9_PKT3_PKT4_S7_PT5_21rocsparse_index_base_b, .Lfunc_end188-_ZN9rocsparseL20bsrxmvn_17_32_kernelILj29E21rocsparse_complex_numIdEllS2_S2_S2_EEvT2_20rocsparse_direction_NS_24const_host_device_scalarIT0_EES3_PKS3_PKT1_SC_S9_PKT3_PKT4_S7_PT5_21rocsparse_index_base_b
                                        ; -- End function
	.set _ZN9rocsparseL20bsrxmvn_17_32_kernelILj29E21rocsparse_complex_numIdEllS2_S2_S2_EEvT2_20rocsparse_direction_NS_24const_host_device_scalarIT0_EES3_PKS3_PKT1_SC_S9_PKT3_PKT4_S7_PT5_21rocsparse_index_base_b.num_vgpr, 30
	.set _ZN9rocsparseL20bsrxmvn_17_32_kernelILj29E21rocsparse_complex_numIdEllS2_S2_S2_EEvT2_20rocsparse_direction_NS_24const_host_device_scalarIT0_EES3_PKS3_PKT1_SC_S9_PKT3_PKT4_S7_PT5_21rocsparse_index_base_b.num_agpr, 0
	.set _ZN9rocsparseL20bsrxmvn_17_32_kernelILj29E21rocsparse_complex_numIdEllS2_S2_S2_EEvT2_20rocsparse_direction_NS_24const_host_device_scalarIT0_EES3_PKS3_PKT1_SC_S9_PKT3_PKT4_S7_PT5_21rocsparse_index_base_b.numbered_sgpr, 22
	.set _ZN9rocsparseL20bsrxmvn_17_32_kernelILj29E21rocsparse_complex_numIdEllS2_S2_S2_EEvT2_20rocsparse_direction_NS_24const_host_device_scalarIT0_EES3_PKS3_PKT1_SC_S9_PKT3_PKT4_S7_PT5_21rocsparse_index_base_b.num_named_barrier, 0
	.set _ZN9rocsparseL20bsrxmvn_17_32_kernelILj29E21rocsparse_complex_numIdEllS2_S2_S2_EEvT2_20rocsparse_direction_NS_24const_host_device_scalarIT0_EES3_PKS3_PKT1_SC_S9_PKT3_PKT4_S7_PT5_21rocsparse_index_base_b.private_seg_size, 0
	.set _ZN9rocsparseL20bsrxmvn_17_32_kernelILj29E21rocsparse_complex_numIdEllS2_S2_S2_EEvT2_20rocsparse_direction_NS_24const_host_device_scalarIT0_EES3_PKS3_PKT1_SC_S9_PKT3_PKT4_S7_PT5_21rocsparse_index_base_b.uses_vcc, 1
	.set _ZN9rocsparseL20bsrxmvn_17_32_kernelILj29E21rocsparse_complex_numIdEllS2_S2_S2_EEvT2_20rocsparse_direction_NS_24const_host_device_scalarIT0_EES3_PKS3_PKT1_SC_S9_PKT3_PKT4_S7_PT5_21rocsparse_index_base_b.uses_flat_scratch, 0
	.set _ZN9rocsparseL20bsrxmvn_17_32_kernelILj29E21rocsparse_complex_numIdEllS2_S2_S2_EEvT2_20rocsparse_direction_NS_24const_host_device_scalarIT0_EES3_PKS3_PKT1_SC_S9_PKT3_PKT4_S7_PT5_21rocsparse_index_base_b.has_dyn_sized_stack, 0
	.set _ZN9rocsparseL20bsrxmvn_17_32_kernelILj29E21rocsparse_complex_numIdEllS2_S2_S2_EEvT2_20rocsparse_direction_NS_24const_host_device_scalarIT0_EES3_PKS3_PKT1_SC_S9_PKT3_PKT4_S7_PT5_21rocsparse_index_base_b.has_recursion, 0
	.set _ZN9rocsparseL20bsrxmvn_17_32_kernelILj29E21rocsparse_complex_numIdEllS2_S2_S2_EEvT2_20rocsparse_direction_NS_24const_host_device_scalarIT0_EES3_PKS3_PKT1_SC_S9_PKT3_PKT4_S7_PT5_21rocsparse_index_base_b.has_indirect_call, 0
	.section	.AMDGPU.csdata,"",@progbits
; Kernel info:
; codeLenInByte = 1724
; TotalNumSgprs: 26
; NumVgprs: 30
; ScratchSize: 0
; MemoryBound: 1
; FloatMode: 240
; IeeeMode: 1
; LDSByteSize: 13456 bytes/workgroup (compile time only)
; SGPRBlocks: 10
; VGPRBlocks: 8
; NumSGPRsForWavesPerEU: 81
; NumVGPRsForWavesPerEU: 33
; Occupancy: 7
; WaveLimiterHint : 1
; COMPUTE_PGM_RSRC2:SCRATCH_EN: 0
; COMPUTE_PGM_RSRC2:USER_SGPR: 6
; COMPUTE_PGM_RSRC2:TRAP_HANDLER: 0
; COMPUTE_PGM_RSRC2:TGID_X_EN: 1
; COMPUTE_PGM_RSRC2:TGID_Y_EN: 0
; COMPUTE_PGM_RSRC2:TGID_Z_EN: 0
; COMPUTE_PGM_RSRC2:TIDIG_COMP_CNT: 0
	.section	.text._ZN9rocsparseL20bsrxmvn_17_32_kernelILj30E21rocsparse_complex_numIdEllS2_S2_S2_EEvT2_20rocsparse_direction_NS_24const_host_device_scalarIT0_EES3_PKS3_PKT1_SC_S9_PKT3_PKT4_S7_PT5_21rocsparse_index_base_b,"axG",@progbits,_ZN9rocsparseL20bsrxmvn_17_32_kernelILj30E21rocsparse_complex_numIdEllS2_S2_S2_EEvT2_20rocsparse_direction_NS_24const_host_device_scalarIT0_EES3_PKS3_PKT1_SC_S9_PKT3_PKT4_S7_PT5_21rocsparse_index_base_b,comdat
	.globl	_ZN9rocsparseL20bsrxmvn_17_32_kernelILj30E21rocsparse_complex_numIdEllS2_S2_S2_EEvT2_20rocsparse_direction_NS_24const_host_device_scalarIT0_EES3_PKS3_PKT1_SC_S9_PKT3_PKT4_S7_PT5_21rocsparse_index_base_b ; -- Begin function _ZN9rocsparseL20bsrxmvn_17_32_kernelILj30E21rocsparse_complex_numIdEllS2_S2_S2_EEvT2_20rocsparse_direction_NS_24const_host_device_scalarIT0_EES3_PKS3_PKT1_SC_S9_PKT3_PKT4_S7_PT5_21rocsparse_index_base_b
	.p2align	8
	.type	_ZN9rocsparseL20bsrxmvn_17_32_kernelILj30E21rocsparse_complex_numIdEllS2_S2_S2_EEvT2_20rocsparse_direction_NS_24const_host_device_scalarIT0_EES3_PKS3_PKT1_SC_S9_PKT3_PKT4_S7_PT5_21rocsparse_index_base_b,@function
_ZN9rocsparseL20bsrxmvn_17_32_kernelILj30E21rocsparse_complex_numIdEllS2_S2_S2_EEvT2_20rocsparse_direction_NS_24const_host_device_scalarIT0_EES3_PKS3_PKT1_SC_S9_PKT3_PKT4_S7_PT5_21rocsparse_index_base_b: ; @_ZN9rocsparseL20bsrxmvn_17_32_kernelILj30E21rocsparse_complex_numIdEllS2_S2_S2_EEvT2_20rocsparse_direction_NS_24const_host_device_scalarIT0_EES3_PKS3_PKT1_SC_S9_PKT3_PKT4_S7_PT5_21rocsparse_index_base_b
; %bb.0:
	s_load_dwordx2 s[0:1], s[4:5], 0x10
	s_load_dwordx2 s[14:15], s[4:5], 0x70
	s_add_u32 s7, s4, 16
	s_addc_u32 s8, s5, 0
	s_add_u32 s9, s4, 0x58
	s_addc_u32 s10, s5, 0
	s_waitcnt lgkmcnt(0)
	s_bitcmp1_b32 s15, 0
	s_cselect_b32 s1, s8, s1
	s_cselect_b32 s0, s7, s0
	v_mov_b32_e32 v1, s0
	v_mov_b32_e32 v2, s1
	flat_load_dwordx4 v[5:8], v[1:2]
	s_load_dwordx2 s[2:3], s[4:5], 0x58
	s_waitcnt lgkmcnt(0)
	s_cselect_b32 s0, s10, s3
	s_cselect_b32 s1, s9, s2
	v_mov_b32_e32 v1, s1
	v_mov_b32_e32 v2, s0
	flat_load_dwordx4 v[1:4], v[1:2]
	s_waitcnt vmcnt(0)
	v_cmp_eq_f64_e32 vcc, 0, v[5:6]
	v_cmp_eq_f64_e64 s[0:1], 0, v[7:8]
	s_and_b64 s[8:9], vcc, s[0:1]
	s_mov_b64 s[0:1], -1
	s_and_saveexec_b64 s[2:3], s[8:9]
	s_cbranch_execz .LBB189_2
; %bb.1:
	s_waitcnt lgkmcnt(0)
	v_cmp_neq_f64_e32 vcc, 1.0, v[1:2]
	v_cmp_neq_f64_e64 s[0:1], 0, v[3:4]
	s_or_b64 s[0:1], vcc, s[0:1]
	s_orn2_b64 s[0:1], s[0:1], exec
.LBB189_2:
	s_or_b64 exec, exec, s[2:3]
	s_and_saveexec_b64 s[2:3], s[0:1]
	s_cbranch_execz .LBB189_39
; %bb.3:
	s_load_dwordx4 s[0:3], s[4:5], 0x28
	s_load_dwordx2 s[8:9], s[4:5], 0x38
	s_mov_b32 s7, 0
	s_waitcnt lgkmcnt(0)
	s_cmp_eq_u64 s[0:1], 0
	s_cbranch_scc1 .LBB189_5
; %bb.4:
	s_lshl_b64 s[6:7], s[6:7], 3
	s_add_u32 s0, s0, s6
	s_addc_u32 s1, s1, s7
	s_load_dwordx2 s[0:1], s[0:1], 0x0
	s_waitcnt lgkmcnt(0)
	s_sub_u32 s6, s0, s14
	s_subb_u32 s7, s1, 0
.LBB189_5:
	s_load_dword s10, s[4:5], 0x8
	s_load_dwordx2 s[12:13], s[4:5], 0x68
	v_mul_u32_u24_e32 v14, 0x889, v0
	v_mov_b32_e32 v9, 30
	v_mul_lo_u16_sdwa v9, v14, v9 dst_sel:DWORD dst_unused:UNUSED_PAD src0_sel:WORD_1 src1_sel:DWORD
	s_waitcnt lgkmcnt(0)
	s_cmp_eq_u32 s10, 1
	s_cselect_b64 s[0:1], -1, 0
	s_cmp_lg_u32 s10, 1
	s_cselect_b64 s[16:17], -1, 0
	s_lshl_b64 s[10:11], s[6:7], 3
	s_add_u32 s20, s2, s10
	s_addc_u32 s21, s3, s11
	s_add_u32 s2, s20, 8
	s_addc_u32 s3, s21, 0
	;; [unrolled: 2-line block ×3, first 2 shown]
	s_cmp_eq_u64 s[8:9], 0
	s_cselect_b32 s9, s3, s11
	s_cselect_b32 s8, s2, s10
	s_load_dwordx2 s[2:3], s[8:9], 0x0
	s_load_dwordx2 s[18:19], s[20:21], 0x0
	v_sub_u16_e32 v20, v0, v9
	v_mov_b32_e32 v11, 0
	v_mov_b32_e32 v13, 0
	s_waitcnt lgkmcnt(0)
	v_mov_b32_e32 v10, s3
	v_mov_b32_e32 v9, s2
	v_cmp_ge_i64_e32 vcc, s[18:19], v[9:10]
	v_mov_b32_e32 v9, 0
	v_mov_b32_e32 v12, 0
	v_lshlrev_b32_e32 v19, 4, v0
	v_mov_b32_e32 v10, 0
	s_cbranch_vccnz .LBB189_10
; %bb.6:
	s_load_dwordx2 s[20:21], s[4:5], 0x50
	s_load_dwordx4 s[8:11], s[4:5], 0x40
	s_mov_b32 s4, 0xffff
	s_movk_i32 s5, 0x384
	v_and_b32_sdwa v9, s4, v14 dst_sel:DWORD dst_unused:UNUSED_PAD src0_sel:DWORD src1_sel:WORD_1
	s_sub_u32 s2, s2, s14
	v_subrev_u32_e32 v10, 30, v9
	v_cmp_gt_u32_e32 vcc, s5, v0
	s_subb_u32 s3, s3, 0
	v_cndmask_b32_e32 v9, v10, v9, vcc
	s_sub_u32 s4, s18, s14
	v_cndmask_b32_e64 v12, v20, v9, s[0:1]
	s_subb_u32 s5, s19, 0
	v_lshlrev_b64 v[9:10], 4, v[12:13]
	s_mul_i32 s0, s5, 0x3840
	s_mul_hi_u32 s1, s4, 0x3840
	s_add_i32 s1, s1, s0
	s_mul_i32 s0, s4, 0x3840
	s_waitcnt lgkmcnt(0)
	v_mov_b32_e32 v11, s21
	v_add_co_u32_e32 v13, vcc, s20, v9
	s_add_u32 s0, s10, s0
	v_addc_co_u32_e32 v14, vcc, v11, v10, vcc
	s_addc_u32 s1, s11, s1
	v_mov_b32_e32 v9, s1
	v_add_co_u32_e32 v15, vcc, s0, v19
	v_addc_co_u32_e32 v16, vcc, 0, v9, vcc
	s_movk_i32 s0, 0x383
	v_cmp_lt_u32_e32 vcc, s0, v0
	v_cndmask_b32_e64 v21, 0, 1, vcc
	v_mov_b32_e32 v9, s19
	v_add_co_u32_e32 v10, vcc, s18, v21
	v_addc_co_u32_e32 v11, vcc, 0, v9, vcc
	v_subrev_co_u32_e32 v9, vcc, s14, v10
	v_subbrev_co_u32_e32 v10, vcc, 0, v11, vcc
	v_lshlrev_b64 v[9:10], 3, v[9:10]
	v_mov_b32_e32 v11, s9
	v_add_co_u32_e32 v17, vcc, s8, v9
	v_addc_co_u32_e32 v18, vcc, v11, v10, vcc
	v_mov_b32_e32 v11, 0
	v_mov_b32_e32 v12, 0
	;; [unrolled: 1-line block ×3, first 2 shown]
	s_movk_i32 s8, 0x1e0
	v_mov_b32_e32 v10, v12
	s_branch .LBB189_8
.LBB189_7:                              ;   in Loop: Header=BB189_8 Depth=1
	s_or_b64 exec, exec, s[0:1]
	s_add_u32 s4, s4, 1
	v_mov_b32_e32 v23, s3
	s_addc_u32 s5, s5, 0
	v_mov_b32_e32 v22, s2
	v_cmp_lt_i64_e32 vcc, s[4:5], v[22:23]
	v_add_co_u32_e64 v17, s[0:1], 8, v17
	v_addc_co_u32_e64 v18, s[0:1], 0, v18, s[0:1]
	s_cbranch_vccz .LBB189_10
.LBB189_8:                              ; =>This Inner Loop Header: Depth=1
	v_mov_b32_e32 v23, s5
	v_add_co_u32_e32 v22, vcc, s4, v21
	v_addc_co_u32_e32 v23, vcc, 0, v23, vcc
	v_cmp_gt_i64_e32 vcc, s[2:3], v[22:23]
	s_and_saveexec_b64 s[0:1], vcc
	s_cbranch_execz .LBB189_7
; %bb.9:                                ;   in Loop: Header=BB189_8 Depth=1
	global_load_dwordx2 v[22:23], v[17:18], off
	s_waitcnt vmcnt(0)
	v_subrev_co_u32_e32 v22, vcc, s14, v22
	v_mad_u64_u32 v[26:27], s[10:11], v22, s8, v[13:14]
	v_subbrev_co_u32_e32 v23, vcc, 0, v23, vcc
	v_mov_b32_e32 v22, v27
	v_mad_u64_u32 v[27:28], s[10:11], v23, s8, v[22:23]
	global_load_dwordx4 v[22:25], v[15:16], off
	s_nop 0
	global_load_dwordx4 v[26:29], v[26:27], off
	v_add_co_u32_e32 v15, vcc, 0x3840, v15
	v_addc_co_u32_e32 v16, vcc, 0, v16, vcc
	s_waitcnt vmcnt(0)
	v_fma_f64 v[9:10], v[22:23], v[26:27], v[9:10]
	v_fma_f64 v[11:12], v[24:25], v[26:27], v[11:12]
	v_fma_f64 v[9:10], -v[24:25], v[28:29], v[9:10]
	v_fma_f64 v[11:12], v[22:23], v[28:29], v[11:12]
	s_branch .LBB189_7
.LBB189_10:
	s_and_b64 vcc, exec, s[16:17]
	ds_write_b128 v19, v[9:12]
	s_waitcnt lgkmcnt(0)
	s_barrier
	s_cbranch_vccz .LBB189_22
; %bb.11:
	v_cmp_gt_u16_e32 vcc, 14, v20
	s_and_saveexec_b64 s[0:1], vcc
	s_cbranch_execz .LBB189_13
; %bb.12:
	ds_read_b128 v[13:16], v19 offset:256
	ds_read_b128 v[21:24], v19
	s_waitcnt lgkmcnt(0)
	v_add_f64 v[13:14], v[13:14], v[21:22]
	v_add_f64 v[15:16], v[15:16], v[23:24]
	ds_write_b128 v19, v[13:16]
.LBB189_13:
	s_or_b64 exec, exec, s[0:1]
	v_cmp_gt_u16_e32 vcc, 8, v20
	s_waitcnt lgkmcnt(0)
	s_barrier
	s_and_saveexec_b64 s[0:1], vcc
	s_cbranch_execz .LBB189_15
; %bb.14:
	ds_read_b128 v[13:16], v19 offset:128
	ds_read_b128 v[21:24], v19
	s_waitcnt lgkmcnt(0)
	v_add_f64 v[13:14], v[13:14], v[21:22]
	v_add_f64 v[15:16], v[15:16], v[23:24]
	ds_write_b128 v19, v[13:16]
.LBB189_15:
	s_or_b64 exec, exec, s[0:1]
	v_cmp_gt_u16_e32 vcc, 4, v20
	s_waitcnt lgkmcnt(0)
	s_barrier
	;; [unrolled: 14-line block ×3, first 2 shown]
	s_and_saveexec_b64 s[0:1], vcc
	s_cbranch_execz .LBB189_19
; %bb.18:
	ds_read_b128 v[13:16], v19
	ds_read_b128 v[20:23], v19 offset:32
	s_waitcnt lgkmcnt(0)
	v_add_f64 v[13:14], v[20:21], v[13:14]
	v_add_f64 v[15:16], v[22:23], v[15:16]
	ds_write_b128 v19, v[13:16]
.LBB189_19:
	s_or_b64 exec, exec, s[0:1]
	v_mov_b32_e32 v16, v12
	v_mov_b32_e32 v14, v10
	v_cmp_gt_u32_e32 vcc, 30, v0
	v_mov_b32_e32 v15, v11
	v_mov_b32_e32 v13, v9
	s_waitcnt lgkmcnt(0)
	s_barrier
	s_and_saveexec_b64 s[0:1], vcc
	s_cbranch_execz .LBB189_21
; %bb.20:
	s_movk_i32 s2, 0x1d0
	v_mad_u32_u24 v17, v0, s2, v19
	ds_read_b128 v[13:16], v17
	ds_read_b128 v[20:23], v17 offset:16
	s_waitcnt lgkmcnt(0)
	v_add_f64 v[13:14], v[20:21], v[13:14]
	v_add_f64 v[15:16], v[22:23], v[15:16]
.LBB189_21:
	s_or_b64 exec, exec, s[0:1]
	s_branch .LBB189_34
.LBB189_22:
                                        ; implicit-def: $vgpr15_vgpr16
                                        ; implicit-def: $vgpr13_vgpr14
	s_cbranch_execz .LBB189_34
; %bb.23:
	s_movk_i32 s0, 0x1a4
	v_cmp_gt_u32_e32 vcc, s0, v0
	s_and_saveexec_b64 s[0:1], vcc
	s_cbranch_execz .LBB189_25
; %bb.24:
	ds_read_b128 v[13:16], v19 offset:7680
	ds_read_b128 v[20:23], v19
	s_waitcnt lgkmcnt(0)
	v_add_f64 v[13:14], v[13:14], v[20:21]
	v_add_f64 v[15:16], v[15:16], v[22:23]
	ds_write_b128 v19, v[13:16]
.LBB189_25:
	s_or_b64 exec, exec, s[0:1]
	s_movk_i32 s0, 0xf0
	v_cmp_gt_u32_e32 vcc, s0, v0
	s_waitcnt lgkmcnt(0)
	s_barrier
	s_and_saveexec_b64 s[0:1], vcc
	s_cbranch_execz .LBB189_27
; %bb.26:
	ds_read_b128 v[13:16], v19 offset:3840
	ds_read_b128 v[20:23], v19
	s_waitcnt lgkmcnt(0)
	v_add_f64 v[13:14], v[13:14], v[20:21]
	v_add_f64 v[15:16], v[15:16], v[22:23]
	ds_write_b128 v19, v[13:16]
.LBB189_27:
	s_or_b64 exec, exec, s[0:1]
	s_movk_i32 s0, 0x78
	v_cmp_gt_u32_e32 vcc, s0, v0
	s_waitcnt lgkmcnt(0)
	s_barrier
	s_and_saveexec_b64 s[0:1], vcc
	s_cbranch_execz .LBB189_29
; %bb.28:
	ds_read_b128 v[13:16], v19 offset:1920
	ds_read_b128 v[20:23], v19
	s_waitcnt lgkmcnt(0)
	v_add_f64 v[13:14], v[13:14], v[20:21]
	v_add_f64 v[15:16], v[15:16], v[22:23]
	ds_write_b128 v19, v[13:16]
.LBB189_29:
	s_or_b64 exec, exec, s[0:1]
	v_cmp_gt_u32_e32 vcc, 60, v0
	s_waitcnt lgkmcnt(0)
	s_barrier
	s_and_saveexec_b64 s[0:1], vcc
	s_cbranch_execz .LBB189_31
; %bb.30:
	ds_read_b128 v[13:16], v19 offset:960
	ds_read_b128 v[20:23], v19
	s_waitcnt lgkmcnt(0)
	v_add_f64 v[13:14], v[13:14], v[20:21]
	v_add_f64 v[15:16], v[15:16], v[22:23]
	ds_write_b128 v19, v[13:16]
.LBB189_31:
	s_or_b64 exec, exec, s[0:1]
	v_cmp_gt_u32_e32 vcc, 30, v0
	s_waitcnt lgkmcnt(0)
	s_and_saveexec_b64 s[0:1], vcc
	s_cbranch_execz .LBB189_33
; %bb.32:
	ds_read_b128 v[9:12], v19 offset:480
	ds_read_b128 v[13:16], v19
	s_waitcnt lgkmcnt(0)
	v_add_f64 v[9:10], v[9:10], v[13:14]
	v_add_f64 v[11:12], v[11:12], v[15:16]
.LBB189_33:
	s_or_b64 exec, exec, s[0:1]
	v_mov_b32_e32 v16, v12
	v_mov_b32_e32 v14, v10
	;; [unrolled: 1-line block ×4, first 2 shown]
.LBB189_34:
	v_cmp_gt_u32_e32 vcc, 30, v0
	s_and_b64 exec, exec, vcc
	s_cbranch_execz .LBB189_39
; %bb.35:
	v_mul_f64 v[9:10], v[15:16], -v[7:8]
	v_mul_f64 v[11:12], v[5:6], v[15:16]
	v_cmp_eq_f64_e32 vcc, 0, v[1:2]
	v_cmp_eq_f64_e64 s[0:1], 0, v[3:4]
	s_mul_i32 s2, s7, 0x1e0
	s_mul_hi_u32 s3, s6, 0x1e0
	s_mul_i32 s4, s6, 0x1e0
	v_fma_f64 v[5:6], v[5:6], v[13:14], v[9:10]
	v_fma_f64 v[7:8], v[7:8], v[13:14], v[11:12]
	s_and_b64 s[0:1], vcc, s[0:1]
	s_and_saveexec_b64 s[6:7], s[0:1]
	s_xor_b64 s[0:1], exec, s[6:7]
	s_cbranch_execz .LBB189_37
; %bb.36:
	s_add_i32 s5, s3, s2
	s_add_u32 s6, s12, s4
	s_addc_u32 s7, s13, s5
	global_store_dwordx4 v19, v[5:8], s[6:7]
                                        ; implicit-def: $vgpr19
                                        ; implicit-def: $vgpr1_vgpr2
                                        ; implicit-def: $vgpr5_vgpr6
.LBB189_37:
	s_andn2_saveexec_b64 s[0:1], s[0:1]
	s_cbranch_execz .LBB189_39
; %bb.38:
	s_add_i32 s3, s3, s2
	s_add_u32 s0, s12, s4
	s_addc_u32 s1, s13, s3
	global_load_dwordx4 v[9:12], v19, s[0:1]
	s_waitcnt vmcnt(0)
	v_fma_f64 v[5:6], v[1:2], v[9:10], v[5:6]
	v_fma_f64 v[7:8], v[3:4], v[9:10], v[7:8]
	v_fma_f64 v[3:4], -v[3:4], v[11:12], v[5:6]
	v_fma_f64 v[5:6], v[1:2], v[11:12], v[7:8]
	global_store_dwordx4 v19, v[3:6], s[0:1]
.LBB189_39:
	s_endpgm
	.section	.rodata,"a",@progbits
	.p2align	6, 0x0
	.amdhsa_kernel _ZN9rocsparseL20bsrxmvn_17_32_kernelILj30E21rocsparse_complex_numIdEllS2_S2_S2_EEvT2_20rocsparse_direction_NS_24const_host_device_scalarIT0_EES3_PKS3_PKT1_SC_S9_PKT3_PKT4_S7_PT5_21rocsparse_index_base_b
		.amdhsa_group_segment_fixed_size 14400
		.amdhsa_private_segment_fixed_size 0
		.amdhsa_kernarg_size 120
		.amdhsa_user_sgpr_count 6
		.amdhsa_user_sgpr_private_segment_buffer 1
		.amdhsa_user_sgpr_dispatch_ptr 0
		.amdhsa_user_sgpr_queue_ptr 0
		.amdhsa_user_sgpr_kernarg_segment_ptr 1
		.amdhsa_user_sgpr_dispatch_id 0
		.amdhsa_user_sgpr_flat_scratch_init 0
		.amdhsa_user_sgpr_private_segment_size 0
		.amdhsa_uses_dynamic_stack 0
		.amdhsa_system_sgpr_private_segment_wavefront_offset 0
		.amdhsa_system_sgpr_workgroup_id_x 1
		.amdhsa_system_sgpr_workgroup_id_y 0
		.amdhsa_system_sgpr_workgroup_id_z 0
		.amdhsa_system_sgpr_workgroup_info 0
		.amdhsa_system_vgpr_workitem_id 0
		.amdhsa_next_free_vgpr 30
		.amdhsa_next_free_sgpr 61
		.amdhsa_reserve_vcc 1
		.amdhsa_reserve_flat_scratch 0
		.amdhsa_float_round_mode_32 0
		.amdhsa_float_round_mode_16_64 0
		.amdhsa_float_denorm_mode_32 3
		.amdhsa_float_denorm_mode_16_64 3
		.amdhsa_dx10_clamp 1
		.amdhsa_ieee_mode 1
		.amdhsa_fp16_overflow 0
		.amdhsa_exception_fp_ieee_invalid_op 0
		.amdhsa_exception_fp_denorm_src 0
		.amdhsa_exception_fp_ieee_div_zero 0
		.amdhsa_exception_fp_ieee_overflow 0
		.amdhsa_exception_fp_ieee_underflow 0
		.amdhsa_exception_fp_ieee_inexact 0
		.amdhsa_exception_int_div_zero 0
	.end_amdhsa_kernel
	.section	.text._ZN9rocsparseL20bsrxmvn_17_32_kernelILj30E21rocsparse_complex_numIdEllS2_S2_S2_EEvT2_20rocsparse_direction_NS_24const_host_device_scalarIT0_EES3_PKS3_PKT1_SC_S9_PKT3_PKT4_S7_PT5_21rocsparse_index_base_b,"axG",@progbits,_ZN9rocsparseL20bsrxmvn_17_32_kernelILj30E21rocsparse_complex_numIdEllS2_S2_S2_EEvT2_20rocsparse_direction_NS_24const_host_device_scalarIT0_EES3_PKS3_PKT1_SC_S9_PKT3_PKT4_S7_PT5_21rocsparse_index_base_b,comdat
.Lfunc_end189:
	.size	_ZN9rocsparseL20bsrxmvn_17_32_kernelILj30E21rocsparse_complex_numIdEllS2_S2_S2_EEvT2_20rocsparse_direction_NS_24const_host_device_scalarIT0_EES3_PKS3_PKT1_SC_S9_PKT3_PKT4_S7_PT5_21rocsparse_index_base_b, .Lfunc_end189-_ZN9rocsparseL20bsrxmvn_17_32_kernelILj30E21rocsparse_complex_numIdEllS2_S2_S2_EEvT2_20rocsparse_direction_NS_24const_host_device_scalarIT0_EES3_PKS3_PKT1_SC_S9_PKT3_PKT4_S7_PT5_21rocsparse_index_base_b
                                        ; -- End function
	.set _ZN9rocsparseL20bsrxmvn_17_32_kernelILj30E21rocsparse_complex_numIdEllS2_S2_S2_EEvT2_20rocsparse_direction_NS_24const_host_device_scalarIT0_EES3_PKS3_PKT1_SC_S9_PKT3_PKT4_S7_PT5_21rocsparse_index_base_b.num_vgpr, 30
	.set _ZN9rocsparseL20bsrxmvn_17_32_kernelILj30E21rocsparse_complex_numIdEllS2_S2_S2_EEvT2_20rocsparse_direction_NS_24const_host_device_scalarIT0_EES3_PKS3_PKT1_SC_S9_PKT3_PKT4_S7_PT5_21rocsparse_index_base_b.num_agpr, 0
	.set _ZN9rocsparseL20bsrxmvn_17_32_kernelILj30E21rocsparse_complex_numIdEllS2_S2_S2_EEvT2_20rocsparse_direction_NS_24const_host_device_scalarIT0_EES3_PKS3_PKT1_SC_S9_PKT3_PKT4_S7_PT5_21rocsparse_index_base_b.numbered_sgpr, 22
	.set _ZN9rocsparseL20bsrxmvn_17_32_kernelILj30E21rocsparse_complex_numIdEllS2_S2_S2_EEvT2_20rocsparse_direction_NS_24const_host_device_scalarIT0_EES3_PKS3_PKT1_SC_S9_PKT3_PKT4_S7_PT5_21rocsparse_index_base_b.num_named_barrier, 0
	.set _ZN9rocsparseL20bsrxmvn_17_32_kernelILj30E21rocsparse_complex_numIdEllS2_S2_S2_EEvT2_20rocsparse_direction_NS_24const_host_device_scalarIT0_EES3_PKS3_PKT1_SC_S9_PKT3_PKT4_S7_PT5_21rocsparse_index_base_b.private_seg_size, 0
	.set _ZN9rocsparseL20bsrxmvn_17_32_kernelILj30E21rocsparse_complex_numIdEllS2_S2_S2_EEvT2_20rocsparse_direction_NS_24const_host_device_scalarIT0_EES3_PKS3_PKT1_SC_S9_PKT3_PKT4_S7_PT5_21rocsparse_index_base_b.uses_vcc, 1
	.set _ZN9rocsparseL20bsrxmvn_17_32_kernelILj30E21rocsparse_complex_numIdEllS2_S2_S2_EEvT2_20rocsparse_direction_NS_24const_host_device_scalarIT0_EES3_PKS3_PKT1_SC_S9_PKT3_PKT4_S7_PT5_21rocsparse_index_base_b.uses_flat_scratch, 0
	.set _ZN9rocsparseL20bsrxmvn_17_32_kernelILj30E21rocsparse_complex_numIdEllS2_S2_S2_EEvT2_20rocsparse_direction_NS_24const_host_device_scalarIT0_EES3_PKS3_PKT1_SC_S9_PKT3_PKT4_S7_PT5_21rocsparse_index_base_b.has_dyn_sized_stack, 0
	.set _ZN9rocsparseL20bsrxmvn_17_32_kernelILj30E21rocsparse_complex_numIdEllS2_S2_S2_EEvT2_20rocsparse_direction_NS_24const_host_device_scalarIT0_EES3_PKS3_PKT1_SC_S9_PKT3_PKT4_S7_PT5_21rocsparse_index_base_b.has_recursion, 0
	.set _ZN9rocsparseL20bsrxmvn_17_32_kernelILj30E21rocsparse_complex_numIdEllS2_S2_S2_EEvT2_20rocsparse_direction_NS_24const_host_device_scalarIT0_EES3_PKS3_PKT1_SC_S9_PKT3_PKT4_S7_PT5_21rocsparse_index_base_b.has_indirect_call, 0
	.section	.AMDGPU.csdata,"",@progbits
; Kernel info:
; codeLenInByte = 1724
; TotalNumSgprs: 26
; NumVgprs: 30
; ScratchSize: 0
; MemoryBound: 1
; FloatMode: 240
; IeeeMode: 1
; LDSByteSize: 14400 bytes/workgroup (compile time only)
; SGPRBlocks: 8
; VGPRBlocks: 7
; NumSGPRsForWavesPerEU: 65
; NumVGPRsForWavesPerEU: 30
; Occupancy: 8
; WaveLimiterHint : 1
; COMPUTE_PGM_RSRC2:SCRATCH_EN: 0
; COMPUTE_PGM_RSRC2:USER_SGPR: 6
; COMPUTE_PGM_RSRC2:TRAP_HANDLER: 0
; COMPUTE_PGM_RSRC2:TGID_X_EN: 1
; COMPUTE_PGM_RSRC2:TGID_Y_EN: 0
; COMPUTE_PGM_RSRC2:TGID_Z_EN: 0
; COMPUTE_PGM_RSRC2:TIDIG_COMP_CNT: 0
	.section	.text._ZN9rocsparseL20bsrxmvn_17_32_kernelILj31E21rocsparse_complex_numIdEllS2_S2_S2_EEvT2_20rocsparse_direction_NS_24const_host_device_scalarIT0_EES3_PKS3_PKT1_SC_S9_PKT3_PKT4_S7_PT5_21rocsparse_index_base_b,"axG",@progbits,_ZN9rocsparseL20bsrxmvn_17_32_kernelILj31E21rocsparse_complex_numIdEllS2_S2_S2_EEvT2_20rocsparse_direction_NS_24const_host_device_scalarIT0_EES3_PKS3_PKT1_SC_S9_PKT3_PKT4_S7_PT5_21rocsparse_index_base_b,comdat
	.globl	_ZN9rocsparseL20bsrxmvn_17_32_kernelILj31E21rocsparse_complex_numIdEllS2_S2_S2_EEvT2_20rocsparse_direction_NS_24const_host_device_scalarIT0_EES3_PKS3_PKT1_SC_S9_PKT3_PKT4_S7_PT5_21rocsparse_index_base_b ; -- Begin function _ZN9rocsparseL20bsrxmvn_17_32_kernelILj31E21rocsparse_complex_numIdEllS2_S2_S2_EEvT2_20rocsparse_direction_NS_24const_host_device_scalarIT0_EES3_PKS3_PKT1_SC_S9_PKT3_PKT4_S7_PT5_21rocsparse_index_base_b
	.p2align	8
	.type	_ZN9rocsparseL20bsrxmvn_17_32_kernelILj31E21rocsparse_complex_numIdEllS2_S2_S2_EEvT2_20rocsparse_direction_NS_24const_host_device_scalarIT0_EES3_PKS3_PKT1_SC_S9_PKT3_PKT4_S7_PT5_21rocsparse_index_base_b,@function
_ZN9rocsparseL20bsrxmvn_17_32_kernelILj31E21rocsparse_complex_numIdEllS2_S2_S2_EEvT2_20rocsparse_direction_NS_24const_host_device_scalarIT0_EES3_PKS3_PKT1_SC_S9_PKT3_PKT4_S7_PT5_21rocsparse_index_base_b: ; @_ZN9rocsparseL20bsrxmvn_17_32_kernelILj31E21rocsparse_complex_numIdEllS2_S2_S2_EEvT2_20rocsparse_direction_NS_24const_host_device_scalarIT0_EES3_PKS3_PKT1_SC_S9_PKT3_PKT4_S7_PT5_21rocsparse_index_base_b
; %bb.0:
	s_load_dwordx2 s[0:1], s[4:5], 0x10
	s_load_dwordx2 s[14:15], s[4:5], 0x70
	s_add_u32 s7, s4, 16
	s_addc_u32 s8, s5, 0
	s_add_u32 s9, s4, 0x58
	s_addc_u32 s10, s5, 0
	s_waitcnt lgkmcnt(0)
	s_bitcmp1_b32 s15, 0
	s_cselect_b32 s1, s8, s1
	s_cselect_b32 s0, s7, s0
	v_mov_b32_e32 v1, s0
	v_mov_b32_e32 v2, s1
	flat_load_dwordx4 v[5:8], v[1:2]
	s_load_dwordx2 s[2:3], s[4:5], 0x58
	s_waitcnt lgkmcnt(0)
	s_cselect_b32 s0, s10, s3
	s_cselect_b32 s1, s9, s2
	v_mov_b32_e32 v1, s1
	v_mov_b32_e32 v2, s0
	flat_load_dwordx4 v[1:4], v[1:2]
	s_waitcnt vmcnt(0)
	v_cmp_eq_f64_e32 vcc, 0, v[5:6]
	v_cmp_eq_f64_e64 s[0:1], 0, v[7:8]
	s_and_b64 s[8:9], vcc, s[0:1]
	s_mov_b64 s[0:1], -1
	s_and_saveexec_b64 s[2:3], s[8:9]
	s_cbranch_execz .LBB190_2
; %bb.1:
	s_waitcnt lgkmcnt(0)
	v_cmp_neq_f64_e32 vcc, 1.0, v[1:2]
	v_cmp_neq_f64_e64 s[0:1], 0, v[3:4]
	s_or_b64 s[0:1], vcc, s[0:1]
	s_orn2_b64 s[0:1], s[0:1], exec
.LBB190_2:
	s_or_b64 exec, exec, s[2:3]
	s_and_saveexec_b64 s[2:3], s[0:1]
	s_cbranch_execz .LBB190_39
; %bb.3:
	s_load_dwordx4 s[0:3], s[4:5], 0x28
	s_load_dwordx2 s[8:9], s[4:5], 0x38
	s_mov_b32 s7, 0
	s_waitcnt lgkmcnt(0)
	s_cmp_eq_u64 s[0:1], 0
	s_cbranch_scc1 .LBB190_5
; %bb.4:
	s_lshl_b64 s[6:7], s[6:7], 3
	s_add_u32 s0, s0, s6
	s_addc_u32 s1, s1, s7
	s_load_dwordx2 s[0:1], s[0:1], 0x0
	s_waitcnt lgkmcnt(0)
	s_sub_u32 s6, s0, s14
	s_subb_u32 s7, s1, 0
.LBB190_5:
	s_load_dword s10, s[4:5], 0x8
	s_load_dwordx2 s[12:13], s[4:5], 0x68
	v_mul_u32_u24_e32 v14, 0x843, v0
	v_mov_b32_e32 v9, 31
	v_mul_lo_u16_sdwa v9, v14, v9 dst_sel:DWORD dst_unused:UNUSED_PAD src0_sel:WORD_1 src1_sel:DWORD
	s_waitcnt lgkmcnt(0)
	s_cmp_eq_u32 s10, 1
	s_cselect_b64 s[0:1], -1, 0
	s_cmp_lg_u32 s10, 1
	s_cselect_b64 s[16:17], -1, 0
	s_lshl_b64 s[10:11], s[6:7], 3
	s_add_u32 s20, s2, s10
	s_addc_u32 s21, s3, s11
	s_add_u32 s2, s20, 8
	s_addc_u32 s3, s21, 0
	;; [unrolled: 2-line block ×3, first 2 shown]
	s_cmp_eq_u64 s[8:9], 0
	s_cselect_b32 s9, s3, s11
	s_cselect_b32 s8, s2, s10
	s_load_dwordx2 s[2:3], s[8:9], 0x0
	s_load_dwordx2 s[18:19], s[20:21], 0x0
	v_sub_u16_e32 v20, v0, v9
	v_mov_b32_e32 v11, 0
	v_mov_b32_e32 v13, 0
	s_waitcnt lgkmcnt(0)
	v_mov_b32_e32 v10, s3
	v_mov_b32_e32 v9, s2
	v_cmp_ge_i64_e32 vcc, s[18:19], v[9:10]
	v_mov_b32_e32 v9, 0
	v_mov_b32_e32 v12, 0
	v_lshlrev_b32_e32 v19, 4, v0
	v_mov_b32_e32 v10, 0
	s_cbranch_vccnz .LBB190_10
; %bb.6:
	s_load_dwordx2 s[20:21], s[4:5], 0x50
	s_load_dwordx4 s[8:11], s[4:5], 0x40
	s_mov_b32 s4, 0xffff
	s_movk_i32 s5, 0x3c1
	v_and_b32_sdwa v9, s4, v14 dst_sel:DWORD dst_unused:UNUSED_PAD src0_sel:DWORD src1_sel:WORD_1
	s_sub_u32 s2, s2, s14
	v_subrev_u32_e32 v10, 31, v9
	v_cmp_gt_u32_e32 vcc, s5, v0
	s_subb_u32 s3, s3, 0
	v_cndmask_b32_e32 v9, v10, v9, vcc
	s_sub_u32 s4, s18, s14
	v_cndmask_b32_e64 v12, v20, v9, s[0:1]
	s_subb_u32 s5, s19, 0
	v_lshlrev_b64 v[9:10], 4, v[12:13]
	s_mul_i32 s0, s5, 0x3c10
	s_mul_hi_u32 s1, s4, 0x3c10
	s_add_i32 s1, s1, s0
	s_mul_i32 s0, s4, 0x3c10
	s_waitcnt lgkmcnt(0)
	v_mov_b32_e32 v11, s21
	v_add_co_u32_e32 v13, vcc, s20, v9
	s_add_u32 s0, s10, s0
	v_addc_co_u32_e32 v14, vcc, v11, v10, vcc
	s_addc_u32 s1, s11, s1
	v_mov_b32_e32 v9, s1
	v_add_co_u32_e32 v15, vcc, s0, v19
	v_addc_co_u32_e32 v16, vcc, 0, v9, vcc
	s_movk_i32 s0, 0x3c0
	v_cmp_lt_u32_e32 vcc, s0, v0
	v_cndmask_b32_e64 v21, 0, 1, vcc
	v_mov_b32_e32 v9, s19
	v_add_co_u32_e32 v10, vcc, s18, v21
	v_addc_co_u32_e32 v11, vcc, 0, v9, vcc
	v_subrev_co_u32_e32 v9, vcc, s14, v10
	v_subbrev_co_u32_e32 v10, vcc, 0, v11, vcc
	v_lshlrev_b64 v[9:10], 3, v[9:10]
	v_mov_b32_e32 v11, s9
	v_add_co_u32_e32 v17, vcc, s8, v9
	v_addc_co_u32_e32 v18, vcc, v11, v10, vcc
	v_mov_b32_e32 v11, 0
	v_mov_b32_e32 v12, 0
	;; [unrolled: 1-line block ×3, first 2 shown]
	s_movk_i32 s8, 0x1f0
	v_mov_b32_e32 v10, v12
	s_branch .LBB190_8
.LBB190_7:                              ;   in Loop: Header=BB190_8 Depth=1
	s_or_b64 exec, exec, s[0:1]
	s_add_u32 s4, s4, 1
	v_mov_b32_e32 v23, s3
	s_addc_u32 s5, s5, 0
	v_mov_b32_e32 v22, s2
	v_cmp_lt_i64_e32 vcc, s[4:5], v[22:23]
	v_add_co_u32_e64 v17, s[0:1], 8, v17
	v_addc_co_u32_e64 v18, s[0:1], 0, v18, s[0:1]
	s_cbranch_vccz .LBB190_10
.LBB190_8:                              ; =>This Inner Loop Header: Depth=1
	v_mov_b32_e32 v23, s5
	v_add_co_u32_e32 v22, vcc, s4, v21
	v_addc_co_u32_e32 v23, vcc, 0, v23, vcc
	v_cmp_gt_i64_e32 vcc, s[2:3], v[22:23]
	s_and_saveexec_b64 s[0:1], vcc
	s_cbranch_execz .LBB190_7
; %bb.9:                                ;   in Loop: Header=BB190_8 Depth=1
	global_load_dwordx2 v[22:23], v[17:18], off
	s_waitcnt vmcnt(0)
	v_subrev_co_u32_e32 v22, vcc, s14, v22
	v_mad_u64_u32 v[26:27], s[10:11], v22, s8, v[13:14]
	v_subbrev_co_u32_e32 v23, vcc, 0, v23, vcc
	v_mov_b32_e32 v22, v27
	v_mad_u64_u32 v[27:28], s[10:11], v23, s8, v[22:23]
	global_load_dwordx4 v[22:25], v[15:16], off
	s_nop 0
	global_load_dwordx4 v[26:29], v[26:27], off
	v_add_co_u32_e32 v15, vcc, 0x3c10, v15
	v_addc_co_u32_e32 v16, vcc, 0, v16, vcc
	s_waitcnt vmcnt(0)
	v_fma_f64 v[9:10], v[22:23], v[26:27], v[9:10]
	v_fma_f64 v[11:12], v[24:25], v[26:27], v[11:12]
	v_fma_f64 v[9:10], -v[24:25], v[28:29], v[9:10]
	v_fma_f64 v[11:12], v[22:23], v[28:29], v[11:12]
	s_branch .LBB190_7
.LBB190_10:
	s_and_b64 vcc, exec, s[16:17]
	ds_write_b128 v19, v[9:12]
	s_waitcnt lgkmcnt(0)
	s_barrier
	s_cbranch_vccz .LBB190_22
; %bb.11:
	v_cmp_gt_u16_e32 vcc, 15, v20
	s_and_saveexec_b64 s[0:1], vcc
	s_cbranch_execz .LBB190_13
; %bb.12:
	ds_read_b128 v[13:16], v19 offset:256
	ds_read_b128 v[21:24], v19
	s_waitcnt lgkmcnt(0)
	v_add_f64 v[13:14], v[13:14], v[21:22]
	v_add_f64 v[15:16], v[15:16], v[23:24]
	ds_write_b128 v19, v[13:16]
.LBB190_13:
	s_or_b64 exec, exec, s[0:1]
	v_cmp_gt_u16_e32 vcc, 8, v20
	s_waitcnt lgkmcnt(0)
	s_barrier
	s_and_saveexec_b64 s[0:1], vcc
	s_cbranch_execz .LBB190_15
; %bb.14:
	ds_read_b128 v[13:16], v19 offset:128
	ds_read_b128 v[21:24], v19
	s_waitcnt lgkmcnt(0)
	v_add_f64 v[13:14], v[13:14], v[21:22]
	v_add_f64 v[15:16], v[15:16], v[23:24]
	ds_write_b128 v19, v[13:16]
.LBB190_15:
	s_or_b64 exec, exec, s[0:1]
	v_cmp_gt_u16_e32 vcc, 4, v20
	s_waitcnt lgkmcnt(0)
	s_barrier
	;; [unrolled: 14-line block ×3, first 2 shown]
	s_and_saveexec_b64 s[0:1], vcc
	s_cbranch_execz .LBB190_19
; %bb.18:
	ds_read_b128 v[13:16], v19
	ds_read_b128 v[20:23], v19 offset:32
	s_waitcnt lgkmcnt(0)
	v_add_f64 v[13:14], v[20:21], v[13:14]
	v_add_f64 v[15:16], v[22:23], v[15:16]
	ds_write_b128 v19, v[13:16]
.LBB190_19:
	s_or_b64 exec, exec, s[0:1]
	v_mov_b32_e32 v16, v12
	v_mov_b32_e32 v14, v10
	v_cmp_gt_u32_e32 vcc, 31, v0
	v_mov_b32_e32 v15, v11
	v_mov_b32_e32 v13, v9
	s_waitcnt lgkmcnt(0)
	s_barrier
	s_and_saveexec_b64 s[0:1], vcc
	s_cbranch_execz .LBB190_21
; %bb.20:
	s_movk_i32 s2, 0x1e0
	v_mad_u32_u24 v17, v0, s2, v19
	ds_read_b128 v[13:16], v17
	ds_read_b128 v[20:23], v17 offset:16
	s_waitcnt lgkmcnt(0)
	v_add_f64 v[13:14], v[20:21], v[13:14]
	v_add_f64 v[15:16], v[22:23], v[15:16]
.LBB190_21:
	s_or_b64 exec, exec, s[0:1]
	s_branch .LBB190_34
.LBB190_22:
                                        ; implicit-def: $vgpr15_vgpr16
                                        ; implicit-def: $vgpr13_vgpr14
	s_cbranch_execz .LBB190_34
; %bb.23:
	s_movk_i32 s0, 0x1d1
	v_cmp_gt_u32_e32 vcc, s0, v0
	s_and_saveexec_b64 s[0:1], vcc
	s_cbranch_execz .LBB190_25
; %bb.24:
	ds_read_b128 v[13:16], v19 offset:7936
	ds_read_b128 v[20:23], v19
	s_waitcnt lgkmcnt(0)
	v_add_f64 v[13:14], v[13:14], v[20:21]
	v_add_f64 v[15:16], v[15:16], v[22:23]
	ds_write_b128 v19, v[13:16]
.LBB190_25:
	s_or_b64 exec, exec, s[0:1]
	s_movk_i32 s0, 0xf8
	v_cmp_gt_u32_e32 vcc, s0, v0
	s_waitcnt lgkmcnt(0)
	s_barrier
	s_and_saveexec_b64 s[0:1], vcc
	s_cbranch_execz .LBB190_27
; %bb.26:
	ds_read_b128 v[13:16], v19 offset:3968
	ds_read_b128 v[20:23], v19
	s_waitcnt lgkmcnt(0)
	v_add_f64 v[13:14], v[13:14], v[20:21]
	v_add_f64 v[15:16], v[15:16], v[22:23]
	ds_write_b128 v19, v[13:16]
.LBB190_27:
	s_or_b64 exec, exec, s[0:1]
	s_movk_i32 s0, 0x7c
	v_cmp_gt_u32_e32 vcc, s0, v0
	s_waitcnt lgkmcnt(0)
	s_barrier
	s_and_saveexec_b64 s[0:1], vcc
	s_cbranch_execz .LBB190_29
; %bb.28:
	ds_read_b128 v[13:16], v19 offset:1984
	ds_read_b128 v[20:23], v19
	s_waitcnt lgkmcnt(0)
	v_add_f64 v[13:14], v[13:14], v[20:21]
	v_add_f64 v[15:16], v[15:16], v[22:23]
	ds_write_b128 v19, v[13:16]
.LBB190_29:
	s_or_b64 exec, exec, s[0:1]
	v_cmp_gt_u32_e32 vcc, 62, v0
	s_waitcnt lgkmcnt(0)
	s_barrier
	s_and_saveexec_b64 s[0:1], vcc
	s_cbranch_execz .LBB190_31
; %bb.30:
	ds_read_b128 v[13:16], v19 offset:992
	ds_read_b128 v[20:23], v19
	s_waitcnt lgkmcnt(0)
	v_add_f64 v[13:14], v[13:14], v[20:21]
	v_add_f64 v[15:16], v[15:16], v[22:23]
	ds_write_b128 v19, v[13:16]
.LBB190_31:
	s_or_b64 exec, exec, s[0:1]
	v_cmp_gt_u32_e32 vcc, 31, v0
	s_waitcnt lgkmcnt(0)
	s_and_saveexec_b64 s[0:1], vcc
	s_cbranch_execz .LBB190_33
; %bb.32:
	ds_read_b128 v[9:12], v19 offset:496
	ds_read_b128 v[13:16], v19
	s_waitcnt lgkmcnt(0)
	v_add_f64 v[9:10], v[9:10], v[13:14]
	v_add_f64 v[11:12], v[11:12], v[15:16]
.LBB190_33:
	s_or_b64 exec, exec, s[0:1]
	v_mov_b32_e32 v16, v12
	v_mov_b32_e32 v14, v10
	;; [unrolled: 1-line block ×4, first 2 shown]
.LBB190_34:
	v_cmp_gt_u32_e32 vcc, 31, v0
	s_and_b64 exec, exec, vcc
	s_cbranch_execz .LBB190_39
; %bb.35:
	v_mul_f64 v[9:10], v[15:16], -v[7:8]
	v_mul_f64 v[11:12], v[5:6], v[15:16]
	v_cmp_eq_f64_e32 vcc, 0, v[1:2]
	v_cmp_eq_f64_e64 s[0:1], 0, v[3:4]
	s_mul_i32 s2, s7, 0x1f0
	s_mul_hi_u32 s3, s6, 0x1f0
	s_mul_i32 s4, s6, 0x1f0
	v_fma_f64 v[5:6], v[5:6], v[13:14], v[9:10]
	v_fma_f64 v[7:8], v[7:8], v[13:14], v[11:12]
	s_and_b64 s[0:1], vcc, s[0:1]
	s_and_saveexec_b64 s[6:7], s[0:1]
	s_xor_b64 s[0:1], exec, s[6:7]
	s_cbranch_execz .LBB190_37
; %bb.36:
	s_add_i32 s5, s3, s2
	s_add_u32 s6, s12, s4
	s_addc_u32 s7, s13, s5
	global_store_dwordx4 v19, v[5:8], s[6:7]
                                        ; implicit-def: $vgpr19
                                        ; implicit-def: $vgpr1_vgpr2
                                        ; implicit-def: $vgpr5_vgpr6
.LBB190_37:
	s_andn2_saveexec_b64 s[0:1], s[0:1]
	s_cbranch_execz .LBB190_39
; %bb.38:
	s_add_i32 s3, s3, s2
	s_add_u32 s0, s12, s4
	s_addc_u32 s1, s13, s3
	global_load_dwordx4 v[9:12], v19, s[0:1]
	s_waitcnt vmcnt(0)
	v_fma_f64 v[5:6], v[1:2], v[9:10], v[5:6]
	v_fma_f64 v[7:8], v[3:4], v[9:10], v[7:8]
	v_fma_f64 v[3:4], -v[3:4], v[11:12], v[5:6]
	v_fma_f64 v[5:6], v[1:2], v[11:12], v[7:8]
	global_store_dwordx4 v19, v[3:6], s[0:1]
.LBB190_39:
	s_endpgm
	.section	.rodata,"a",@progbits
	.p2align	6, 0x0
	.amdhsa_kernel _ZN9rocsparseL20bsrxmvn_17_32_kernelILj31E21rocsparse_complex_numIdEllS2_S2_S2_EEvT2_20rocsparse_direction_NS_24const_host_device_scalarIT0_EES3_PKS3_PKT1_SC_S9_PKT3_PKT4_S7_PT5_21rocsparse_index_base_b
		.amdhsa_group_segment_fixed_size 15376
		.amdhsa_private_segment_fixed_size 0
		.amdhsa_kernarg_size 120
		.amdhsa_user_sgpr_count 6
		.amdhsa_user_sgpr_private_segment_buffer 1
		.amdhsa_user_sgpr_dispatch_ptr 0
		.amdhsa_user_sgpr_queue_ptr 0
		.amdhsa_user_sgpr_kernarg_segment_ptr 1
		.amdhsa_user_sgpr_dispatch_id 0
		.amdhsa_user_sgpr_flat_scratch_init 0
		.amdhsa_user_sgpr_private_segment_size 0
		.amdhsa_uses_dynamic_stack 0
		.amdhsa_system_sgpr_private_segment_wavefront_offset 0
		.amdhsa_system_sgpr_workgroup_id_x 1
		.amdhsa_system_sgpr_workgroup_id_y 0
		.amdhsa_system_sgpr_workgroup_id_z 0
		.amdhsa_system_sgpr_workgroup_info 0
		.amdhsa_system_vgpr_workitem_id 0
		.amdhsa_next_free_vgpr 30
		.amdhsa_next_free_sgpr 61
		.amdhsa_reserve_vcc 1
		.amdhsa_reserve_flat_scratch 0
		.amdhsa_float_round_mode_32 0
		.amdhsa_float_round_mode_16_64 0
		.amdhsa_float_denorm_mode_32 3
		.amdhsa_float_denorm_mode_16_64 3
		.amdhsa_dx10_clamp 1
		.amdhsa_ieee_mode 1
		.amdhsa_fp16_overflow 0
		.amdhsa_exception_fp_ieee_invalid_op 0
		.amdhsa_exception_fp_denorm_src 0
		.amdhsa_exception_fp_ieee_div_zero 0
		.amdhsa_exception_fp_ieee_overflow 0
		.amdhsa_exception_fp_ieee_underflow 0
		.amdhsa_exception_fp_ieee_inexact 0
		.amdhsa_exception_int_div_zero 0
	.end_amdhsa_kernel
	.section	.text._ZN9rocsparseL20bsrxmvn_17_32_kernelILj31E21rocsparse_complex_numIdEllS2_S2_S2_EEvT2_20rocsparse_direction_NS_24const_host_device_scalarIT0_EES3_PKS3_PKT1_SC_S9_PKT3_PKT4_S7_PT5_21rocsparse_index_base_b,"axG",@progbits,_ZN9rocsparseL20bsrxmvn_17_32_kernelILj31E21rocsparse_complex_numIdEllS2_S2_S2_EEvT2_20rocsparse_direction_NS_24const_host_device_scalarIT0_EES3_PKS3_PKT1_SC_S9_PKT3_PKT4_S7_PT5_21rocsparse_index_base_b,comdat
.Lfunc_end190:
	.size	_ZN9rocsparseL20bsrxmvn_17_32_kernelILj31E21rocsparse_complex_numIdEllS2_S2_S2_EEvT2_20rocsparse_direction_NS_24const_host_device_scalarIT0_EES3_PKS3_PKT1_SC_S9_PKT3_PKT4_S7_PT5_21rocsparse_index_base_b, .Lfunc_end190-_ZN9rocsparseL20bsrxmvn_17_32_kernelILj31E21rocsparse_complex_numIdEllS2_S2_S2_EEvT2_20rocsparse_direction_NS_24const_host_device_scalarIT0_EES3_PKS3_PKT1_SC_S9_PKT3_PKT4_S7_PT5_21rocsparse_index_base_b
                                        ; -- End function
	.set _ZN9rocsparseL20bsrxmvn_17_32_kernelILj31E21rocsparse_complex_numIdEllS2_S2_S2_EEvT2_20rocsparse_direction_NS_24const_host_device_scalarIT0_EES3_PKS3_PKT1_SC_S9_PKT3_PKT4_S7_PT5_21rocsparse_index_base_b.num_vgpr, 30
	.set _ZN9rocsparseL20bsrxmvn_17_32_kernelILj31E21rocsparse_complex_numIdEllS2_S2_S2_EEvT2_20rocsparse_direction_NS_24const_host_device_scalarIT0_EES3_PKS3_PKT1_SC_S9_PKT3_PKT4_S7_PT5_21rocsparse_index_base_b.num_agpr, 0
	.set _ZN9rocsparseL20bsrxmvn_17_32_kernelILj31E21rocsparse_complex_numIdEllS2_S2_S2_EEvT2_20rocsparse_direction_NS_24const_host_device_scalarIT0_EES3_PKS3_PKT1_SC_S9_PKT3_PKT4_S7_PT5_21rocsparse_index_base_b.numbered_sgpr, 22
	.set _ZN9rocsparseL20bsrxmvn_17_32_kernelILj31E21rocsparse_complex_numIdEllS2_S2_S2_EEvT2_20rocsparse_direction_NS_24const_host_device_scalarIT0_EES3_PKS3_PKT1_SC_S9_PKT3_PKT4_S7_PT5_21rocsparse_index_base_b.num_named_barrier, 0
	.set _ZN9rocsparseL20bsrxmvn_17_32_kernelILj31E21rocsparse_complex_numIdEllS2_S2_S2_EEvT2_20rocsparse_direction_NS_24const_host_device_scalarIT0_EES3_PKS3_PKT1_SC_S9_PKT3_PKT4_S7_PT5_21rocsparse_index_base_b.private_seg_size, 0
	.set _ZN9rocsparseL20bsrxmvn_17_32_kernelILj31E21rocsparse_complex_numIdEllS2_S2_S2_EEvT2_20rocsparse_direction_NS_24const_host_device_scalarIT0_EES3_PKS3_PKT1_SC_S9_PKT3_PKT4_S7_PT5_21rocsparse_index_base_b.uses_vcc, 1
	.set _ZN9rocsparseL20bsrxmvn_17_32_kernelILj31E21rocsparse_complex_numIdEllS2_S2_S2_EEvT2_20rocsparse_direction_NS_24const_host_device_scalarIT0_EES3_PKS3_PKT1_SC_S9_PKT3_PKT4_S7_PT5_21rocsparse_index_base_b.uses_flat_scratch, 0
	.set _ZN9rocsparseL20bsrxmvn_17_32_kernelILj31E21rocsparse_complex_numIdEllS2_S2_S2_EEvT2_20rocsparse_direction_NS_24const_host_device_scalarIT0_EES3_PKS3_PKT1_SC_S9_PKT3_PKT4_S7_PT5_21rocsparse_index_base_b.has_dyn_sized_stack, 0
	.set _ZN9rocsparseL20bsrxmvn_17_32_kernelILj31E21rocsparse_complex_numIdEllS2_S2_S2_EEvT2_20rocsparse_direction_NS_24const_host_device_scalarIT0_EES3_PKS3_PKT1_SC_S9_PKT3_PKT4_S7_PT5_21rocsparse_index_base_b.has_recursion, 0
	.set _ZN9rocsparseL20bsrxmvn_17_32_kernelILj31E21rocsparse_complex_numIdEllS2_S2_S2_EEvT2_20rocsparse_direction_NS_24const_host_device_scalarIT0_EES3_PKS3_PKT1_SC_S9_PKT3_PKT4_S7_PT5_21rocsparse_index_base_b.has_indirect_call, 0
	.section	.AMDGPU.csdata,"",@progbits
; Kernel info:
; codeLenInByte = 1724
; TotalNumSgprs: 26
; NumVgprs: 30
; ScratchSize: 0
; MemoryBound: 1
; FloatMode: 240
; IeeeMode: 1
; LDSByteSize: 15376 bytes/workgroup (compile time only)
; SGPRBlocks: 8
; VGPRBlocks: 7
; NumSGPRsForWavesPerEU: 65
; NumVGPRsForWavesPerEU: 30
; Occupancy: 8
; WaveLimiterHint : 1
; COMPUTE_PGM_RSRC2:SCRATCH_EN: 0
; COMPUTE_PGM_RSRC2:USER_SGPR: 6
; COMPUTE_PGM_RSRC2:TRAP_HANDLER: 0
; COMPUTE_PGM_RSRC2:TGID_X_EN: 1
; COMPUTE_PGM_RSRC2:TGID_Y_EN: 0
; COMPUTE_PGM_RSRC2:TGID_Z_EN: 0
; COMPUTE_PGM_RSRC2:TIDIG_COMP_CNT: 0
	.section	.text._ZN9rocsparseL20bsrxmvn_17_32_kernelILj32E21rocsparse_complex_numIdEllS2_S2_S2_EEvT2_20rocsparse_direction_NS_24const_host_device_scalarIT0_EES3_PKS3_PKT1_SC_S9_PKT3_PKT4_S7_PT5_21rocsparse_index_base_b,"axG",@progbits,_ZN9rocsparseL20bsrxmvn_17_32_kernelILj32E21rocsparse_complex_numIdEllS2_S2_S2_EEvT2_20rocsparse_direction_NS_24const_host_device_scalarIT0_EES3_PKS3_PKT1_SC_S9_PKT3_PKT4_S7_PT5_21rocsparse_index_base_b,comdat
	.globl	_ZN9rocsparseL20bsrxmvn_17_32_kernelILj32E21rocsparse_complex_numIdEllS2_S2_S2_EEvT2_20rocsparse_direction_NS_24const_host_device_scalarIT0_EES3_PKS3_PKT1_SC_S9_PKT3_PKT4_S7_PT5_21rocsparse_index_base_b ; -- Begin function _ZN9rocsparseL20bsrxmvn_17_32_kernelILj32E21rocsparse_complex_numIdEllS2_S2_S2_EEvT2_20rocsparse_direction_NS_24const_host_device_scalarIT0_EES3_PKS3_PKT1_SC_S9_PKT3_PKT4_S7_PT5_21rocsparse_index_base_b
	.p2align	8
	.type	_ZN9rocsparseL20bsrxmvn_17_32_kernelILj32E21rocsparse_complex_numIdEllS2_S2_S2_EEvT2_20rocsparse_direction_NS_24const_host_device_scalarIT0_EES3_PKS3_PKT1_SC_S9_PKT3_PKT4_S7_PT5_21rocsparse_index_base_b,@function
_ZN9rocsparseL20bsrxmvn_17_32_kernelILj32E21rocsparse_complex_numIdEllS2_S2_S2_EEvT2_20rocsparse_direction_NS_24const_host_device_scalarIT0_EES3_PKS3_PKT1_SC_S9_PKT3_PKT4_S7_PT5_21rocsparse_index_base_b: ; @_ZN9rocsparseL20bsrxmvn_17_32_kernelILj32E21rocsparse_complex_numIdEllS2_S2_S2_EEvT2_20rocsparse_direction_NS_24const_host_device_scalarIT0_EES3_PKS3_PKT1_SC_S9_PKT3_PKT4_S7_PT5_21rocsparse_index_base_b
; %bb.0:
	s_load_dwordx2 s[0:1], s[4:5], 0x10
	s_load_dwordx2 s[8:9], s[4:5], 0x70
	s_add_u32 s7, s4, 16
	s_addc_u32 s10, s5, 0
	s_add_u32 s11, s4, 0x58
	s_addc_u32 s12, s5, 0
	s_waitcnt lgkmcnt(0)
	s_bitcmp1_b32 s9, 0
	s_cselect_b32 s1, s10, s1
	s_cselect_b32 s0, s7, s0
	v_mov_b32_e32 v1, s0
	v_mov_b32_e32 v2, s1
	flat_load_dwordx4 v[5:8], v[1:2]
	s_load_dwordx2 s[2:3], s[4:5], 0x58
	s_waitcnt lgkmcnt(0)
	s_cselect_b32 s0, s12, s3
	s_cselect_b32 s1, s11, s2
	v_mov_b32_e32 v1, s1
	v_mov_b32_e32 v2, s0
	flat_load_dwordx4 v[1:4], v[1:2]
	s_waitcnt vmcnt(0)
	v_cmp_eq_f64_e32 vcc, 0, v[5:6]
	v_cmp_eq_f64_e64 s[0:1], 0, v[7:8]
	s_and_b64 s[10:11], vcc, s[0:1]
	s_mov_b64 s[0:1], -1
	s_and_saveexec_b64 s[2:3], s[10:11]
	s_cbranch_execz .LBB191_2
; %bb.1:
	s_waitcnt lgkmcnt(0)
	v_cmp_neq_f64_e32 vcc, 1.0, v[1:2]
	v_cmp_neq_f64_e64 s[0:1], 0, v[3:4]
	s_or_b64 s[0:1], vcc, s[0:1]
	s_orn2_b64 s[0:1], s[0:1], exec
.LBB191_2:
	s_or_b64 exec, exec, s[2:3]
	s_and_saveexec_b64 s[2:3], s[0:1]
	s_cbranch_execz .LBB191_37
; %bb.3:
	s_load_dwordx4 s[0:3], s[4:5], 0x28
	s_load_dwordx2 s[12:13], s[4:5], 0x38
	s_mov_b32 s7, 0
	s_mov_b32 s9, s7
	s_waitcnt lgkmcnt(0)
	s_cmp_eq_u64 s[0:1], 0
	s_cbranch_scc1 .LBB191_5
; %bb.4:
	s_lshl_b64 s[6:7], s[6:7], 3
	s_add_u32 s0, s0, s6
	s_addc_u32 s1, s1, s7
	s_load_dwordx2 s[0:1], s[0:1], 0x0
	s_waitcnt lgkmcnt(0)
	s_sub_u32 s6, s0, s8
	s_subb_u32 s7, s1, 0
.LBB191_5:
	s_load_dword s10, s[4:5], 0x8
	v_mov_b32_e32 v11, 0
	v_and_b32_e32 v18, 31, v0
	v_mov_b32_e32 v12, 0
	v_lshlrev_b32_e32 v17, 4, v0
	s_waitcnt lgkmcnt(0)
	s_cmp_eq_u32 s10, 1
	s_cselect_b64 s[0:1], -1, 0
	s_cmp_lg_u32 s10, 1
	s_cselect_b64 s[10:11], -1, 0
	s_lshl_b64 s[14:15], s[6:7], 3
	s_add_u32 s16, s2, s14
	s_addc_u32 s17, s3, s15
	s_add_u32 s2, s16, 8
	s_addc_u32 s3, s17, 0
	;; [unrolled: 2-line block ×3, first 2 shown]
	s_cmp_eq_u64 s[12:13], 0
	s_cselect_b32 s19, s3, s15
	s_cselect_b32 s18, s2, s14
	s_load_dwordx2 s[14:15], s[18:19], 0x0
	s_load_dwordx2 s[12:13], s[16:17], 0x0
	;; [unrolled: 1-line block ×3, first 2 shown]
	s_waitcnt lgkmcnt(0)
	v_mov_b32_e32 v9, s14
	v_mov_b32_e32 v10, s15
	v_cmp_ge_i64_e32 vcc, s[12:13], v[9:10]
	v_mov_b32_e32 v9, 0
	v_mov_b32_e32 v10, 0
	s_cbranch_vccnz .LBB191_8
; %bb.6:
	s_load_dwordx2 s[20:21], s[4:5], 0x50
	s_load_dwordx4 s[16:19], s[4:5], 0x40
	s_sub_u32 s14, s14, s8
	v_lshrrev_b32_e32 v9, 5, v0
	s_subb_u32 s15, s15, 0
	v_cndmask_b32_e64 v9, v18, v9, s[0:1]
	s_sub_u32 s0, s12, s8
	s_subb_u32 s1, s13, 0
	v_lshlrev_b32_e32 v9, 4, v9
	s_lshl_b64 s[4:5], s[0:1], 14
	s_waitcnt lgkmcnt(0)
	v_mov_b32_e32 v10, s21
	v_add_co_u32_e32 v19, vcc, s20, v9
	s_add_u32 s4, s18, s4
	v_addc_co_u32_e32 v20, vcc, 0, v10, vcc
	s_addc_u32 s5, s19, s5
	v_mov_b32_e32 v9, s5
	v_add_co_u32_e32 v13, vcc, s4, v17
	s_lshl_b64 s[4:5], s[12:13], 3
	s_lshl_b64 s[12:13], s[8:9], 3
	s_sub_u32 s4, s4, s12
	s_subb_u32 s5, s5, s13
	v_mov_b32_e32 v11, 0
	v_addc_co_u32_e32 v14, vcc, 0, v9, vcc
	s_add_u32 s4, s16, s4
	v_mov_b32_e32 v12, 0
	v_mov_b32_e32 v16, s15
	;; [unrolled: 1-line block ×3, first 2 shown]
	s_addc_u32 s5, s17, s5
	v_mov_b32_e32 v15, s14
	v_mov_b32_e32 v10, v12
.LBB191_7:                              ; =>This Inner Loop Header: Depth=1
	s_load_dwordx2 s[12:13], s[4:5], 0x0
	global_load_dwordx4 v[21:24], v[13:14], off
	s_waitcnt lgkmcnt(0)
	s_sub_u32 s12, s12, s8
	s_subb_u32 s13, s13, 0
	s_lshl_b64 s[12:13], s[12:13], 9
	v_mov_b32_e32 v26, s13
	v_add_co_u32_e32 v25, vcc, s12, v19
	v_addc_co_u32_e32 v26, vcc, v20, v26, vcc
	global_load_dwordx4 v[25:28], v[25:26], off
	v_add_co_u32_e32 v13, vcc, 0x4000, v13
	s_add_u32 s0, s0, 1
	v_addc_co_u32_e32 v14, vcc, 0, v14, vcc
	s_addc_u32 s1, s1, 0
	v_cmp_lt_i64_e32 vcc, s[0:1], v[15:16]
	s_add_u32 s4, s4, 8
	s_addc_u32 s5, s5, 0
	s_and_b64 vcc, exec, vcc
	s_waitcnt vmcnt(0)
	v_fma_f64 v[9:10], v[21:22], v[25:26], v[9:10]
	v_fma_f64 v[11:12], v[23:24], v[25:26], v[11:12]
	v_fma_f64 v[9:10], -v[23:24], v[27:28], v[9:10]
	v_fma_f64 v[11:12], v[21:22], v[27:28], v[11:12]
	s_cbranch_vccnz .LBB191_7
.LBB191_8:
	s_and_b64 vcc, exec, s[10:11]
	ds_write_b128 v17, v[9:12]
	s_waitcnt lgkmcnt(0)
	s_barrier
	s_cbranch_vccz .LBB191_20
; %bb.9:
	v_cmp_gt_u32_e32 vcc, 16, v18
	s_and_saveexec_b64 s[0:1], vcc
	s_cbranch_execz .LBB191_11
; %bb.10:
	ds_read_b128 v[13:16], v17 offset:256
	ds_read_b128 v[19:22], v17
	s_waitcnt lgkmcnt(0)
	v_add_f64 v[13:14], v[13:14], v[19:20]
	v_add_f64 v[15:16], v[15:16], v[21:22]
	ds_write_b128 v17, v[13:16]
.LBB191_11:
	s_or_b64 exec, exec, s[0:1]
	v_cmp_gt_u32_e32 vcc, 8, v18
	s_waitcnt lgkmcnt(0)
	s_barrier
	s_and_saveexec_b64 s[0:1], vcc
	s_cbranch_execz .LBB191_13
; %bb.12:
	ds_read_b128 v[13:16], v17 offset:128
	ds_read_b128 v[19:22], v17
	s_waitcnt lgkmcnt(0)
	v_add_f64 v[13:14], v[13:14], v[19:20]
	v_add_f64 v[15:16], v[15:16], v[21:22]
	ds_write_b128 v17, v[13:16]
.LBB191_13:
	s_or_b64 exec, exec, s[0:1]
	v_cmp_gt_u32_e32 vcc, 4, v18
	s_waitcnt lgkmcnt(0)
	s_barrier
	;; [unrolled: 14-line block ×3, first 2 shown]
	s_and_saveexec_b64 s[0:1], vcc
	s_cbranch_execz .LBB191_17
; %bb.16:
	ds_read_b128 v[13:16], v17
	ds_read_b128 v[18:21], v17 offset:32
	s_waitcnt lgkmcnt(0)
	v_add_f64 v[13:14], v[18:19], v[13:14]
	v_add_f64 v[15:16], v[20:21], v[15:16]
	ds_write_b128 v17, v[13:16]
.LBB191_17:
	s_or_b64 exec, exec, s[0:1]
	v_mov_b32_e32 v16, v12
	v_mov_b32_e32 v14, v10
	v_cmp_gt_u32_e32 vcc, 32, v0
	v_mov_b32_e32 v15, v11
	v_mov_b32_e32 v13, v9
	s_waitcnt lgkmcnt(0)
	s_barrier
	s_and_saveexec_b64 s[0:1], vcc
	s_cbranch_execz .LBB191_19
; %bb.18:
	s_movk_i32 s4, 0x1f0
	v_mad_u32_u24 v18, v0, s4, v17
	ds_read_b128 v[13:16], v18
	ds_read_b128 v[18:21], v18 offset:16
	s_waitcnt lgkmcnt(0)
	v_add_f64 v[13:14], v[18:19], v[13:14]
	v_add_f64 v[15:16], v[20:21], v[15:16]
.LBB191_19:
	s_or_b64 exec, exec, s[0:1]
	s_branch .LBB191_32
.LBB191_20:
                                        ; implicit-def: $vgpr15_vgpr16
                                        ; implicit-def: $vgpr13_vgpr14
	s_cbranch_execz .LBB191_32
; %bb.21:
	s_movk_i32 s0, 0x200
	v_cmp_gt_u32_e32 vcc, s0, v0
	s_and_saveexec_b64 s[0:1], vcc
	s_cbranch_execz .LBB191_23
; %bb.22:
	ds_read_b128 v[13:16], v17 offset:8192
	ds_read_b128 v[18:21], v17
	s_waitcnt lgkmcnt(0)
	v_add_f64 v[13:14], v[13:14], v[18:19]
	v_add_f64 v[15:16], v[15:16], v[20:21]
	ds_write_b128 v17, v[13:16]
.LBB191_23:
	s_or_b64 exec, exec, s[0:1]
	s_movk_i32 s0, 0x100
	v_cmp_gt_u32_e32 vcc, s0, v0
	s_waitcnt lgkmcnt(0)
	s_barrier
	s_and_saveexec_b64 s[0:1], vcc
	s_cbranch_execz .LBB191_25
; %bb.24:
	ds_read_b128 v[13:16], v17 offset:4096
	ds_read_b128 v[18:21], v17
	s_waitcnt lgkmcnt(0)
	v_add_f64 v[13:14], v[13:14], v[18:19]
	v_add_f64 v[15:16], v[15:16], v[20:21]
	ds_write_b128 v17, v[13:16]
.LBB191_25:
	s_or_b64 exec, exec, s[0:1]
	s_movk_i32 s0, 0x80
	v_cmp_gt_u32_e32 vcc, s0, v0
	s_waitcnt lgkmcnt(0)
	s_barrier
	s_and_saveexec_b64 s[0:1], vcc
	s_cbranch_execz .LBB191_27
; %bb.26:
	ds_read_b128 v[13:16], v17 offset:2048
	ds_read_b128 v[18:21], v17
	s_waitcnt lgkmcnt(0)
	v_add_f64 v[13:14], v[13:14], v[18:19]
	v_add_f64 v[15:16], v[15:16], v[20:21]
	ds_write_b128 v17, v[13:16]
.LBB191_27:
	s_or_b64 exec, exec, s[0:1]
	v_cmp_gt_u32_e32 vcc, 64, v0
	s_waitcnt lgkmcnt(0)
	s_barrier
	s_and_saveexec_b64 s[0:1], vcc
	s_cbranch_execz .LBB191_29
; %bb.28:
	ds_read_b128 v[13:16], v17 offset:1024
	ds_read_b128 v[18:21], v17
	s_waitcnt lgkmcnt(0)
	v_add_f64 v[13:14], v[13:14], v[18:19]
	v_add_f64 v[15:16], v[15:16], v[20:21]
	ds_write_b128 v17, v[13:16]
.LBB191_29:
	s_or_b64 exec, exec, s[0:1]
	v_cmp_gt_u32_e32 vcc, 32, v0
	s_waitcnt lgkmcnt(0)
	s_and_saveexec_b64 s[0:1], vcc
	s_cbranch_execz .LBB191_31
; %bb.30:
	ds_read_b128 v[9:12], v17 offset:512
	ds_read_b128 v[13:16], v17
	s_waitcnt lgkmcnt(0)
	v_add_f64 v[9:10], v[9:10], v[13:14]
	v_add_f64 v[11:12], v[11:12], v[15:16]
.LBB191_31:
	s_or_b64 exec, exec, s[0:1]
	v_mov_b32_e32 v16, v12
	v_mov_b32_e32 v14, v10
	;; [unrolled: 1-line block ×4, first 2 shown]
.LBB191_32:
	v_cmp_gt_u32_e32 vcc, 32, v0
	s_and_b64 exec, exec, vcc
	s_cbranch_execz .LBB191_37
; %bb.33:
	v_mul_f64 v[9:10], v[15:16], -v[7:8]
	v_mul_f64 v[11:12], v[5:6], v[15:16]
	v_cmp_eq_f64_e32 vcc, 0, v[1:2]
	v_cmp_eq_f64_e64 s[0:1], 0, v[3:4]
	v_fma_f64 v[5:6], v[5:6], v[13:14], v[9:10]
	v_fma_f64 v[7:8], v[7:8], v[13:14], v[11:12]
	s_and_b64 s[0:1], vcc, s[0:1]
	s_and_saveexec_b64 s[4:5], s[0:1]
	s_xor_b64 s[0:1], exec, s[4:5]
	s_cbranch_execz .LBB191_35
; %bb.34:
	s_lshl_b64 s[4:5], s[6:7], 9
	s_add_u32 s4, s2, s4
	s_addc_u32 s5, s3, s5
	global_store_dwordx4 v17, v[5:8], s[4:5]
                                        ; implicit-def: $vgpr17
                                        ; implicit-def: $vgpr1_vgpr2
                                        ; implicit-def: $vgpr5_vgpr6
.LBB191_35:
	s_andn2_saveexec_b64 s[0:1], s[0:1]
	s_cbranch_execz .LBB191_37
; %bb.36:
	s_lshl_b64 s[0:1], s[6:7], 9
	s_add_u32 s0, s2, s0
	s_addc_u32 s1, s3, s1
	global_load_dwordx4 v[9:12], v17, s[0:1]
	s_waitcnt vmcnt(0)
	v_fma_f64 v[5:6], v[1:2], v[9:10], v[5:6]
	v_fma_f64 v[7:8], v[3:4], v[9:10], v[7:8]
	v_fma_f64 v[3:4], -v[3:4], v[11:12], v[5:6]
	v_fma_f64 v[5:6], v[1:2], v[11:12], v[7:8]
	global_store_dwordx4 v17, v[3:6], s[0:1]
.LBB191_37:
	s_endpgm
	.section	.rodata,"a",@progbits
	.p2align	6, 0x0
	.amdhsa_kernel _ZN9rocsparseL20bsrxmvn_17_32_kernelILj32E21rocsparse_complex_numIdEllS2_S2_S2_EEvT2_20rocsparse_direction_NS_24const_host_device_scalarIT0_EES3_PKS3_PKT1_SC_S9_PKT3_PKT4_S7_PT5_21rocsparse_index_base_b
		.amdhsa_group_segment_fixed_size 16384
		.amdhsa_private_segment_fixed_size 0
		.amdhsa_kernarg_size 120
		.amdhsa_user_sgpr_count 6
		.amdhsa_user_sgpr_private_segment_buffer 1
		.amdhsa_user_sgpr_dispatch_ptr 0
		.amdhsa_user_sgpr_queue_ptr 0
		.amdhsa_user_sgpr_kernarg_segment_ptr 1
		.amdhsa_user_sgpr_dispatch_id 0
		.amdhsa_user_sgpr_flat_scratch_init 0
		.amdhsa_user_sgpr_private_segment_size 0
		.amdhsa_uses_dynamic_stack 0
		.amdhsa_system_sgpr_private_segment_wavefront_offset 0
		.amdhsa_system_sgpr_workgroup_id_x 1
		.amdhsa_system_sgpr_workgroup_id_y 0
		.amdhsa_system_sgpr_workgroup_id_z 0
		.amdhsa_system_sgpr_workgroup_info 0
		.amdhsa_system_vgpr_workitem_id 0
		.amdhsa_next_free_vgpr 29
		.amdhsa_next_free_sgpr 61
		.amdhsa_reserve_vcc 1
		.amdhsa_reserve_flat_scratch 0
		.amdhsa_float_round_mode_32 0
		.amdhsa_float_round_mode_16_64 0
		.amdhsa_float_denorm_mode_32 3
		.amdhsa_float_denorm_mode_16_64 3
		.amdhsa_dx10_clamp 1
		.amdhsa_ieee_mode 1
		.amdhsa_fp16_overflow 0
		.amdhsa_exception_fp_ieee_invalid_op 0
		.amdhsa_exception_fp_denorm_src 0
		.amdhsa_exception_fp_ieee_div_zero 0
		.amdhsa_exception_fp_ieee_overflow 0
		.amdhsa_exception_fp_ieee_underflow 0
		.amdhsa_exception_fp_ieee_inexact 0
		.amdhsa_exception_int_div_zero 0
	.end_amdhsa_kernel
	.section	.text._ZN9rocsparseL20bsrxmvn_17_32_kernelILj32E21rocsparse_complex_numIdEllS2_S2_S2_EEvT2_20rocsparse_direction_NS_24const_host_device_scalarIT0_EES3_PKS3_PKT1_SC_S9_PKT3_PKT4_S7_PT5_21rocsparse_index_base_b,"axG",@progbits,_ZN9rocsparseL20bsrxmvn_17_32_kernelILj32E21rocsparse_complex_numIdEllS2_S2_S2_EEvT2_20rocsparse_direction_NS_24const_host_device_scalarIT0_EES3_PKS3_PKT1_SC_S9_PKT3_PKT4_S7_PT5_21rocsparse_index_base_b,comdat
.Lfunc_end191:
	.size	_ZN9rocsparseL20bsrxmvn_17_32_kernelILj32E21rocsparse_complex_numIdEllS2_S2_S2_EEvT2_20rocsparse_direction_NS_24const_host_device_scalarIT0_EES3_PKS3_PKT1_SC_S9_PKT3_PKT4_S7_PT5_21rocsparse_index_base_b, .Lfunc_end191-_ZN9rocsparseL20bsrxmvn_17_32_kernelILj32E21rocsparse_complex_numIdEllS2_S2_S2_EEvT2_20rocsparse_direction_NS_24const_host_device_scalarIT0_EES3_PKS3_PKT1_SC_S9_PKT3_PKT4_S7_PT5_21rocsparse_index_base_b
                                        ; -- End function
	.set _ZN9rocsparseL20bsrxmvn_17_32_kernelILj32E21rocsparse_complex_numIdEllS2_S2_S2_EEvT2_20rocsparse_direction_NS_24const_host_device_scalarIT0_EES3_PKS3_PKT1_SC_S9_PKT3_PKT4_S7_PT5_21rocsparse_index_base_b.num_vgpr, 29
	.set _ZN9rocsparseL20bsrxmvn_17_32_kernelILj32E21rocsparse_complex_numIdEllS2_S2_S2_EEvT2_20rocsparse_direction_NS_24const_host_device_scalarIT0_EES3_PKS3_PKT1_SC_S9_PKT3_PKT4_S7_PT5_21rocsparse_index_base_b.num_agpr, 0
	.set _ZN9rocsparseL20bsrxmvn_17_32_kernelILj32E21rocsparse_complex_numIdEllS2_S2_S2_EEvT2_20rocsparse_direction_NS_24const_host_device_scalarIT0_EES3_PKS3_PKT1_SC_S9_PKT3_PKT4_S7_PT5_21rocsparse_index_base_b.numbered_sgpr, 22
	.set _ZN9rocsparseL20bsrxmvn_17_32_kernelILj32E21rocsparse_complex_numIdEllS2_S2_S2_EEvT2_20rocsparse_direction_NS_24const_host_device_scalarIT0_EES3_PKS3_PKT1_SC_S9_PKT3_PKT4_S7_PT5_21rocsparse_index_base_b.num_named_barrier, 0
	.set _ZN9rocsparseL20bsrxmvn_17_32_kernelILj32E21rocsparse_complex_numIdEllS2_S2_S2_EEvT2_20rocsparse_direction_NS_24const_host_device_scalarIT0_EES3_PKS3_PKT1_SC_S9_PKT3_PKT4_S7_PT5_21rocsparse_index_base_b.private_seg_size, 0
	.set _ZN9rocsparseL20bsrxmvn_17_32_kernelILj32E21rocsparse_complex_numIdEllS2_S2_S2_EEvT2_20rocsparse_direction_NS_24const_host_device_scalarIT0_EES3_PKS3_PKT1_SC_S9_PKT3_PKT4_S7_PT5_21rocsparse_index_base_b.uses_vcc, 1
	.set _ZN9rocsparseL20bsrxmvn_17_32_kernelILj32E21rocsparse_complex_numIdEllS2_S2_S2_EEvT2_20rocsparse_direction_NS_24const_host_device_scalarIT0_EES3_PKS3_PKT1_SC_S9_PKT3_PKT4_S7_PT5_21rocsparse_index_base_b.uses_flat_scratch, 0
	.set _ZN9rocsparseL20bsrxmvn_17_32_kernelILj32E21rocsparse_complex_numIdEllS2_S2_S2_EEvT2_20rocsparse_direction_NS_24const_host_device_scalarIT0_EES3_PKS3_PKT1_SC_S9_PKT3_PKT4_S7_PT5_21rocsparse_index_base_b.has_dyn_sized_stack, 0
	.set _ZN9rocsparseL20bsrxmvn_17_32_kernelILj32E21rocsparse_complex_numIdEllS2_S2_S2_EEvT2_20rocsparse_direction_NS_24const_host_device_scalarIT0_EES3_PKS3_PKT1_SC_S9_PKT3_PKT4_S7_PT5_21rocsparse_index_base_b.has_recursion, 0
	.set _ZN9rocsparseL20bsrxmvn_17_32_kernelILj32E21rocsparse_complex_numIdEllS2_S2_S2_EEvT2_20rocsparse_direction_NS_24const_host_device_scalarIT0_EES3_PKS3_PKT1_SC_S9_PKT3_PKT4_S7_PT5_21rocsparse_index_base_b.has_indirect_call, 0
	.section	.AMDGPU.csdata,"",@progbits
; Kernel info:
; codeLenInByte = 1540
; TotalNumSgprs: 26
; NumVgprs: 29
; ScratchSize: 0
; MemoryBound: 0
; FloatMode: 240
; IeeeMode: 1
; LDSByteSize: 16384 bytes/workgroup (compile time only)
; SGPRBlocks: 8
; VGPRBlocks: 7
; NumSGPRsForWavesPerEU: 65
; NumVGPRsForWavesPerEU: 29
; Occupancy: 8
; WaveLimiterHint : 1
; COMPUTE_PGM_RSRC2:SCRATCH_EN: 0
; COMPUTE_PGM_RSRC2:USER_SGPR: 6
; COMPUTE_PGM_RSRC2:TRAP_HANDLER: 0
; COMPUTE_PGM_RSRC2:TGID_X_EN: 1
; COMPUTE_PGM_RSRC2:TGID_Y_EN: 0
; COMPUTE_PGM_RSRC2:TGID_Z_EN: 0
; COMPUTE_PGM_RSRC2:TIDIG_COMP_CNT: 0
	.section	.text._ZN9rocsparseL20bsrxmvn_17_32_kernelILj17EiiiaaiEEvT2_20rocsparse_direction_NS_24const_host_device_scalarIT0_EES1_PKS1_PKT1_SA_S7_PKT3_PKT4_S5_PT5_21rocsparse_index_base_b,"axG",@progbits,_ZN9rocsparseL20bsrxmvn_17_32_kernelILj17EiiiaaiEEvT2_20rocsparse_direction_NS_24const_host_device_scalarIT0_EES1_PKS1_PKT1_SA_S7_PKT3_PKT4_S5_PT5_21rocsparse_index_base_b,comdat
	.globl	_ZN9rocsparseL20bsrxmvn_17_32_kernelILj17EiiiaaiEEvT2_20rocsparse_direction_NS_24const_host_device_scalarIT0_EES1_PKS1_PKT1_SA_S7_PKT3_PKT4_S5_PT5_21rocsparse_index_base_b ; -- Begin function _ZN9rocsparseL20bsrxmvn_17_32_kernelILj17EiiiaaiEEvT2_20rocsparse_direction_NS_24const_host_device_scalarIT0_EES1_PKS1_PKT1_SA_S7_PKT3_PKT4_S5_PT5_21rocsparse_index_base_b
	.p2align	8
	.type	_ZN9rocsparseL20bsrxmvn_17_32_kernelILj17EiiiaaiEEvT2_20rocsparse_direction_NS_24const_host_device_scalarIT0_EES1_PKS1_PKT1_SA_S7_PKT3_PKT4_S5_PT5_21rocsparse_index_base_b,@function
_ZN9rocsparseL20bsrxmvn_17_32_kernelILj17EiiiaaiEEvT2_20rocsparse_direction_NS_24const_host_device_scalarIT0_EES1_PKS1_PKT1_SA_S7_PKT3_PKT4_S5_PT5_21rocsparse_index_base_b: ; @_ZN9rocsparseL20bsrxmvn_17_32_kernelILj17EiiiaaiEEvT2_20rocsparse_direction_NS_24const_host_device_scalarIT0_EES1_PKS1_PKT1_SA_S7_PKT3_PKT4_S5_PT5_21rocsparse_index_base_b
; %bb.0:
	s_load_dwordx2 s[10:11], s[4:5], 0x58
	s_load_dwordx2 s[8:9], s[4:5], 0x8
	s_mov_b64 s[12:13], -1
	s_waitcnt lgkmcnt(0)
	s_bitcmp1_b32 s11, 0
	s_cselect_b64 s[0:1], -1, 0
	s_xor_b64 s[2:3], s[0:1], -1
	s_and_b64 vcc, exec, s[2:3]
                                        ; implicit-def: $sgpr11
	s_cbranch_vccnz .LBB192_4
; %bb.1:
	s_load_dwordx2 s[0:1], s[4:5], 0x48
	s_andn2_b64 vcc, exec, s[12:13]
	s_cbranch_vccz .LBB192_5
.LBB192_2:
	s_and_b64 vcc, exec, s[2:3]
	s_cbranch_vccz .LBB192_6
.LBB192_3:
	s_waitcnt lgkmcnt(0)
	s_load_dword s16, s[0:1], 0x0
	s_cbranch_execz .LBB192_7
	s_branch .LBB192_8
.LBB192_4:
	s_load_dword s11, s[8:9], 0x0
	s_load_dwordx2 s[0:1], s[4:5], 0x48
	s_cbranch_execnz .LBB192_2
.LBB192_5:
	s_waitcnt lgkmcnt(0)
	s_mov_b32 s11, s8
	s_and_b64 vcc, exec, s[2:3]
	s_cbranch_vccnz .LBB192_3
.LBB192_6:
                                        ; implicit-def: $sgpr16
.LBB192_7:
	s_waitcnt lgkmcnt(0)
	s_mov_b32 s16, s0
.LBB192_8:
	s_waitcnt lgkmcnt(0)
	s_cmp_lg_u32 s11, 0
	s_cselect_b64 s[0:1], -1, 0
	s_cmp_lg_u32 s16, 1
	s_cselect_b64 s[2:3], -1, 0
	s_or_b64 s[0:1], s[0:1], s[2:3]
	s_andn2_b64 vcc, exec, s[0:1]
	s_cbranch_vccnz .LBB192_44
; %bb.9:
	s_load_dwordx4 s[0:3], s[4:5], 0x18
	s_load_dwordx2 s[14:15], s[4:5], 0x28
	s_waitcnt lgkmcnt(0)
	s_cmp_eq_u64 s[0:1], 0
	s_cbranch_scc1 .LBB192_11
; %bb.10:
	s_ashr_i32 s7, s6, 31
	s_lshl_b64 s[6:7], s[6:7], 2
	s_add_u32 s0, s0, s6
	s_addc_u32 s1, s1, s7
	s_load_dword s0, s[0:1], 0x0
	s_waitcnt lgkmcnt(0)
	s_sub_i32 s6, s0, s10
.LBB192_11:
	s_load_dword s0, s[4:5], 0x4
	s_load_dwordx2 s[8:9], s[4:5], 0x50
	v_mul_u32_u24_e32 v1, 0xf10, v0
	v_mov_b32_e32 v2, 17
	v_mul_lo_u16_sdwa v2, v1, v2 dst_sel:DWORD dst_unused:UNUSED_PAD src0_sel:WORD_1 src1_sel:DWORD
	s_waitcnt lgkmcnt(0)
	s_cmp_eq_u32 s0, 1
	s_cselect_b64 vcc, -1, 0
	s_cmp_lg_u32 s0, 1
	s_cselect_b64 s[12:13], -1, 0
	s_ashr_i32 s7, s6, 31
	s_lshl_b64 s[0:1], s[6:7], 2
	s_add_u32 s2, s2, s0
	s_addc_u32 s3, s3, s1
	s_load_dword s7, s[2:3], 0x0
	s_add_u32 s2, s2, 4
	s_addc_u32 s3, s3, 0
	s_add_u32 s0, s14, s0
	s_addc_u32 s1, s15, s1
	s_cmp_eq_u64 s[14:15], 0
	s_cselect_b32 s1, s3, s1
	s_cselect_b32 s0, s2, s0
	s_load_dword s17, s[0:1], 0x0
	v_sub_u16_e32 v7, v0, v2
	v_mov_b32_e32 v6, 0
	s_waitcnt lgkmcnt(0)
	s_cmp_ge_i32 s7, s17
	s_cbranch_scc1 .LBB192_16
; %bb.12:
	s_load_dwordx4 s[0:3], s[4:5], 0x30
	s_load_dwordx2 s[14:15], s[4:5], 0x40
	v_mov_b32_e32 v2, 31
	v_mul_lo_u16_sdwa v2, v1, v2 dst_sel:DWORD dst_unused:UNUSED_PAD src0_sel:WORD_1 src1_sel:DWORD
	v_lshrrev_b16_e32 v2, 9, v2
	s_sub_i32 s5, s7, s10
	s_sub_i32 s4, s17, s10
	v_mul_lo_u16_e32 v2, 17, v2
	s_mul_i32 s17, s5, 0x121
	v_sub_u16_sdwa v1, v1, v2 dst_sel:DWORD dst_unused:UNUSED_PAD src0_sel:WORD_1 src1_sel:DWORD
	s_mul_hi_i32 s7, s5, 0x121
	s_waitcnt lgkmcnt(0)
	s_add_u32 s2, s2, s17
	v_and_b32_e32 v1, 0xff, v1
	s_addc_u32 s3, s3, s7
	v_cndmask_b32_e32 v1, v7, v1, vcc
	v_mov_b32_e32 v3, s3
	v_add_co_u32_e32 v2, vcc, s2, v0
	s_movk_i32 s2, 0xe3
	v_mov_b32_e32 v6, 0
	v_addc_co_u32_e32 v3, vcc, 0, v3, vcc
	v_mul_u32_u24_sdwa v8, v0, s2 dst_sel:DWORD dst_unused:UNUSED_PAD src0_sel:WORD_0 src1_sel:DWORD
	s_branch .LBB192_14
.LBB192_13:                             ;   in Loop: Header=BB192_14 Depth=1
	s_or_b64 exec, exec, s[2:3]
	s_add_i32 s5, s5, 1
	s_cmp_lt_i32 s5, s4
	s_cbranch_scc0 .LBB192_16
.LBB192_14:                             ; =>This Inner Loop Header: Depth=1
	v_add_u32_sdwa v4, v8, s5 dst_sel:DWORD dst_unused:UNUSED_PAD src0_sel:WORD_1 src1_sel:DWORD
	v_cmp_gt_i32_e32 vcc, s4, v4
	s_and_saveexec_b64 s[2:3], vcc
	s_cbranch_execz .LBB192_13
; %bb.15:                               ;   in Loop: Header=BB192_14 Depth=1
	v_ashrrev_i32_e32 v5, 31, v4
	v_lshlrev_b64 v[4:5], 2, v[4:5]
	v_mov_b32_e32 v9, s1
	v_add_co_u32_e32 v4, vcc, s0, v4
	v_addc_co_u32_e32 v5, vcc, v9, v5, vcc
	global_load_dword v4, v[4:5], off
	s_waitcnt vmcnt(0)
	v_subrev_u32_e32 v4, s10, v4
	v_mad_u64_u32 v[4:5], s[18:19], v4, 17, v[1:2]
	v_mov_b32_e32 v5, s15
	global_load_sbyte v9, v[2:3], off
	v_ashrrev_i32_e32 v10, 31, v4
	v_add_co_u32_e32 v4, vcc, s14, v4
	v_addc_co_u32_e32 v5, vcc, v5, v10, vcc
	global_load_sbyte v4, v[4:5], off
	v_add_co_u32_e32 v2, vcc, 0x121, v2
	v_addc_co_u32_e32 v3, vcc, 0, v3, vcc
	s_waitcnt vmcnt(0)
	v_mad_i32_i24 v6, v4, v9, v6
	s_branch .LBB192_13
.LBB192_16:
	v_lshlrev_b32_e32 v1, 2, v0
	s_and_b64 vcc, exec, s[12:13]
	ds_write_b32 v1, v6
	s_waitcnt lgkmcnt(0)
	s_barrier
	s_cbranch_vccz .LBB192_28
; %bb.17:
	v_cmp_eq_u16_e32 vcc, 0, v7
	s_and_saveexec_b64 s[0:1], vcc
	s_cbranch_execz .LBB192_19
; %bb.18:
	ds_read2_b32 v[2:3], v1 offset1:16
	s_waitcnt lgkmcnt(0)
	v_add_u32_e32 v2, v2, v3
	ds_write_b32 v1, v2
.LBB192_19:
	s_or_b64 exec, exec, s[0:1]
	v_cmp_gt_u16_e32 vcc, 8, v7
	s_waitcnt lgkmcnt(0)
	s_barrier
	s_and_saveexec_b64 s[0:1], vcc
	s_cbranch_execz .LBB192_21
; %bb.20:
	ds_read2_b32 v[2:3], v1 offset1:8
	s_waitcnt lgkmcnt(0)
	v_add_u32_e32 v2, v2, v3
	ds_write_b32 v1, v2
.LBB192_21:
	s_or_b64 exec, exec, s[0:1]
	v_cmp_gt_u16_e32 vcc, 4, v7
	s_waitcnt lgkmcnt(0)
	s_barrier
	;; [unrolled: 12-line block ×3, first 2 shown]
	s_and_saveexec_b64 s[0:1], vcc
	s_cbranch_execz .LBB192_25
; %bb.24:
	ds_read2_b32 v[2:3], v1 offset1:2
	s_waitcnt lgkmcnt(0)
	v_add_u32_e32 v2, v2, v3
	ds_write_b32 v1, v2
.LBB192_25:
	s_or_b64 exec, exec, s[0:1]
	v_cmp_gt_u32_e32 vcc, 17, v0
	v_mov_b32_e32 v2, v6
	s_waitcnt lgkmcnt(0)
	s_barrier
	s_and_saveexec_b64 s[0:1], vcc
	s_cbranch_execz .LBB192_27
; %bb.26:
	v_lshl_add_u32 v2, v0, 6, v1
	ds_read2_b32 v[2:3], v2 offset1:1
	s_waitcnt lgkmcnt(0)
	v_add_u32_e32 v2, v3, v2
.LBB192_27:
	s_or_b64 exec, exec, s[0:1]
	v_cmp_gt_u32_e64 s[0:1], 17, v0
	s_branch .LBB192_40
.LBB192_28:
                                        ; implicit-def: $vgpr2
	v_cmp_gt_u32_e64 s[0:1], 17, v0
	s_cbranch_execz .LBB192_40
; %bb.29:
	s_and_saveexec_b64 s[2:3], s[0:1]
	s_cbranch_execz .LBB192_31
; %bb.30:
	ds_read_b32 v2, v1 offset:1088
	ds_read_b32 v3, v1
	s_waitcnt lgkmcnt(0)
	v_add_u32_e32 v2, v3, v2
	ds_write_b32 v1, v2
.LBB192_31:
	s_or_b64 exec, exec, s[2:3]
	s_movk_i32 s2, 0x88
	v_cmp_gt_u32_e32 vcc, s2, v0
	s_waitcnt lgkmcnt(0)
	s_barrier
	s_and_saveexec_b64 s[2:3], vcc
	s_cbranch_execz .LBB192_33
; %bb.32:
	ds_read2_b32 v[2:3], v1 offset1:136
	s_waitcnt lgkmcnt(0)
	v_add_u32_e32 v2, v2, v3
	ds_write_b32 v1, v2
.LBB192_33:
	s_or_b64 exec, exec, s[2:3]
	s_movk_i32 s2, 0x44
	v_cmp_gt_u32_e32 vcc, s2, v0
	s_waitcnt lgkmcnt(0)
	s_barrier
	s_and_saveexec_b64 s[2:3], vcc
	s_cbranch_execz .LBB192_35
; %bb.34:
	ds_read2_b32 v[2:3], v1 offset1:68
	s_waitcnt lgkmcnt(0)
	v_add_u32_e32 v2, v2, v3
	ds_write_b32 v1, v2
.LBB192_35:
	s_or_b64 exec, exec, s[2:3]
	v_cmp_gt_u32_e32 vcc, 34, v0
	s_waitcnt lgkmcnt(0)
	s_barrier
	s_and_saveexec_b64 s[2:3], vcc
	s_cbranch_execz .LBB192_37
; %bb.36:
	ds_read2_b32 v[2:3], v1 offset1:34
	s_waitcnt lgkmcnt(0)
	v_add_u32_e32 v2, v2, v3
	ds_write_b32 v1, v2
.LBB192_37:
	s_or_b64 exec, exec, s[2:3]
	s_waitcnt lgkmcnt(0)
	s_and_saveexec_b64 s[2:3], s[0:1]
	s_cbranch_execz .LBB192_39
; %bb.38:
	ds_read2_b32 v[1:2], v1 offset1:17
	s_waitcnt lgkmcnt(0)
	v_add_u32_e32 v6, v2, v1
.LBB192_39:
	s_or_b64 exec, exec, s[2:3]
	v_mov_b32_e32 v2, v6
.LBB192_40:
	v_cmp_gt_u32_e32 vcc, 17, v0
	s_and_saveexec_b64 s[0:1], vcc
	s_cbranch_execz .LBB192_44
; %bb.41:
	v_mul_lo_u32 v1, v2, s11
	s_cmp_eq_u32 s16, 0
	s_cbranch_scc1 .LBB192_45
; %bb.42:
	v_mad_u64_u32 v[2:3], s[0:1], s6, 17, v[0:1]
	v_mov_b32_e32 v3, 0
	v_mov_b32_e32 v4, s9
	v_lshlrev_b64 v[2:3], 2, v[2:3]
	v_add_co_u32_e32 v2, vcc, s8, v2
	v_addc_co_u32_e32 v3, vcc, v4, v3, vcc
	global_load_dword v4, v[2:3], off
	s_waitcnt vmcnt(0)
	v_mad_u64_u32 v[4:5], s[0:1], v4, s16, v[1:2]
	global_store_dword v[2:3], v4, off
	s_cbranch_execnz .LBB192_44
.LBB192_43:
	v_mad_u64_u32 v[2:3], s[0:1], s6, 17, v[0:1]
	v_mov_b32_e32 v3, 0
	v_mov_b32_e32 v0, s9
	v_lshlrev_b64 v[2:3], 2, v[2:3]
	v_add_co_u32_e32 v2, vcc, s8, v2
	v_addc_co_u32_e32 v3, vcc, v0, v3, vcc
	global_store_dword v[2:3], v1, off
.LBB192_44:
	s_endpgm
.LBB192_45:
	s_branch .LBB192_43
	.section	.rodata,"a",@progbits
	.p2align	6, 0x0
	.amdhsa_kernel _ZN9rocsparseL20bsrxmvn_17_32_kernelILj17EiiiaaiEEvT2_20rocsparse_direction_NS_24const_host_device_scalarIT0_EES1_PKS1_PKT1_SA_S7_PKT3_PKT4_S5_PT5_21rocsparse_index_base_b
		.amdhsa_group_segment_fixed_size 1156
		.amdhsa_private_segment_fixed_size 0
		.amdhsa_kernarg_size 96
		.amdhsa_user_sgpr_count 6
		.amdhsa_user_sgpr_private_segment_buffer 1
		.amdhsa_user_sgpr_dispatch_ptr 0
		.amdhsa_user_sgpr_queue_ptr 0
		.amdhsa_user_sgpr_kernarg_segment_ptr 1
		.amdhsa_user_sgpr_dispatch_id 0
		.amdhsa_user_sgpr_flat_scratch_init 0
		.amdhsa_user_sgpr_private_segment_size 0
		.amdhsa_uses_dynamic_stack 0
		.amdhsa_system_sgpr_private_segment_wavefront_offset 0
		.amdhsa_system_sgpr_workgroup_id_x 1
		.amdhsa_system_sgpr_workgroup_id_y 0
		.amdhsa_system_sgpr_workgroup_id_z 0
		.amdhsa_system_sgpr_workgroup_info 0
		.amdhsa_system_vgpr_workitem_id 0
		.amdhsa_next_free_vgpr 11
		.amdhsa_next_free_sgpr 20
		.amdhsa_reserve_vcc 1
		.amdhsa_reserve_flat_scratch 0
		.amdhsa_float_round_mode_32 0
		.amdhsa_float_round_mode_16_64 0
		.amdhsa_float_denorm_mode_32 3
		.amdhsa_float_denorm_mode_16_64 3
		.amdhsa_dx10_clamp 1
		.amdhsa_ieee_mode 1
		.amdhsa_fp16_overflow 0
		.amdhsa_exception_fp_ieee_invalid_op 0
		.amdhsa_exception_fp_denorm_src 0
		.amdhsa_exception_fp_ieee_div_zero 0
		.amdhsa_exception_fp_ieee_overflow 0
		.amdhsa_exception_fp_ieee_underflow 0
		.amdhsa_exception_fp_ieee_inexact 0
		.amdhsa_exception_int_div_zero 0
	.end_amdhsa_kernel
	.section	.text._ZN9rocsparseL20bsrxmvn_17_32_kernelILj17EiiiaaiEEvT2_20rocsparse_direction_NS_24const_host_device_scalarIT0_EES1_PKS1_PKT1_SA_S7_PKT3_PKT4_S5_PT5_21rocsparse_index_base_b,"axG",@progbits,_ZN9rocsparseL20bsrxmvn_17_32_kernelILj17EiiiaaiEEvT2_20rocsparse_direction_NS_24const_host_device_scalarIT0_EES1_PKS1_PKT1_SA_S7_PKT3_PKT4_S5_PT5_21rocsparse_index_base_b,comdat
.Lfunc_end192:
	.size	_ZN9rocsparseL20bsrxmvn_17_32_kernelILj17EiiiaaiEEvT2_20rocsparse_direction_NS_24const_host_device_scalarIT0_EES1_PKS1_PKT1_SA_S7_PKT3_PKT4_S5_PT5_21rocsparse_index_base_b, .Lfunc_end192-_ZN9rocsparseL20bsrxmvn_17_32_kernelILj17EiiiaaiEEvT2_20rocsparse_direction_NS_24const_host_device_scalarIT0_EES1_PKS1_PKT1_SA_S7_PKT3_PKT4_S5_PT5_21rocsparse_index_base_b
                                        ; -- End function
	.set _ZN9rocsparseL20bsrxmvn_17_32_kernelILj17EiiiaaiEEvT2_20rocsparse_direction_NS_24const_host_device_scalarIT0_EES1_PKS1_PKT1_SA_S7_PKT3_PKT4_S5_PT5_21rocsparse_index_base_b.num_vgpr, 11
	.set _ZN9rocsparseL20bsrxmvn_17_32_kernelILj17EiiiaaiEEvT2_20rocsparse_direction_NS_24const_host_device_scalarIT0_EES1_PKS1_PKT1_SA_S7_PKT3_PKT4_S5_PT5_21rocsparse_index_base_b.num_agpr, 0
	.set _ZN9rocsparseL20bsrxmvn_17_32_kernelILj17EiiiaaiEEvT2_20rocsparse_direction_NS_24const_host_device_scalarIT0_EES1_PKS1_PKT1_SA_S7_PKT3_PKT4_S5_PT5_21rocsparse_index_base_b.numbered_sgpr, 20
	.set _ZN9rocsparseL20bsrxmvn_17_32_kernelILj17EiiiaaiEEvT2_20rocsparse_direction_NS_24const_host_device_scalarIT0_EES1_PKS1_PKT1_SA_S7_PKT3_PKT4_S5_PT5_21rocsparse_index_base_b.num_named_barrier, 0
	.set _ZN9rocsparseL20bsrxmvn_17_32_kernelILj17EiiiaaiEEvT2_20rocsparse_direction_NS_24const_host_device_scalarIT0_EES1_PKS1_PKT1_SA_S7_PKT3_PKT4_S5_PT5_21rocsparse_index_base_b.private_seg_size, 0
	.set _ZN9rocsparseL20bsrxmvn_17_32_kernelILj17EiiiaaiEEvT2_20rocsparse_direction_NS_24const_host_device_scalarIT0_EES1_PKS1_PKT1_SA_S7_PKT3_PKT4_S5_PT5_21rocsparse_index_base_b.uses_vcc, 1
	.set _ZN9rocsparseL20bsrxmvn_17_32_kernelILj17EiiiaaiEEvT2_20rocsparse_direction_NS_24const_host_device_scalarIT0_EES1_PKS1_PKT1_SA_S7_PKT3_PKT4_S5_PT5_21rocsparse_index_base_b.uses_flat_scratch, 0
	.set _ZN9rocsparseL20bsrxmvn_17_32_kernelILj17EiiiaaiEEvT2_20rocsparse_direction_NS_24const_host_device_scalarIT0_EES1_PKS1_PKT1_SA_S7_PKT3_PKT4_S5_PT5_21rocsparse_index_base_b.has_dyn_sized_stack, 0
	.set _ZN9rocsparseL20bsrxmvn_17_32_kernelILj17EiiiaaiEEvT2_20rocsparse_direction_NS_24const_host_device_scalarIT0_EES1_PKS1_PKT1_SA_S7_PKT3_PKT4_S5_PT5_21rocsparse_index_base_b.has_recursion, 0
	.set _ZN9rocsparseL20bsrxmvn_17_32_kernelILj17EiiiaaiEEvT2_20rocsparse_direction_NS_24const_host_device_scalarIT0_EES1_PKS1_PKT1_SA_S7_PKT3_PKT4_S5_PT5_21rocsparse_index_base_b.has_indirect_call, 0
	.section	.AMDGPU.csdata,"",@progbits
; Kernel info:
; codeLenInByte = 1288
; TotalNumSgprs: 24
; NumVgprs: 11
; ScratchSize: 0
; MemoryBound: 0
; FloatMode: 240
; IeeeMode: 1
; LDSByteSize: 1156 bytes/workgroup (compile time only)
; SGPRBlocks: 2
; VGPRBlocks: 2
; NumSGPRsForWavesPerEU: 24
; NumVGPRsForWavesPerEU: 11
; Occupancy: 10
; WaveLimiterHint : 1
; COMPUTE_PGM_RSRC2:SCRATCH_EN: 0
; COMPUTE_PGM_RSRC2:USER_SGPR: 6
; COMPUTE_PGM_RSRC2:TRAP_HANDLER: 0
; COMPUTE_PGM_RSRC2:TGID_X_EN: 1
; COMPUTE_PGM_RSRC2:TGID_Y_EN: 0
; COMPUTE_PGM_RSRC2:TGID_Z_EN: 0
; COMPUTE_PGM_RSRC2:TIDIG_COMP_CNT: 0
	.section	.text._ZN9rocsparseL20bsrxmvn_17_32_kernelILj18EiiiaaiEEvT2_20rocsparse_direction_NS_24const_host_device_scalarIT0_EES1_PKS1_PKT1_SA_S7_PKT3_PKT4_S5_PT5_21rocsparse_index_base_b,"axG",@progbits,_ZN9rocsparseL20bsrxmvn_17_32_kernelILj18EiiiaaiEEvT2_20rocsparse_direction_NS_24const_host_device_scalarIT0_EES1_PKS1_PKT1_SA_S7_PKT3_PKT4_S5_PT5_21rocsparse_index_base_b,comdat
	.globl	_ZN9rocsparseL20bsrxmvn_17_32_kernelILj18EiiiaaiEEvT2_20rocsparse_direction_NS_24const_host_device_scalarIT0_EES1_PKS1_PKT1_SA_S7_PKT3_PKT4_S5_PT5_21rocsparse_index_base_b ; -- Begin function _ZN9rocsparseL20bsrxmvn_17_32_kernelILj18EiiiaaiEEvT2_20rocsparse_direction_NS_24const_host_device_scalarIT0_EES1_PKS1_PKT1_SA_S7_PKT3_PKT4_S5_PT5_21rocsparse_index_base_b
	.p2align	8
	.type	_ZN9rocsparseL20bsrxmvn_17_32_kernelILj18EiiiaaiEEvT2_20rocsparse_direction_NS_24const_host_device_scalarIT0_EES1_PKS1_PKT1_SA_S7_PKT3_PKT4_S5_PT5_21rocsparse_index_base_b,@function
_ZN9rocsparseL20bsrxmvn_17_32_kernelILj18EiiiaaiEEvT2_20rocsparse_direction_NS_24const_host_device_scalarIT0_EES1_PKS1_PKT1_SA_S7_PKT3_PKT4_S5_PT5_21rocsparse_index_base_b: ; @_ZN9rocsparseL20bsrxmvn_17_32_kernelILj18EiiiaaiEEvT2_20rocsparse_direction_NS_24const_host_device_scalarIT0_EES1_PKS1_PKT1_SA_S7_PKT3_PKT4_S5_PT5_21rocsparse_index_base_b
; %bb.0:
	s_load_dwordx2 s[10:11], s[4:5], 0x58
	s_load_dwordx2 s[8:9], s[4:5], 0x8
	s_mov_b64 s[12:13], -1
	s_waitcnt lgkmcnt(0)
	s_bitcmp1_b32 s11, 0
	s_cselect_b64 s[0:1], -1, 0
	s_xor_b64 s[2:3], s[0:1], -1
	s_and_b64 vcc, exec, s[2:3]
                                        ; implicit-def: $sgpr11
	s_cbranch_vccnz .LBB193_4
; %bb.1:
	s_load_dwordx2 s[0:1], s[4:5], 0x48
	s_andn2_b64 vcc, exec, s[12:13]
	s_cbranch_vccz .LBB193_5
.LBB193_2:
	s_and_b64 vcc, exec, s[2:3]
	s_cbranch_vccz .LBB193_6
.LBB193_3:
	s_waitcnt lgkmcnt(0)
	s_load_dword s16, s[0:1], 0x0
	s_cbranch_execz .LBB193_7
	s_branch .LBB193_8
.LBB193_4:
	s_load_dword s11, s[8:9], 0x0
	s_load_dwordx2 s[0:1], s[4:5], 0x48
	s_cbranch_execnz .LBB193_2
.LBB193_5:
	s_waitcnt lgkmcnt(0)
	s_mov_b32 s11, s8
	s_and_b64 vcc, exec, s[2:3]
	s_cbranch_vccnz .LBB193_3
.LBB193_6:
                                        ; implicit-def: $sgpr16
.LBB193_7:
	s_waitcnt lgkmcnt(0)
	s_mov_b32 s16, s0
.LBB193_8:
	s_waitcnt lgkmcnt(0)
	s_cmp_lg_u32 s11, 0
	s_cselect_b64 s[0:1], -1, 0
	s_cmp_lg_u32 s16, 1
	s_cselect_b64 s[2:3], -1, 0
	s_or_b64 s[0:1], s[0:1], s[2:3]
	s_andn2_b64 vcc, exec, s[0:1]
	s_cbranch_vccnz .LBB193_44
; %bb.9:
	s_load_dwordx4 s[0:3], s[4:5], 0x18
	s_load_dwordx2 s[14:15], s[4:5], 0x28
	s_waitcnt lgkmcnt(0)
	s_cmp_eq_u64 s[0:1], 0
	s_cbranch_scc1 .LBB193_11
; %bb.10:
	s_ashr_i32 s7, s6, 31
	s_lshl_b64 s[6:7], s[6:7], 2
	s_add_u32 s0, s0, s6
	s_addc_u32 s1, s1, s7
	s_load_dword s0, s[0:1], 0x0
	s_waitcnt lgkmcnt(0)
	s_sub_i32 s6, s0, s10
.LBB193_11:
	s_load_dword s0, s[4:5], 0x4
	s_load_dwordx2 s[8:9], s[4:5], 0x50
	v_mul_u32_u24_e32 v1, 0xe39, v0
	v_mov_b32_e32 v2, 18
	v_mul_lo_u16_sdwa v3, v1, v2 dst_sel:DWORD dst_unused:UNUSED_PAD src0_sel:WORD_1 src1_sel:DWORD
	s_waitcnt lgkmcnt(0)
	s_cmp_eq_u32 s0, 1
	s_cselect_b64 vcc, -1, 0
	s_cmp_lg_u32 s0, 1
	s_cselect_b64 s[12:13], -1, 0
	s_ashr_i32 s7, s6, 31
	s_lshl_b64 s[0:1], s[6:7], 2
	s_add_u32 s2, s2, s0
	s_addc_u32 s3, s3, s1
	s_load_dword s7, s[2:3], 0x0
	s_add_u32 s2, s2, 4
	s_addc_u32 s3, s3, 0
	s_add_u32 s0, s14, s0
	s_addc_u32 s1, s15, s1
	s_cmp_eq_u64 s[14:15], 0
	s_cselect_b32 s1, s3, s1
	s_cselect_b32 s0, s2, s0
	s_load_dword s17, s[0:1], 0x0
	v_sub_u16_e32 v7, v0, v3
	v_mov_b32_e32 v6, 0
	s_waitcnt lgkmcnt(0)
	s_cmp_ge_i32 s7, s17
	s_cbranch_scc1 .LBB193_16
; %bb.12:
	s_load_dwordx4 s[0:3], s[4:5], 0x30
	s_load_dwordx2 s[14:15], s[4:5], 0x40
	v_mov_b32_e32 v3, 15
	v_mul_lo_u16_sdwa v3, v1, v3 dst_sel:DWORD dst_unused:UNUSED_PAD src0_sel:WORD_1 src1_sel:DWORD
	v_mul_lo_u16_sdwa v2, v3, v2 dst_sel:DWORD dst_unused:UNUSED_PAD src0_sel:BYTE_1 src1_sel:DWORD
	s_sub_i32 s5, s7, s10
	s_sub_i32 s4, s17, s10
	v_sub_u16_sdwa v1, v1, v2 dst_sel:DWORD dst_unused:UNUSED_PAD src0_sel:WORD_1 src1_sel:DWORD
	s_mul_i32 s17, s5, 0x144
	v_and_b32_e32 v1, 0xff, v1
	s_mul_hi_i32 s7, s5, 0x144
	s_waitcnt lgkmcnt(0)
	s_add_u32 s2, s2, s17
	v_cndmask_b32_e32 v1, v7, v1, vcc
	s_addc_u32 s3, s3, s7
	v_add_co_u32_e32 v2, vcc, s2, v0
	s_movk_i32 s2, 0x195
	v_mov_b32_e32 v3, s3
	v_mul_u32_u24_sdwa v4, v0, s2 dst_sel:DWORD dst_unused:UNUSED_PAD src0_sel:WORD_0 src1_sel:DWORD
	v_mov_b32_e32 v6, 0
	v_addc_co_u32_e32 v3, vcc, 0, v3, vcc
	v_lshrrev_b32_e32 v8, 17, v4
	s_branch .LBB193_14
.LBB193_13:                             ;   in Loop: Header=BB193_14 Depth=1
	s_or_b64 exec, exec, s[2:3]
	s_add_i32 s5, s5, 1
	s_cmp_lt_i32 s5, s4
	s_cbranch_scc0 .LBB193_16
.LBB193_14:                             ; =>This Inner Loop Header: Depth=1
	v_add_u32_e32 v4, s5, v8
	v_cmp_gt_i32_e32 vcc, s4, v4
	s_and_saveexec_b64 s[2:3], vcc
	s_cbranch_execz .LBB193_13
; %bb.15:                               ;   in Loop: Header=BB193_14 Depth=1
	v_ashrrev_i32_e32 v5, 31, v4
	v_lshlrev_b64 v[4:5], 2, v[4:5]
	v_mov_b32_e32 v9, s1
	v_add_co_u32_e32 v4, vcc, s0, v4
	v_addc_co_u32_e32 v5, vcc, v9, v5, vcc
	global_load_dword v4, v[4:5], off
	s_waitcnt vmcnt(0)
	v_subrev_u32_e32 v4, s10, v4
	v_mad_u64_u32 v[4:5], s[18:19], v4, 18, v[1:2]
	v_mov_b32_e32 v5, s15
	global_load_sbyte v9, v[2:3], off
	v_ashrrev_i32_e32 v10, 31, v4
	v_add_co_u32_e32 v4, vcc, s14, v4
	v_addc_co_u32_e32 v5, vcc, v5, v10, vcc
	global_load_sbyte v4, v[4:5], off
	v_add_co_u32_e32 v2, vcc, 0x144, v2
	v_addc_co_u32_e32 v3, vcc, 0, v3, vcc
	s_waitcnt vmcnt(0)
	v_mad_i32_i24 v6, v4, v9, v6
	s_branch .LBB193_13
.LBB193_16:
	v_lshlrev_b32_e32 v1, 2, v0
	s_and_b64 vcc, exec, s[12:13]
	ds_write_b32 v1, v6
	s_waitcnt lgkmcnt(0)
	s_barrier
	s_cbranch_vccz .LBB193_28
; %bb.17:
	v_cmp_gt_u16_e32 vcc, 2, v7
	s_and_saveexec_b64 s[0:1], vcc
	s_cbranch_execz .LBB193_19
; %bb.18:
	ds_read2_b32 v[2:3], v1 offset1:16
	s_waitcnt lgkmcnt(0)
	v_add_u32_e32 v2, v2, v3
	ds_write_b32 v1, v2
.LBB193_19:
	s_or_b64 exec, exec, s[0:1]
	v_cmp_gt_u16_e64 s[0:1], 8, v7
	s_waitcnt lgkmcnt(0)
	s_barrier
	s_and_saveexec_b64 s[2:3], s[0:1]
	s_cbranch_execz .LBB193_21
; %bb.20:
	ds_read2_b32 v[2:3], v1 offset1:8
	s_waitcnt lgkmcnt(0)
	v_add_u32_e32 v2, v2, v3
	ds_write_b32 v1, v2
.LBB193_21:
	s_or_b64 exec, exec, s[2:3]
	v_cmp_gt_u16_e64 s[0:1], 4, v7
	s_waitcnt lgkmcnt(0)
	s_barrier
	s_and_saveexec_b64 s[2:3], s[0:1]
	s_cbranch_execz .LBB193_23
; %bb.22:
	ds_read2_b32 v[2:3], v1 offset1:4
	s_waitcnt lgkmcnt(0)
	v_add_u32_e32 v2, v2, v3
	ds_write_b32 v1, v2
.LBB193_23:
	s_or_b64 exec, exec, s[2:3]
	s_waitcnt lgkmcnt(0)
	s_barrier
	s_and_saveexec_b64 s[0:1], vcc
	s_cbranch_execz .LBB193_25
; %bb.24:
	ds_read2_b32 v[2:3], v1 offset1:2
	s_waitcnt lgkmcnt(0)
	v_add_u32_e32 v2, v2, v3
	ds_write_b32 v1, v2
.LBB193_25:
	s_or_b64 exec, exec, s[0:1]
	v_cmp_gt_u32_e32 vcc, 18, v0
	v_mov_b32_e32 v2, v6
	s_waitcnt lgkmcnt(0)
	s_barrier
	s_and_saveexec_b64 s[0:1], vcc
	s_cbranch_execz .LBB193_27
; %bb.26:
	s_movk_i32 s2, 0x44
	v_mad_u32_u24 v2, v0, s2, v1
	ds_read_b64 v[2:3], v2
	s_waitcnt lgkmcnt(0)
	v_add_u32_e32 v2, v3, v2
.LBB193_27:
	s_or_b64 exec, exec, s[0:1]
	s_branch .LBB193_40
.LBB193_28:
                                        ; implicit-def: $vgpr2
	s_cbranch_execz .LBB193_40
; %bb.29:
	v_cmp_gt_u32_e32 vcc, 36, v0
	s_and_saveexec_b64 s[0:1], vcc
	s_cbranch_execz .LBB193_31
; %bb.30:
	ds_read_b32 v2, v1 offset:1152
	ds_read_b32 v3, v1
	s_waitcnt lgkmcnt(0)
	v_add_u32_e32 v2, v3, v2
	ds_write_b32 v1, v2
.LBB193_31:
	s_or_b64 exec, exec, s[0:1]
	s_movk_i32 s0, 0x90
	v_cmp_gt_u32_e64 s[0:1], s0, v0
	s_waitcnt lgkmcnt(0)
	s_barrier
	s_and_saveexec_b64 s[2:3], s[0:1]
	s_cbranch_execz .LBB193_33
; %bb.32:
	ds_read2_b32 v[2:3], v1 offset1:144
	s_waitcnt lgkmcnt(0)
	v_add_u32_e32 v2, v2, v3
	ds_write_b32 v1, v2
.LBB193_33:
	s_or_b64 exec, exec, s[2:3]
	s_movk_i32 s0, 0x48
	v_cmp_gt_u32_e64 s[0:1], s0, v0
	s_waitcnt lgkmcnt(0)
	s_barrier
	s_and_saveexec_b64 s[2:3], s[0:1]
	s_cbranch_execz .LBB193_35
; %bb.34:
	ds_read2_b32 v[2:3], v1 offset1:72
	s_waitcnt lgkmcnt(0)
	v_add_u32_e32 v2, v2, v3
	ds_write_b32 v1, v2
.LBB193_35:
	s_or_b64 exec, exec, s[2:3]
	s_waitcnt lgkmcnt(0)
	s_barrier
	s_and_saveexec_b64 s[0:1], vcc
	s_cbranch_execz .LBB193_37
; %bb.36:
	ds_read2_b32 v[2:3], v1 offset1:36
	s_waitcnt lgkmcnt(0)
	v_add_u32_e32 v2, v2, v3
	ds_write_b32 v1, v2
.LBB193_37:
	s_or_b64 exec, exec, s[0:1]
	v_cmp_gt_u32_e32 vcc, 18, v0
	s_waitcnt lgkmcnt(0)
	s_and_saveexec_b64 s[0:1], vcc
	s_cbranch_execz .LBB193_39
; %bb.38:
	ds_read2_b32 v[1:2], v1 offset1:18
	s_waitcnt lgkmcnt(0)
	v_add_u32_e32 v6, v2, v1
.LBB193_39:
	s_or_b64 exec, exec, s[0:1]
	v_mov_b32_e32 v2, v6
.LBB193_40:
	v_cmp_gt_u32_e32 vcc, 18, v0
	s_and_saveexec_b64 s[0:1], vcc
	s_cbranch_execz .LBB193_44
; %bb.41:
	v_mul_lo_u32 v1, v2, s11
	s_cmp_eq_u32 s16, 0
	s_cbranch_scc1 .LBB193_45
; %bb.42:
	v_mad_u64_u32 v[2:3], s[0:1], s6, 18, v[0:1]
	v_mov_b32_e32 v3, 0
	v_mov_b32_e32 v4, s9
	v_lshlrev_b64 v[2:3], 2, v[2:3]
	v_add_co_u32_e32 v2, vcc, s8, v2
	v_addc_co_u32_e32 v3, vcc, v4, v3, vcc
	global_load_dword v4, v[2:3], off
	s_waitcnt vmcnt(0)
	v_mad_u64_u32 v[4:5], s[0:1], v4, s16, v[1:2]
	global_store_dword v[2:3], v4, off
	s_cbranch_execnz .LBB193_44
.LBB193_43:
	v_mad_u64_u32 v[2:3], s[0:1], s6, 18, v[0:1]
	v_mov_b32_e32 v3, 0
	v_mov_b32_e32 v0, s9
	v_lshlrev_b64 v[2:3], 2, v[2:3]
	v_add_co_u32_e32 v2, vcc, s8, v2
	v_addc_co_u32_e32 v3, vcc, v0, v3, vcc
	global_store_dword v[2:3], v1, off
.LBB193_44:
	s_endpgm
.LBB193_45:
	s_branch .LBB193_43
	.section	.rodata,"a",@progbits
	.p2align	6, 0x0
	.amdhsa_kernel _ZN9rocsparseL20bsrxmvn_17_32_kernelILj18EiiiaaiEEvT2_20rocsparse_direction_NS_24const_host_device_scalarIT0_EES1_PKS1_PKT1_SA_S7_PKT3_PKT4_S5_PT5_21rocsparse_index_base_b
		.amdhsa_group_segment_fixed_size 1296
		.amdhsa_private_segment_fixed_size 0
		.amdhsa_kernarg_size 96
		.amdhsa_user_sgpr_count 6
		.amdhsa_user_sgpr_private_segment_buffer 1
		.amdhsa_user_sgpr_dispatch_ptr 0
		.amdhsa_user_sgpr_queue_ptr 0
		.amdhsa_user_sgpr_kernarg_segment_ptr 1
		.amdhsa_user_sgpr_dispatch_id 0
		.amdhsa_user_sgpr_flat_scratch_init 0
		.amdhsa_user_sgpr_private_segment_size 0
		.amdhsa_uses_dynamic_stack 0
		.amdhsa_system_sgpr_private_segment_wavefront_offset 0
		.amdhsa_system_sgpr_workgroup_id_x 1
		.amdhsa_system_sgpr_workgroup_id_y 0
		.amdhsa_system_sgpr_workgroup_id_z 0
		.amdhsa_system_sgpr_workgroup_info 0
		.amdhsa_system_vgpr_workitem_id 0
		.amdhsa_next_free_vgpr 11
		.amdhsa_next_free_sgpr 20
		.amdhsa_reserve_vcc 1
		.amdhsa_reserve_flat_scratch 0
		.amdhsa_float_round_mode_32 0
		.amdhsa_float_round_mode_16_64 0
		.amdhsa_float_denorm_mode_32 3
		.amdhsa_float_denorm_mode_16_64 3
		.amdhsa_dx10_clamp 1
		.amdhsa_ieee_mode 1
		.amdhsa_fp16_overflow 0
		.amdhsa_exception_fp_ieee_invalid_op 0
		.amdhsa_exception_fp_denorm_src 0
		.amdhsa_exception_fp_ieee_div_zero 0
		.amdhsa_exception_fp_ieee_overflow 0
		.amdhsa_exception_fp_ieee_underflow 0
		.amdhsa_exception_fp_ieee_inexact 0
		.amdhsa_exception_int_div_zero 0
	.end_amdhsa_kernel
	.section	.text._ZN9rocsparseL20bsrxmvn_17_32_kernelILj18EiiiaaiEEvT2_20rocsparse_direction_NS_24const_host_device_scalarIT0_EES1_PKS1_PKT1_SA_S7_PKT3_PKT4_S5_PT5_21rocsparse_index_base_b,"axG",@progbits,_ZN9rocsparseL20bsrxmvn_17_32_kernelILj18EiiiaaiEEvT2_20rocsparse_direction_NS_24const_host_device_scalarIT0_EES1_PKS1_PKT1_SA_S7_PKT3_PKT4_S5_PT5_21rocsparse_index_base_b,comdat
.Lfunc_end193:
	.size	_ZN9rocsparseL20bsrxmvn_17_32_kernelILj18EiiiaaiEEvT2_20rocsparse_direction_NS_24const_host_device_scalarIT0_EES1_PKS1_PKT1_SA_S7_PKT3_PKT4_S5_PT5_21rocsparse_index_base_b, .Lfunc_end193-_ZN9rocsparseL20bsrxmvn_17_32_kernelILj18EiiiaaiEEvT2_20rocsparse_direction_NS_24const_host_device_scalarIT0_EES1_PKS1_PKT1_SA_S7_PKT3_PKT4_S5_PT5_21rocsparse_index_base_b
                                        ; -- End function
	.set _ZN9rocsparseL20bsrxmvn_17_32_kernelILj18EiiiaaiEEvT2_20rocsparse_direction_NS_24const_host_device_scalarIT0_EES1_PKS1_PKT1_SA_S7_PKT3_PKT4_S5_PT5_21rocsparse_index_base_b.num_vgpr, 11
	.set _ZN9rocsparseL20bsrxmvn_17_32_kernelILj18EiiiaaiEEvT2_20rocsparse_direction_NS_24const_host_device_scalarIT0_EES1_PKS1_PKT1_SA_S7_PKT3_PKT4_S5_PT5_21rocsparse_index_base_b.num_agpr, 0
	.set _ZN9rocsparseL20bsrxmvn_17_32_kernelILj18EiiiaaiEEvT2_20rocsparse_direction_NS_24const_host_device_scalarIT0_EES1_PKS1_PKT1_SA_S7_PKT3_PKT4_S5_PT5_21rocsparse_index_base_b.numbered_sgpr, 20
	.set _ZN9rocsparseL20bsrxmvn_17_32_kernelILj18EiiiaaiEEvT2_20rocsparse_direction_NS_24const_host_device_scalarIT0_EES1_PKS1_PKT1_SA_S7_PKT3_PKT4_S5_PT5_21rocsparse_index_base_b.num_named_barrier, 0
	.set _ZN9rocsparseL20bsrxmvn_17_32_kernelILj18EiiiaaiEEvT2_20rocsparse_direction_NS_24const_host_device_scalarIT0_EES1_PKS1_PKT1_SA_S7_PKT3_PKT4_S5_PT5_21rocsparse_index_base_b.private_seg_size, 0
	.set _ZN9rocsparseL20bsrxmvn_17_32_kernelILj18EiiiaaiEEvT2_20rocsparse_direction_NS_24const_host_device_scalarIT0_EES1_PKS1_PKT1_SA_S7_PKT3_PKT4_S5_PT5_21rocsparse_index_base_b.uses_vcc, 1
	.set _ZN9rocsparseL20bsrxmvn_17_32_kernelILj18EiiiaaiEEvT2_20rocsparse_direction_NS_24const_host_device_scalarIT0_EES1_PKS1_PKT1_SA_S7_PKT3_PKT4_S5_PT5_21rocsparse_index_base_b.uses_flat_scratch, 0
	.set _ZN9rocsparseL20bsrxmvn_17_32_kernelILj18EiiiaaiEEvT2_20rocsparse_direction_NS_24const_host_device_scalarIT0_EES1_PKS1_PKT1_SA_S7_PKT3_PKT4_S5_PT5_21rocsparse_index_base_b.has_dyn_sized_stack, 0
	.set _ZN9rocsparseL20bsrxmvn_17_32_kernelILj18EiiiaaiEEvT2_20rocsparse_direction_NS_24const_host_device_scalarIT0_EES1_PKS1_PKT1_SA_S7_PKT3_PKT4_S5_PT5_21rocsparse_index_base_b.has_recursion, 0
	.set _ZN9rocsparseL20bsrxmvn_17_32_kernelILj18EiiiaaiEEvT2_20rocsparse_direction_NS_24const_host_device_scalarIT0_EES1_PKS1_PKT1_SA_S7_PKT3_PKT4_S5_PT5_21rocsparse_index_base_b.has_indirect_call, 0
	.section	.AMDGPU.csdata,"",@progbits
; Kernel info:
; codeLenInByte = 1292
; TotalNumSgprs: 24
; NumVgprs: 11
; ScratchSize: 0
; MemoryBound: 0
; FloatMode: 240
; IeeeMode: 1
; LDSByteSize: 1296 bytes/workgroup (compile time only)
; SGPRBlocks: 2
; VGPRBlocks: 2
; NumSGPRsForWavesPerEU: 24
; NumVGPRsForWavesPerEU: 11
; Occupancy: 10
; WaveLimiterHint : 1
; COMPUTE_PGM_RSRC2:SCRATCH_EN: 0
; COMPUTE_PGM_RSRC2:USER_SGPR: 6
; COMPUTE_PGM_RSRC2:TRAP_HANDLER: 0
; COMPUTE_PGM_RSRC2:TGID_X_EN: 1
; COMPUTE_PGM_RSRC2:TGID_Y_EN: 0
; COMPUTE_PGM_RSRC2:TGID_Z_EN: 0
; COMPUTE_PGM_RSRC2:TIDIG_COMP_CNT: 0
	.section	.text._ZN9rocsparseL20bsrxmvn_17_32_kernelILj19EiiiaaiEEvT2_20rocsparse_direction_NS_24const_host_device_scalarIT0_EES1_PKS1_PKT1_SA_S7_PKT3_PKT4_S5_PT5_21rocsparse_index_base_b,"axG",@progbits,_ZN9rocsparseL20bsrxmvn_17_32_kernelILj19EiiiaaiEEvT2_20rocsparse_direction_NS_24const_host_device_scalarIT0_EES1_PKS1_PKT1_SA_S7_PKT3_PKT4_S5_PT5_21rocsparse_index_base_b,comdat
	.globl	_ZN9rocsparseL20bsrxmvn_17_32_kernelILj19EiiiaaiEEvT2_20rocsparse_direction_NS_24const_host_device_scalarIT0_EES1_PKS1_PKT1_SA_S7_PKT3_PKT4_S5_PT5_21rocsparse_index_base_b ; -- Begin function _ZN9rocsparseL20bsrxmvn_17_32_kernelILj19EiiiaaiEEvT2_20rocsparse_direction_NS_24const_host_device_scalarIT0_EES1_PKS1_PKT1_SA_S7_PKT3_PKT4_S5_PT5_21rocsparse_index_base_b
	.p2align	8
	.type	_ZN9rocsparseL20bsrxmvn_17_32_kernelILj19EiiiaaiEEvT2_20rocsparse_direction_NS_24const_host_device_scalarIT0_EES1_PKS1_PKT1_SA_S7_PKT3_PKT4_S5_PT5_21rocsparse_index_base_b,@function
_ZN9rocsparseL20bsrxmvn_17_32_kernelILj19EiiiaaiEEvT2_20rocsparse_direction_NS_24const_host_device_scalarIT0_EES1_PKS1_PKT1_SA_S7_PKT3_PKT4_S5_PT5_21rocsparse_index_base_b: ; @_ZN9rocsparseL20bsrxmvn_17_32_kernelILj19EiiiaaiEEvT2_20rocsparse_direction_NS_24const_host_device_scalarIT0_EES1_PKS1_PKT1_SA_S7_PKT3_PKT4_S5_PT5_21rocsparse_index_base_b
; %bb.0:
	s_load_dwordx2 s[10:11], s[4:5], 0x58
	s_load_dwordx2 s[8:9], s[4:5], 0x8
	s_mov_b64 s[12:13], -1
	s_waitcnt lgkmcnt(0)
	s_bitcmp1_b32 s11, 0
	s_cselect_b64 s[0:1], -1, 0
	s_xor_b64 s[2:3], s[0:1], -1
	s_and_b64 vcc, exec, s[2:3]
                                        ; implicit-def: $sgpr11
	s_cbranch_vccnz .LBB194_4
; %bb.1:
	s_load_dwordx2 s[0:1], s[4:5], 0x48
	s_andn2_b64 vcc, exec, s[12:13]
	s_cbranch_vccz .LBB194_5
.LBB194_2:
	s_and_b64 vcc, exec, s[2:3]
	s_cbranch_vccz .LBB194_6
.LBB194_3:
	s_waitcnt lgkmcnt(0)
	s_load_dword s16, s[0:1], 0x0
	s_cbranch_execz .LBB194_7
	s_branch .LBB194_8
.LBB194_4:
	s_load_dword s11, s[8:9], 0x0
	s_load_dwordx2 s[0:1], s[4:5], 0x48
	s_cbranch_execnz .LBB194_2
.LBB194_5:
	s_waitcnt lgkmcnt(0)
	s_mov_b32 s11, s8
	s_and_b64 vcc, exec, s[2:3]
	s_cbranch_vccnz .LBB194_3
.LBB194_6:
                                        ; implicit-def: $sgpr16
.LBB194_7:
	s_waitcnt lgkmcnt(0)
	s_mov_b32 s16, s0
.LBB194_8:
	s_waitcnt lgkmcnt(0)
	s_cmp_lg_u32 s11, 0
	s_cselect_b64 s[0:1], -1, 0
	s_cmp_lg_u32 s16, 1
	s_cselect_b64 s[2:3], -1, 0
	s_or_b64 s[0:1], s[0:1], s[2:3]
	s_andn2_b64 vcc, exec, s[0:1]
	s_cbranch_vccnz .LBB194_44
; %bb.9:
	s_load_dwordx4 s[0:3], s[4:5], 0x18
	s_load_dwordx2 s[14:15], s[4:5], 0x28
	s_waitcnt lgkmcnt(0)
	s_cmp_eq_u64 s[0:1], 0
	s_cbranch_scc1 .LBB194_11
; %bb.10:
	s_ashr_i32 s7, s6, 31
	s_lshl_b64 s[6:7], s[6:7], 2
	s_add_u32 s0, s0, s6
	s_addc_u32 s1, s1, s7
	s_load_dword s0, s[0:1], 0x0
	s_waitcnt lgkmcnt(0)
	s_sub_i32 s6, s0, s10
.LBB194_11:
	s_load_dword s0, s[4:5], 0x4
	s_load_dwordx2 s[8:9], s[4:5], 0x50
	v_mul_u32_u24_e32 v1, 0xd7a, v0
	v_mov_b32_e32 v2, 19
	v_mul_lo_u16_sdwa v3, v1, v2 dst_sel:DWORD dst_unused:UNUSED_PAD src0_sel:WORD_1 src1_sel:DWORD
	s_waitcnt lgkmcnt(0)
	s_cmp_eq_u32 s0, 1
	s_cselect_b64 vcc, -1, 0
	s_cmp_lg_u32 s0, 1
	s_cselect_b64 s[12:13], -1, 0
	s_ashr_i32 s7, s6, 31
	s_lshl_b64 s[0:1], s[6:7], 2
	s_add_u32 s2, s2, s0
	s_addc_u32 s3, s3, s1
	s_load_dword s7, s[2:3], 0x0
	s_add_u32 s2, s2, 4
	s_addc_u32 s3, s3, 0
	s_add_u32 s0, s14, s0
	s_addc_u32 s1, s15, s1
	s_cmp_eq_u64 s[14:15], 0
	s_cselect_b32 s1, s3, s1
	s_cselect_b32 s0, s2, s0
	s_load_dword s17, s[0:1], 0x0
	v_sub_u16_e32 v7, v0, v3
	v_mov_b32_e32 v6, 0
	s_waitcnt lgkmcnt(0)
	s_cmp_ge_i32 s7, s17
	s_cbranch_scc1 .LBB194_16
; %bb.12:
	s_load_dwordx4 s[0:3], s[4:5], 0x30
	s_load_dwordx2 s[14:15], s[4:5], 0x40
	v_mov_b32_e32 v3, 14
	v_mul_lo_u16_sdwa v3, v1, v3 dst_sel:DWORD dst_unused:UNUSED_PAD src0_sel:WORD_1 src1_sel:DWORD
	s_sub_i32 s5, s7, s10
	s_sub_i32 s4, s17, s10
	v_mul_lo_u16_sdwa v2, v3, v2 dst_sel:DWORD dst_unused:UNUSED_PAD src0_sel:BYTE_1 src1_sel:DWORD
	s_mul_i32 s17, s5, 0x169
	v_sub_u16_sdwa v1, v1, v2 dst_sel:DWORD dst_unused:UNUSED_PAD src0_sel:WORD_1 src1_sel:DWORD
	s_mul_hi_i32 s7, s5, 0x169
	s_waitcnt lgkmcnt(0)
	s_add_u32 s2, s2, s17
	v_and_b32_e32 v1, 0xff, v1
	s_addc_u32 s3, s3, s7
	v_cndmask_b32_e32 v1, v7, v1, vcc
	v_mov_b32_e32 v3, s3
	v_add_co_u32_e32 v2, vcc, s2, v0
	s_movk_i32 s2, 0xb6
	v_mov_b32_e32 v6, 0
	v_addc_co_u32_e32 v3, vcc, 0, v3, vcc
	v_mul_u32_u24_sdwa v8, v0, s2 dst_sel:DWORD dst_unused:UNUSED_PAD src0_sel:WORD_0 src1_sel:DWORD
	s_branch .LBB194_14
.LBB194_13:                             ;   in Loop: Header=BB194_14 Depth=1
	s_or_b64 exec, exec, s[2:3]
	s_add_i32 s5, s5, 1
	s_cmp_lt_i32 s5, s4
	s_cbranch_scc0 .LBB194_16
.LBB194_14:                             ; =>This Inner Loop Header: Depth=1
	v_add_u32_sdwa v4, v8, s5 dst_sel:DWORD dst_unused:UNUSED_PAD src0_sel:WORD_1 src1_sel:DWORD
	v_cmp_gt_i32_e32 vcc, s4, v4
	s_and_saveexec_b64 s[2:3], vcc
	s_cbranch_execz .LBB194_13
; %bb.15:                               ;   in Loop: Header=BB194_14 Depth=1
	v_ashrrev_i32_e32 v5, 31, v4
	v_lshlrev_b64 v[4:5], 2, v[4:5]
	v_mov_b32_e32 v9, s1
	v_add_co_u32_e32 v4, vcc, s0, v4
	v_addc_co_u32_e32 v5, vcc, v9, v5, vcc
	global_load_dword v4, v[4:5], off
	s_waitcnt vmcnt(0)
	v_subrev_u32_e32 v4, s10, v4
	v_mad_u64_u32 v[4:5], s[18:19], v4, 19, v[1:2]
	v_mov_b32_e32 v5, s15
	global_load_sbyte v9, v[2:3], off
	v_ashrrev_i32_e32 v10, 31, v4
	v_add_co_u32_e32 v4, vcc, s14, v4
	v_addc_co_u32_e32 v5, vcc, v5, v10, vcc
	global_load_sbyte v4, v[4:5], off
	v_add_co_u32_e32 v2, vcc, 0x169, v2
	v_addc_co_u32_e32 v3, vcc, 0, v3, vcc
	s_waitcnt vmcnt(0)
	v_mad_i32_i24 v6, v4, v9, v6
	s_branch .LBB194_13
.LBB194_16:
	v_lshlrev_b32_e32 v1, 2, v0
	s_and_b64 vcc, exec, s[12:13]
	ds_write_b32 v1, v6
	s_waitcnt lgkmcnt(0)
	s_barrier
	s_cbranch_vccz .LBB194_28
; %bb.17:
	v_cmp_gt_u16_e32 vcc, 3, v7
	s_and_saveexec_b64 s[0:1], vcc
	s_cbranch_execz .LBB194_19
; %bb.18:
	ds_read2_b32 v[2:3], v1 offset1:16
	s_waitcnt lgkmcnt(0)
	v_add_u32_e32 v2, v2, v3
	ds_write_b32 v1, v2
.LBB194_19:
	s_or_b64 exec, exec, s[0:1]
	v_cmp_gt_u16_e32 vcc, 8, v7
	s_waitcnt lgkmcnt(0)
	s_barrier
	s_and_saveexec_b64 s[0:1], vcc
	s_cbranch_execz .LBB194_21
; %bb.20:
	ds_read2_b32 v[2:3], v1 offset1:8
	s_waitcnt lgkmcnt(0)
	v_add_u32_e32 v2, v2, v3
	ds_write_b32 v1, v2
.LBB194_21:
	s_or_b64 exec, exec, s[0:1]
	v_cmp_gt_u16_e32 vcc, 4, v7
	s_waitcnt lgkmcnt(0)
	s_barrier
	;; [unrolled: 12-line block ×3, first 2 shown]
	s_and_saveexec_b64 s[0:1], vcc
	s_cbranch_execz .LBB194_25
; %bb.24:
	ds_read2_b32 v[2:3], v1 offset1:2
	s_waitcnt lgkmcnt(0)
	v_add_u32_e32 v2, v2, v3
	ds_write_b32 v1, v2
.LBB194_25:
	s_or_b64 exec, exec, s[0:1]
	v_cmp_gt_u32_e32 vcc, 19, v0
	v_mov_b32_e32 v2, v6
	s_waitcnt lgkmcnt(0)
	s_barrier
	s_and_saveexec_b64 s[0:1], vcc
	s_cbranch_execz .LBB194_27
; %bb.26:
	s_movk_i32 s2, 0x48
	v_mad_u32_u24 v2, v0, s2, v1
	ds_read2_b32 v[2:3], v2 offset1:1
	s_waitcnt lgkmcnt(0)
	v_add_u32_e32 v2, v3, v2
.LBB194_27:
	s_or_b64 exec, exec, s[0:1]
	s_branch .LBB194_40
.LBB194_28:
                                        ; implicit-def: $vgpr2
	s_cbranch_execz .LBB194_40
; %bb.29:
	v_cmp_gt_u32_e32 vcc, 57, v0
	s_and_saveexec_b64 s[0:1], vcc
	s_cbranch_execz .LBB194_31
; %bb.30:
	ds_read_b32 v2, v1 offset:1216
	ds_read_b32 v3, v1
	s_waitcnt lgkmcnt(0)
	v_add_u32_e32 v2, v3, v2
	ds_write_b32 v1, v2
.LBB194_31:
	s_or_b64 exec, exec, s[0:1]
	s_movk_i32 s0, 0x98
	v_cmp_gt_u32_e32 vcc, s0, v0
	s_waitcnt lgkmcnt(0)
	s_barrier
	s_and_saveexec_b64 s[0:1], vcc
	s_cbranch_execz .LBB194_33
; %bb.32:
	ds_read2_b32 v[2:3], v1 offset1:152
	s_waitcnt lgkmcnt(0)
	v_add_u32_e32 v2, v2, v3
	ds_write_b32 v1, v2
.LBB194_33:
	s_or_b64 exec, exec, s[0:1]
	s_movk_i32 s0, 0x4c
	v_cmp_gt_u32_e32 vcc, s0, v0
	s_waitcnt lgkmcnt(0)
	s_barrier
	s_and_saveexec_b64 s[0:1], vcc
	s_cbranch_execz .LBB194_35
; %bb.34:
	ds_read2_b32 v[2:3], v1 offset1:76
	s_waitcnt lgkmcnt(0)
	v_add_u32_e32 v2, v2, v3
	ds_write_b32 v1, v2
.LBB194_35:
	s_or_b64 exec, exec, s[0:1]
	v_cmp_gt_u32_e32 vcc, 38, v0
	s_waitcnt lgkmcnt(0)
	s_barrier
	s_and_saveexec_b64 s[0:1], vcc
	s_cbranch_execz .LBB194_37
; %bb.36:
	ds_read2_b32 v[2:3], v1 offset1:38
	s_waitcnt lgkmcnt(0)
	v_add_u32_e32 v2, v2, v3
	ds_write_b32 v1, v2
.LBB194_37:
	s_or_b64 exec, exec, s[0:1]
	v_cmp_gt_u32_e32 vcc, 19, v0
	s_waitcnt lgkmcnt(0)
	s_and_saveexec_b64 s[0:1], vcc
	s_cbranch_execz .LBB194_39
; %bb.38:
	ds_read2_b32 v[1:2], v1 offset1:19
	s_waitcnt lgkmcnt(0)
	v_add_u32_e32 v6, v2, v1
.LBB194_39:
	s_or_b64 exec, exec, s[0:1]
	v_mov_b32_e32 v2, v6
.LBB194_40:
	v_cmp_gt_u32_e32 vcc, 19, v0
	s_and_saveexec_b64 s[0:1], vcc
	s_cbranch_execz .LBB194_44
; %bb.41:
	v_mul_lo_u32 v1, v2, s11
	s_cmp_eq_u32 s16, 0
	s_cbranch_scc1 .LBB194_45
; %bb.42:
	v_mad_u64_u32 v[2:3], s[0:1], s6, 19, v[0:1]
	v_mov_b32_e32 v3, 0
	v_mov_b32_e32 v4, s9
	v_lshlrev_b64 v[2:3], 2, v[2:3]
	v_add_co_u32_e32 v2, vcc, s8, v2
	v_addc_co_u32_e32 v3, vcc, v4, v3, vcc
	global_load_dword v4, v[2:3], off
	s_waitcnt vmcnt(0)
	v_mad_u64_u32 v[4:5], s[0:1], v4, s16, v[1:2]
	global_store_dword v[2:3], v4, off
	s_cbranch_execnz .LBB194_44
.LBB194_43:
	v_mad_u64_u32 v[2:3], s[0:1], s6, 19, v[0:1]
	v_mov_b32_e32 v3, 0
	v_mov_b32_e32 v0, s9
	v_lshlrev_b64 v[2:3], 2, v[2:3]
	v_add_co_u32_e32 v2, vcc, s8, v2
	v_addc_co_u32_e32 v3, vcc, v0, v3, vcc
	global_store_dword v[2:3], v1, off
.LBB194_44:
	s_endpgm
.LBB194_45:
	s_branch .LBB194_43
	.section	.rodata,"a",@progbits
	.p2align	6, 0x0
	.amdhsa_kernel _ZN9rocsparseL20bsrxmvn_17_32_kernelILj19EiiiaaiEEvT2_20rocsparse_direction_NS_24const_host_device_scalarIT0_EES1_PKS1_PKT1_SA_S7_PKT3_PKT4_S5_PT5_21rocsparse_index_base_b
		.amdhsa_group_segment_fixed_size 1444
		.amdhsa_private_segment_fixed_size 0
		.amdhsa_kernarg_size 96
		.amdhsa_user_sgpr_count 6
		.amdhsa_user_sgpr_private_segment_buffer 1
		.amdhsa_user_sgpr_dispatch_ptr 0
		.amdhsa_user_sgpr_queue_ptr 0
		.amdhsa_user_sgpr_kernarg_segment_ptr 1
		.amdhsa_user_sgpr_dispatch_id 0
		.amdhsa_user_sgpr_flat_scratch_init 0
		.amdhsa_user_sgpr_private_segment_size 0
		.amdhsa_uses_dynamic_stack 0
		.amdhsa_system_sgpr_private_segment_wavefront_offset 0
		.amdhsa_system_sgpr_workgroup_id_x 1
		.amdhsa_system_sgpr_workgroup_id_y 0
		.amdhsa_system_sgpr_workgroup_id_z 0
		.amdhsa_system_sgpr_workgroup_info 0
		.amdhsa_system_vgpr_workitem_id 0
		.amdhsa_next_free_vgpr 11
		.amdhsa_next_free_sgpr 20
		.amdhsa_reserve_vcc 1
		.amdhsa_reserve_flat_scratch 0
		.amdhsa_float_round_mode_32 0
		.amdhsa_float_round_mode_16_64 0
		.amdhsa_float_denorm_mode_32 3
		.amdhsa_float_denorm_mode_16_64 3
		.amdhsa_dx10_clamp 1
		.amdhsa_ieee_mode 1
		.amdhsa_fp16_overflow 0
		.amdhsa_exception_fp_ieee_invalid_op 0
		.amdhsa_exception_fp_denorm_src 0
		.amdhsa_exception_fp_ieee_div_zero 0
		.amdhsa_exception_fp_ieee_overflow 0
		.amdhsa_exception_fp_ieee_underflow 0
		.amdhsa_exception_fp_ieee_inexact 0
		.amdhsa_exception_int_div_zero 0
	.end_amdhsa_kernel
	.section	.text._ZN9rocsparseL20bsrxmvn_17_32_kernelILj19EiiiaaiEEvT2_20rocsparse_direction_NS_24const_host_device_scalarIT0_EES1_PKS1_PKT1_SA_S7_PKT3_PKT4_S5_PT5_21rocsparse_index_base_b,"axG",@progbits,_ZN9rocsparseL20bsrxmvn_17_32_kernelILj19EiiiaaiEEvT2_20rocsparse_direction_NS_24const_host_device_scalarIT0_EES1_PKS1_PKT1_SA_S7_PKT3_PKT4_S5_PT5_21rocsparse_index_base_b,comdat
.Lfunc_end194:
	.size	_ZN9rocsparseL20bsrxmvn_17_32_kernelILj19EiiiaaiEEvT2_20rocsparse_direction_NS_24const_host_device_scalarIT0_EES1_PKS1_PKT1_SA_S7_PKT3_PKT4_S5_PT5_21rocsparse_index_base_b, .Lfunc_end194-_ZN9rocsparseL20bsrxmvn_17_32_kernelILj19EiiiaaiEEvT2_20rocsparse_direction_NS_24const_host_device_scalarIT0_EES1_PKS1_PKT1_SA_S7_PKT3_PKT4_S5_PT5_21rocsparse_index_base_b
                                        ; -- End function
	.set _ZN9rocsparseL20bsrxmvn_17_32_kernelILj19EiiiaaiEEvT2_20rocsparse_direction_NS_24const_host_device_scalarIT0_EES1_PKS1_PKT1_SA_S7_PKT3_PKT4_S5_PT5_21rocsparse_index_base_b.num_vgpr, 11
	.set _ZN9rocsparseL20bsrxmvn_17_32_kernelILj19EiiiaaiEEvT2_20rocsparse_direction_NS_24const_host_device_scalarIT0_EES1_PKS1_PKT1_SA_S7_PKT3_PKT4_S5_PT5_21rocsparse_index_base_b.num_agpr, 0
	.set _ZN9rocsparseL20bsrxmvn_17_32_kernelILj19EiiiaaiEEvT2_20rocsparse_direction_NS_24const_host_device_scalarIT0_EES1_PKS1_PKT1_SA_S7_PKT3_PKT4_S5_PT5_21rocsparse_index_base_b.numbered_sgpr, 20
	.set _ZN9rocsparseL20bsrxmvn_17_32_kernelILj19EiiiaaiEEvT2_20rocsparse_direction_NS_24const_host_device_scalarIT0_EES1_PKS1_PKT1_SA_S7_PKT3_PKT4_S5_PT5_21rocsparse_index_base_b.num_named_barrier, 0
	.set _ZN9rocsparseL20bsrxmvn_17_32_kernelILj19EiiiaaiEEvT2_20rocsparse_direction_NS_24const_host_device_scalarIT0_EES1_PKS1_PKT1_SA_S7_PKT3_PKT4_S5_PT5_21rocsparse_index_base_b.private_seg_size, 0
	.set _ZN9rocsparseL20bsrxmvn_17_32_kernelILj19EiiiaaiEEvT2_20rocsparse_direction_NS_24const_host_device_scalarIT0_EES1_PKS1_PKT1_SA_S7_PKT3_PKT4_S5_PT5_21rocsparse_index_base_b.uses_vcc, 1
	.set _ZN9rocsparseL20bsrxmvn_17_32_kernelILj19EiiiaaiEEvT2_20rocsparse_direction_NS_24const_host_device_scalarIT0_EES1_PKS1_PKT1_SA_S7_PKT3_PKT4_S5_PT5_21rocsparse_index_base_b.uses_flat_scratch, 0
	.set _ZN9rocsparseL20bsrxmvn_17_32_kernelILj19EiiiaaiEEvT2_20rocsparse_direction_NS_24const_host_device_scalarIT0_EES1_PKS1_PKT1_SA_S7_PKT3_PKT4_S5_PT5_21rocsparse_index_base_b.has_dyn_sized_stack, 0
	.set _ZN9rocsparseL20bsrxmvn_17_32_kernelILj19EiiiaaiEEvT2_20rocsparse_direction_NS_24const_host_device_scalarIT0_EES1_PKS1_PKT1_SA_S7_PKT3_PKT4_S5_PT5_21rocsparse_index_base_b.has_recursion, 0
	.set _ZN9rocsparseL20bsrxmvn_17_32_kernelILj19EiiiaaiEEvT2_20rocsparse_direction_NS_24const_host_device_scalarIT0_EES1_PKS1_PKT1_SA_S7_PKT3_PKT4_S5_PT5_21rocsparse_index_base_b.has_indirect_call, 0
	.section	.AMDGPU.csdata,"",@progbits
; Kernel info:
; codeLenInByte = 1284
; TotalNumSgprs: 24
; NumVgprs: 11
; ScratchSize: 0
; MemoryBound: 0
; FloatMode: 240
; IeeeMode: 1
; LDSByteSize: 1444 bytes/workgroup (compile time only)
; SGPRBlocks: 2
; VGPRBlocks: 2
; NumSGPRsForWavesPerEU: 24
; NumVGPRsForWavesPerEU: 11
; Occupancy: 10
; WaveLimiterHint : 1
; COMPUTE_PGM_RSRC2:SCRATCH_EN: 0
; COMPUTE_PGM_RSRC2:USER_SGPR: 6
; COMPUTE_PGM_RSRC2:TRAP_HANDLER: 0
; COMPUTE_PGM_RSRC2:TGID_X_EN: 1
; COMPUTE_PGM_RSRC2:TGID_Y_EN: 0
; COMPUTE_PGM_RSRC2:TGID_Z_EN: 0
; COMPUTE_PGM_RSRC2:TIDIG_COMP_CNT: 0
	.section	.text._ZN9rocsparseL20bsrxmvn_17_32_kernelILj20EiiiaaiEEvT2_20rocsparse_direction_NS_24const_host_device_scalarIT0_EES1_PKS1_PKT1_SA_S7_PKT3_PKT4_S5_PT5_21rocsparse_index_base_b,"axG",@progbits,_ZN9rocsparseL20bsrxmvn_17_32_kernelILj20EiiiaaiEEvT2_20rocsparse_direction_NS_24const_host_device_scalarIT0_EES1_PKS1_PKT1_SA_S7_PKT3_PKT4_S5_PT5_21rocsparse_index_base_b,comdat
	.globl	_ZN9rocsparseL20bsrxmvn_17_32_kernelILj20EiiiaaiEEvT2_20rocsparse_direction_NS_24const_host_device_scalarIT0_EES1_PKS1_PKT1_SA_S7_PKT3_PKT4_S5_PT5_21rocsparse_index_base_b ; -- Begin function _ZN9rocsparseL20bsrxmvn_17_32_kernelILj20EiiiaaiEEvT2_20rocsparse_direction_NS_24const_host_device_scalarIT0_EES1_PKS1_PKT1_SA_S7_PKT3_PKT4_S5_PT5_21rocsparse_index_base_b
	.p2align	8
	.type	_ZN9rocsparseL20bsrxmvn_17_32_kernelILj20EiiiaaiEEvT2_20rocsparse_direction_NS_24const_host_device_scalarIT0_EES1_PKS1_PKT1_SA_S7_PKT3_PKT4_S5_PT5_21rocsparse_index_base_b,@function
_ZN9rocsparseL20bsrxmvn_17_32_kernelILj20EiiiaaiEEvT2_20rocsparse_direction_NS_24const_host_device_scalarIT0_EES1_PKS1_PKT1_SA_S7_PKT3_PKT4_S5_PT5_21rocsparse_index_base_b: ; @_ZN9rocsparseL20bsrxmvn_17_32_kernelILj20EiiiaaiEEvT2_20rocsparse_direction_NS_24const_host_device_scalarIT0_EES1_PKS1_PKT1_SA_S7_PKT3_PKT4_S5_PT5_21rocsparse_index_base_b
; %bb.0:
	s_load_dwordx2 s[10:11], s[4:5], 0x58
	s_load_dwordx2 s[8:9], s[4:5], 0x8
	s_mov_b64 s[12:13], -1
	s_waitcnt lgkmcnt(0)
	s_bitcmp1_b32 s11, 0
	s_cselect_b64 s[0:1], -1, 0
	s_xor_b64 s[2:3], s[0:1], -1
	s_and_b64 vcc, exec, s[2:3]
                                        ; implicit-def: $sgpr11
	s_cbranch_vccnz .LBB195_4
; %bb.1:
	s_load_dwordx2 s[0:1], s[4:5], 0x48
	s_andn2_b64 vcc, exec, s[12:13]
	s_cbranch_vccz .LBB195_5
.LBB195_2:
	s_and_b64 vcc, exec, s[2:3]
	s_cbranch_vccz .LBB195_6
.LBB195_3:
	s_waitcnt lgkmcnt(0)
	s_load_dword s16, s[0:1], 0x0
	s_cbranch_execz .LBB195_7
	s_branch .LBB195_8
.LBB195_4:
	s_load_dword s11, s[8:9], 0x0
	s_load_dwordx2 s[0:1], s[4:5], 0x48
	s_cbranch_execnz .LBB195_2
.LBB195_5:
	s_waitcnt lgkmcnt(0)
	s_mov_b32 s11, s8
	s_and_b64 vcc, exec, s[2:3]
	s_cbranch_vccnz .LBB195_3
.LBB195_6:
                                        ; implicit-def: $sgpr16
.LBB195_7:
	s_waitcnt lgkmcnt(0)
	s_mov_b32 s16, s0
.LBB195_8:
	s_waitcnt lgkmcnt(0)
	s_cmp_lg_u32 s11, 0
	s_cselect_b64 s[0:1], -1, 0
	s_cmp_lg_u32 s16, 1
	s_cselect_b64 s[2:3], -1, 0
	s_or_b64 s[0:1], s[0:1], s[2:3]
	s_andn2_b64 vcc, exec, s[0:1]
	s_cbranch_vccnz .LBB195_44
; %bb.9:
	s_load_dwordx4 s[0:3], s[4:5], 0x18
	s_load_dwordx2 s[14:15], s[4:5], 0x28
	s_waitcnt lgkmcnt(0)
	s_cmp_eq_u64 s[0:1], 0
	s_cbranch_scc1 .LBB195_11
; %bb.10:
	s_ashr_i32 s7, s6, 31
	s_lshl_b64 s[6:7], s[6:7], 2
	s_add_u32 s0, s0, s6
	s_addc_u32 s1, s1, s7
	s_load_dword s0, s[0:1], 0x0
	s_waitcnt lgkmcnt(0)
	s_sub_i32 s6, s0, s10
.LBB195_11:
	s_load_dword s0, s[4:5], 0x4
	s_load_dwordx2 s[8:9], s[4:5], 0x50
	v_mul_u32_u24_e32 v1, 0xccd, v0
	v_mov_b32_e32 v2, 20
	v_mul_lo_u16_sdwa v3, v1, v2 dst_sel:DWORD dst_unused:UNUSED_PAD src0_sel:WORD_1 src1_sel:DWORD
	s_waitcnt lgkmcnt(0)
	s_cmp_eq_u32 s0, 1
	s_cselect_b64 vcc, -1, 0
	s_cmp_lg_u32 s0, 1
	s_cselect_b64 s[12:13], -1, 0
	s_ashr_i32 s7, s6, 31
	s_lshl_b64 s[0:1], s[6:7], 2
	s_add_u32 s2, s2, s0
	s_addc_u32 s3, s3, s1
	s_load_dword s7, s[2:3], 0x0
	s_add_u32 s2, s2, 4
	s_addc_u32 s3, s3, 0
	s_add_u32 s0, s14, s0
	s_addc_u32 s1, s15, s1
	s_cmp_eq_u64 s[14:15], 0
	s_cselect_b32 s1, s3, s1
	s_cselect_b32 s0, s2, s0
	s_load_dword s17, s[0:1], 0x0
	v_sub_u16_e32 v7, v0, v3
	v_mov_b32_e32 v6, 0
	s_waitcnt lgkmcnt(0)
	s_cmp_ge_i32 s7, s17
	s_cbranch_scc1 .LBB195_16
; %bb.12:
	s_load_dwordx4 s[0:3], s[4:5], 0x30
	s_load_dwordx2 s[14:15], s[4:5], 0x40
	v_mov_b32_e32 v3, 13
	v_mul_lo_u16_sdwa v3, v1, v3 dst_sel:DWORD dst_unused:UNUSED_PAD src0_sel:WORD_1 src1_sel:DWORD
	s_sub_i32 s5, s7, s10
	s_sub_i32 s4, s17, s10
	v_mul_lo_u16_sdwa v2, v3, v2 dst_sel:DWORD dst_unused:UNUSED_PAD src0_sel:BYTE_1 src1_sel:DWORD
	s_mul_i32 s17, s5, 0x190
	v_sub_u16_sdwa v1, v1, v2 dst_sel:DWORD dst_unused:UNUSED_PAD src0_sel:WORD_1 src1_sel:DWORD
	s_mul_hi_i32 s7, s5, 0x190
	s_waitcnt lgkmcnt(0)
	s_add_u32 s2, s2, s17
	v_and_b32_e32 v1, 0xff, v1
	s_addc_u32 s3, s3, s7
	v_cndmask_b32_e32 v1, v7, v1, vcc
	v_mov_b32_e32 v3, s3
	v_add_co_u32_e32 v2, vcc, s2, v0
	s_movk_i32 s2, 0xa4
	v_mov_b32_e32 v6, 0
	v_addc_co_u32_e32 v3, vcc, 0, v3, vcc
	v_mul_u32_u24_sdwa v8, v0, s2 dst_sel:DWORD dst_unused:UNUSED_PAD src0_sel:WORD_0 src1_sel:DWORD
	s_branch .LBB195_14
.LBB195_13:                             ;   in Loop: Header=BB195_14 Depth=1
	s_or_b64 exec, exec, s[2:3]
	s_add_i32 s5, s5, 1
	s_cmp_lt_i32 s5, s4
	s_cbranch_scc0 .LBB195_16
.LBB195_14:                             ; =>This Inner Loop Header: Depth=1
	v_add_u32_sdwa v4, v8, s5 dst_sel:DWORD dst_unused:UNUSED_PAD src0_sel:WORD_1 src1_sel:DWORD
	v_cmp_gt_i32_e32 vcc, s4, v4
	s_and_saveexec_b64 s[2:3], vcc
	s_cbranch_execz .LBB195_13
; %bb.15:                               ;   in Loop: Header=BB195_14 Depth=1
	v_ashrrev_i32_e32 v5, 31, v4
	v_lshlrev_b64 v[4:5], 2, v[4:5]
	v_mov_b32_e32 v9, s1
	v_add_co_u32_e32 v4, vcc, s0, v4
	v_addc_co_u32_e32 v5, vcc, v9, v5, vcc
	global_load_dword v4, v[4:5], off
	s_waitcnt vmcnt(0)
	v_subrev_u32_e32 v4, s10, v4
	v_mad_u64_u32 v[4:5], s[18:19], v4, 20, v[1:2]
	v_mov_b32_e32 v5, s15
	global_load_sbyte v9, v[2:3], off
	v_ashrrev_i32_e32 v10, 31, v4
	v_add_co_u32_e32 v4, vcc, s14, v4
	v_addc_co_u32_e32 v5, vcc, v5, v10, vcc
	global_load_sbyte v4, v[4:5], off
	v_add_co_u32_e32 v2, vcc, 0x190, v2
	v_addc_co_u32_e32 v3, vcc, 0, v3, vcc
	s_waitcnt vmcnt(0)
	v_mad_i32_i24 v6, v4, v9, v6
	s_branch .LBB195_13
.LBB195_16:
	v_lshlrev_b32_e32 v1, 2, v0
	s_and_b64 vcc, exec, s[12:13]
	ds_write_b32 v1, v6
	s_waitcnt lgkmcnt(0)
	s_barrier
	s_cbranch_vccz .LBB195_28
; %bb.17:
	v_cmp_gt_u16_e32 vcc, 4, v7
	s_and_saveexec_b64 s[0:1], vcc
	s_cbranch_execz .LBB195_19
; %bb.18:
	ds_read2_b32 v[2:3], v1 offset1:16
	s_waitcnt lgkmcnt(0)
	v_add_u32_e32 v2, v2, v3
	ds_write_b32 v1, v2
.LBB195_19:
	s_or_b64 exec, exec, s[0:1]
	v_cmp_gt_u16_e64 s[0:1], 8, v7
	s_waitcnt lgkmcnt(0)
	s_barrier
	s_and_saveexec_b64 s[2:3], s[0:1]
	s_cbranch_execz .LBB195_21
; %bb.20:
	ds_read2_b32 v[2:3], v1 offset1:8
	s_waitcnt lgkmcnt(0)
	v_add_u32_e32 v2, v2, v3
	ds_write_b32 v1, v2
.LBB195_21:
	s_or_b64 exec, exec, s[2:3]
	s_waitcnt lgkmcnt(0)
	s_barrier
	s_and_saveexec_b64 s[0:1], vcc
	s_cbranch_execz .LBB195_23
; %bb.22:
	ds_read2_b32 v[2:3], v1 offset1:4
	s_waitcnt lgkmcnt(0)
	v_add_u32_e32 v2, v2, v3
	ds_write_b32 v1, v2
.LBB195_23:
	s_or_b64 exec, exec, s[0:1]
	v_cmp_gt_u16_e32 vcc, 2, v7
	s_waitcnt lgkmcnt(0)
	s_barrier
	s_and_saveexec_b64 s[0:1], vcc
	s_cbranch_execz .LBB195_25
; %bb.24:
	ds_read2_b32 v[2:3], v1 offset1:2
	s_waitcnt lgkmcnt(0)
	v_add_u32_e32 v2, v2, v3
	ds_write_b32 v1, v2
.LBB195_25:
	s_or_b64 exec, exec, s[0:1]
	v_cmp_gt_u32_e32 vcc, 20, v0
	v_mov_b32_e32 v2, v6
	s_waitcnt lgkmcnt(0)
	s_barrier
	s_and_saveexec_b64 s[0:1], vcc
	s_cbranch_execz .LBB195_27
; %bb.26:
	s_movk_i32 s2, 0x4c
	v_mad_u32_u24 v2, v0, s2, v1
	ds_read_b64 v[2:3], v2
	s_waitcnt lgkmcnt(0)
	v_add_u32_e32 v2, v3, v2
.LBB195_27:
	s_or_b64 exec, exec, s[0:1]
	s_branch .LBB195_40
.LBB195_28:
                                        ; implicit-def: $vgpr2
	s_cbranch_execz .LBB195_40
; %bb.29:
	s_movk_i32 s0, 0x50
	v_cmp_gt_u32_e32 vcc, s0, v0
	s_and_saveexec_b64 s[0:1], vcc
	s_cbranch_execz .LBB195_31
; %bb.30:
	ds_read2st64_b32 v[2:3], v1 offset1:5
	s_waitcnt lgkmcnt(0)
	v_add_u32_e32 v2, v2, v3
	ds_write_b32 v1, v2
.LBB195_31:
	s_or_b64 exec, exec, s[0:1]
	s_movk_i32 s0, 0xa0
	v_cmp_gt_u32_e64 s[0:1], s0, v0
	s_waitcnt lgkmcnt(0)
	s_barrier
	s_and_saveexec_b64 s[2:3], s[0:1]
	s_cbranch_execz .LBB195_33
; %bb.32:
	ds_read2_b32 v[2:3], v1 offset1:160
	s_waitcnt lgkmcnt(0)
	v_add_u32_e32 v2, v2, v3
	ds_write_b32 v1, v2
.LBB195_33:
	s_or_b64 exec, exec, s[2:3]
	s_waitcnt lgkmcnt(0)
	s_barrier
	s_and_saveexec_b64 s[0:1], vcc
	s_cbranch_execz .LBB195_35
; %bb.34:
	ds_read2_b32 v[2:3], v1 offset1:80
	s_waitcnt lgkmcnt(0)
	v_add_u32_e32 v2, v2, v3
	ds_write_b32 v1, v2
.LBB195_35:
	s_or_b64 exec, exec, s[0:1]
	v_cmp_gt_u32_e32 vcc, 40, v0
	s_waitcnt lgkmcnt(0)
	s_barrier
	s_and_saveexec_b64 s[0:1], vcc
	s_cbranch_execz .LBB195_37
; %bb.36:
	ds_read2_b32 v[2:3], v1 offset1:40
	s_waitcnt lgkmcnt(0)
	v_add_u32_e32 v2, v2, v3
	ds_write_b32 v1, v2
.LBB195_37:
	s_or_b64 exec, exec, s[0:1]
	v_cmp_gt_u32_e32 vcc, 20, v0
	s_waitcnt lgkmcnt(0)
	s_and_saveexec_b64 s[0:1], vcc
	s_cbranch_execz .LBB195_39
; %bb.38:
	ds_read2_b32 v[1:2], v1 offset1:20
	s_waitcnt lgkmcnt(0)
	v_add_u32_e32 v6, v2, v1
.LBB195_39:
	s_or_b64 exec, exec, s[0:1]
	v_mov_b32_e32 v2, v6
.LBB195_40:
	v_cmp_gt_u32_e32 vcc, 20, v0
	s_and_saveexec_b64 s[0:1], vcc
	s_cbranch_execz .LBB195_44
; %bb.41:
	v_mul_lo_u32 v1, v2, s11
	s_cmp_eq_u32 s16, 0
	s_cbranch_scc1 .LBB195_45
; %bb.42:
	v_mad_u64_u32 v[2:3], s[0:1], s6, 20, v[0:1]
	v_mov_b32_e32 v3, 0
	v_mov_b32_e32 v4, s9
	v_lshlrev_b64 v[2:3], 2, v[2:3]
	v_add_co_u32_e32 v2, vcc, s8, v2
	v_addc_co_u32_e32 v3, vcc, v4, v3, vcc
	global_load_dword v4, v[2:3], off
	s_waitcnt vmcnt(0)
	v_mad_u64_u32 v[4:5], s[0:1], v4, s16, v[1:2]
	global_store_dword v[2:3], v4, off
	s_cbranch_execnz .LBB195_44
.LBB195_43:
	v_mad_u64_u32 v[2:3], s[0:1], s6, 20, v[0:1]
	v_mov_b32_e32 v3, 0
	v_mov_b32_e32 v0, s9
	v_lshlrev_b64 v[2:3], 2, v[2:3]
	v_add_co_u32_e32 v2, vcc, s8, v2
	v_addc_co_u32_e32 v3, vcc, v0, v3, vcc
	global_store_dword v[2:3], v1, off
.LBB195_44:
	s_endpgm
.LBB195_45:
	s_branch .LBB195_43
	.section	.rodata,"a",@progbits
	.p2align	6, 0x0
	.amdhsa_kernel _ZN9rocsparseL20bsrxmvn_17_32_kernelILj20EiiiaaiEEvT2_20rocsparse_direction_NS_24const_host_device_scalarIT0_EES1_PKS1_PKT1_SA_S7_PKT3_PKT4_S5_PT5_21rocsparse_index_base_b
		.amdhsa_group_segment_fixed_size 1600
		.amdhsa_private_segment_fixed_size 0
		.amdhsa_kernarg_size 96
		.amdhsa_user_sgpr_count 6
		.amdhsa_user_sgpr_private_segment_buffer 1
		.amdhsa_user_sgpr_dispatch_ptr 0
		.amdhsa_user_sgpr_queue_ptr 0
		.amdhsa_user_sgpr_kernarg_segment_ptr 1
		.amdhsa_user_sgpr_dispatch_id 0
		.amdhsa_user_sgpr_flat_scratch_init 0
		.amdhsa_user_sgpr_private_segment_size 0
		.amdhsa_uses_dynamic_stack 0
		.amdhsa_system_sgpr_private_segment_wavefront_offset 0
		.amdhsa_system_sgpr_workgroup_id_x 1
		.amdhsa_system_sgpr_workgroup_id_y 0
		.amdhsa_system_sgpr_workgroup_id_z 0
		.amdhsa_system_sgpr_workgroup_info 0
		.amdhsa_system_vgpr_workitem_id 0
		.amdhsa_next_free_vgpr 11
		.amdhsa_next_free_sgpr 20
		.amdhsa_reserve_vcc 1
		.amdhsa_reserve_flat_scratch 0
		.amdhsa_float_round_mode_32 0
		.amdhsa_float_round_mode_16_64 0
		.amdhsa_float_denorm_mode_32 3
		.amdhsa_float_denorm_mode_16_64 3
		.amdhsa_dx10_clamp 1
		.amdhsa_ieee_mode 1
		.amdhsa_fp16_overflow 0
		.amdhsa_exception_fp_ieee_invalid_op 0
		.amdhsa_exception_fp_denorm_src 0
		.amdhsa_exception_fp_ieee_div_zero 0
		.amdhsa_exception_fp_ieee_overflow 0
		.amdhsa_exception_fp_ieee_underflow 0
		.amdhsa_exception_fp_ieee_inexact 0
		.amdhsa_exception_int_div_zero 0
	.end_amdhsa_kernel
	.section	.text._ZN9rocsparseL20bsrxmvn_17_32_kernelILj20EiiiaaiEEvT2_20rocsparse_direction_NS_24const_host_device_scalarIT0_EES1_PKS1_PKT1_SA_S7_PKT3_PKT4_S5_PT5_21rocsparse_index_base_b,"axG",@progbits,_ZN9rocsparseL20bsrxmvn_17_32_kernelILj20EiiiaaiEEvT2_20rocsparse_direction_NS_24const_host_device_scalarIT0_EES1_PKS1_PKT1_SA_S7_PKT3_PKT4_S5_PT5_21rocsparse_index_base_b,comdat
.Lfunc_end195:
	.size	_ZN9rocsparseL20bsrxmvn_17_32_kernelILj20EiiiaaiEEvT2_20rocsparse_direction_NS_24const_host_device_scalarIT0_EES1_PKS1_PKT1_SA_S7_PKT3_PKT4_S5_PT5_21rocsparse_index_base_b, .Lfunc_end195-_ZN9rocsparseL20bsrxmvn_17_32_kernelILj20EiiiaaiEEvT2_20rocsparse_direction_NS_24const_host_device_scalarIT0_EES1_PKS1_PKT1_SA_S7_PKT3_PKT4_S5_PT5_21rocsparse_index_base_b
                                        ; -- End function
	.set _ZN9rocsparseL20bsrxmvn_17_32_kernelILj20EiiiaaiEEvT2_20rocsparse_direction_NS_24const_host_device_scalarIT0_EES1_PKS1_PKT1_SA_S7_PKT3_PKT4_S5_PT5_21rocsparse_index_base_b.num_vgpr, 11
	.set _ZN9rocsparseL20bsrxmvn_17_32_kernelILj20EiiiaaiEEvT2_20rocsparse_direction_NS_24const_host_device_scalarIT0_EES1_PKS1_PKT1_SA_S7_PKT3_PKT4_S5_PT5_21rocsparse_index_base_b.num_agpr, 0
	.set _ZN9rocsparseL20bsrxmvn_17_32_kernelILj20EiiiaaiEEvT2_20rocsparse_direction_NS_24const_host_device_scalarIT0_EES1_PKS1_PKT1_SA_S7_PKT3_PKT4_S5_PT5_21rocsparse_index_base_b.numbered_sgpr, 20
	.set _ZN9rocsparseL20bsrxmvn_17_32_kernelILj20EiiiaaiEEvT2_20rocsparse_direction_NS_24const_host_device_scalarIT0_EES1_PKS1_PKT1_SA_S7_PKT3_PKT4_S5_PT5_21rocsparse_index_base_b.num_named_barrier, 0
	.set _ZN9rocsparseL20bsrxmvn_17_32_kernelILj20EiiiaaiEEvT2_20rocsparse_direction_NS_24const_host_device_scalarIT0_EES1_PKS1_PKT1_SA_S7_PKT3_PKT4_S5_PT5_21rocsparse_index_base_b.private_seg_size, 0
	.set _ZN9rocsparseL20bsrxmvn_17_32_kernelILj20EiiiaaiEEvT2_20rocsparse_direction_NS_24const_host_device_scalarIT0_EES1_PKS1_PKT1_SA_S7_PKT3_PKT4_S5_PT5_21rocsparse_index_base_b.uses_vcc, 1
	.set _ZN9rocsparseL20bsrxmvn_17_32_kernelILj20EiiiaaiEEvT2_20rocsparse_direction_NS_24const_host_device_scalarIT0_EES1_PKS1_PKT1_SA_S7_PKT3_PKT4_S5_PT5_21rocsparse_index_base_b.uses_flat_scratch, 0
	.set _ZN9rocsparseL20bsrxmvn_17_32_kernelILj20EiiiaaiEEvT2_20rocsparse_direction_NS_24const_host_device_scalarIT0_EES1_PKS1_PKT1_SA_S7_PKT3_PKT4_S5_PT5_21rocsparse_index_base_b.has_dyn_sized_stack, 0
	.set _ZN9rocsparseL20bsrxmvn_17_32_kernelILj20EiiiaaiEEvT2_20rocsparse_direction_NS_24const_host_device_scalarIT0_EES1_PKS1_PKT1_SA_S7_PKT3_PKT4_S5_PT5_21rocsparse_index_base_b.has_recursion, 0
	.set _ZN9rocsparseL20bsrxmvn_17_32_kernelILj20EiiiaaiEEvT2_20rocsparse_direction_NS_24const_host_device_scalarIT0_EES1_PKS1_PKT1_SA_S7_PKT3_PKT4_S5_PT5_21rocsparse_index_base_b.has_indirect_call, 0
	.section	.AMDGPU.csdata,"",@progbits
; Kernel info:
; codeLenInByte = 1276
; TotalNumSgprs: 24
; NumVgprs: 11
; ScratchSize: 0
; MemoryBound: 0
; FloatMode: 240
; IeeeMode: 1
; LDSByteSize: 1600 bytes/workgroup (compile time only)
; SGPRBlocks: 2
; VGPRBlocks: 2
; NumSGPRsForWavesPerEU: 24
; NumVGPRsForWavesPerEU: 11
; Occupancy: 10
; WaveLimiterHint : 1
; COMPUTE_PGM_RSRC2:SCRATCH_EN: 0
; COMPUTE_PGM_RSRC2:USER_SGPR: 6
; COMPUTE_PGM_RSRC2:TRAP_HANDLER: 0
; COMPUTE_PGM_RSRC2:TGID_X_EN: 1
; COMPUTE_PGM_RSRC2:TGID_Y_EN: 0
; COMPUTE_PGM_RSRC2:TGID_Z_EN: 0
; COMPUTE_PGM_RSRC2:TIDIG_COMP_CNT: 0
	.section	.text._ZN9rocsparseL20bsrxmvn_17_32_kernelILj21EiiiaaiEEvT2_20rocsparse_direction_NS_24const_host_device_scalarIT0_EES1_PKS1_PKT1_SA_S7_PKT3_PKT4_S5_PT5_21rocsparse_index_base_b,"axG",@progbits,_ZN9rocsparseL20bsrxmvn_17_32_kernelILj21EiiiaaiEEvT2_20rocsparse_direction_NS_24const_host_device_scalarIT0_EES1_PKS1_PKT1_SA_S7_PKT3_PKT4_S5_PT5_21rocsparse_index_base_b,comdat
	.globl	_ZN9rocsparseL20bsrxmvn_17_32_kernelILj21EiiiaaiEEvT2_20rocsparse_direction_NS_24const_host_device_scalarIT0_EES1_PKS1_PKT1_SA_S7_PKT3_PKT4_S5_PT5_21rocsparse_index_base_b ; -- Begin function _ZN9rocsparseL20bsrxmvn_17_32_kernelILj21EiiiaaiEEvT2_20rocsparse_direction_NS_24const_host_device_scalarIT0_EES1_PKS1_PKT1_SA_S7_PKT3_PKT4_S5_PT5_21rocsparse_index_base_b
	.p2align	8
	.type	_ZN9rocsparseL20bsrxmvn_17_32_kernelILj21EiiiaaiEEvT2_20rocsparse_direction_NS_24const_host_device_scalarIT0_EES1_PKS1_PKT1_SA_S7_PKT3_PKT4_S5_PT5_21rocsparse_index_base_b,@function
_ZN9rocsparseL20bsrxmvn_17_32_kernelILj21EiiiaaiEEvT2_20rocsparse_direction_NS_24const_host_device_scalarIT0_EES1_PKS1_PKT1_SA_S7_PKT3_PKT4_S5_PT5_21rocsparse_index_base_b: ; @_ZN9rocsparseL20bsrxmvn_17_32_kernelILj21EiiiaaiEEvT2_20rocsparse_direction_NS_24const_host_device_scalarIT0_EES1_PKS1_PKT1_SA_S7_PKT3_PKT4_S5_PT5_21rocsparse_index_base_b
; %bb.0:
	s_load_dwordx2 s[10:11], s[4:5], 0x58
	s_load_dwordx2 s[8:9], s[4:5], 0x8
	s_mov_b64 s[12:13], -1
	s_waitcnt lgkmcnt(0)
	s_bitcmp1_b32 s11, 0
	s_cselect_b64 s[0:1], -1, 0
	s_xor_b64 s[2:3], s[0:1], -1
	s_and_b64 vcc, exec, s[2:3]
                                        ; implicit-def: $sgpr11
	s_cbranch_vccnz .LBB196_4
; %bb.1:
	s_load_dwordx2 s[0:1], s[4:5], 0x48
	s_andn2_b64 vcc, exec, s[12:13]
	s_cbranch_vccz .LBB196_5
.LBB196_2:
	s_and_b64 vcc, exec, s[2:3]
	s_cbranch_vccz .LBB196_6
.LBB196_3:
	s_waitcnt lgkmcnt(0)
	s_load_dword s16, s[0:1], 0x0
	s_cbranch_execz .LBB196_7
	s_branch .LBB196_8
.LBB196_4:
	s_load_dword s11, s[8:9], 0x0
	s_load_dwordx2 s[0:1], s[4:5], 0x48
	s_cbranch_execnz .LBB196_2
.LBB196_5:
	s_waitcnt lgkmcnt(0)
	s_mov_b32 s11, s8
	s_and_b64 vcc, exec, s[2:3]
	s_cbranch_vccnz .LBB196_3
.LBB196_6:
                                        ; implicit-def: $sgpr16
.LBB196_7:
	s_waitcnt lgkmcnt(0)
	s_mov_b32 s16, s0
.LBB196_8:
	s_waitcnt lgkmcnt(0)
	s_cmp_lg_u32 s11, 0
	s_cselect_b64 s[0:1], -1, 0
	s_cmp_lg_u32 s16, 1
	s_cselect_b64 s[2:3], -1, 0
	s_or_b64 s[0:1], s[0:1], s[2:3]
	s_andn2_b64 vcc, exec, s[0:1]
	s_cbranch_vccnz .LBB196_44
; %bb.9:
	s_load_dwordx4 s[0:3], s[4:5], 0x18
	s_load_dwordx2 s[14:15], s[4:5], 0x28
	s_waitcnt lgkmcnt(0)
	s_cmp_eq_u64 s[0:1], 0
	s_cbranch_scc1 .LBB196_11
; %bb.10:
	s_ashr_i32 s7, s6, 31
	s_lshl_b64 s[6:7], s[6:7], 2
	s_add_u32 s0, s0, s6
	s_addc_u32 s1, s1, s7
	s_load_dword s0, s[0:1], 0x0
	s_waitcnt lgkmcnt(0)
	s_sub_i32 s6, s0, s10
.LBB196_11:
	s_load_dword s0, s[4:5], 0x4
	s_load_dwordx2 s[8:9], s[4:5], 0x50
	v_mul_u32_u24_e32 v1, 0xc31, v0
	v_mov_b32_e32 v2, 21
	v_mul_lo_u16_sdwa v2, v1, v2 dst_sel:DWORD dst_unused:UNUSED_PAD src0_sel:WORD_1 src1_sel:DWORD
	s_waitcnt lgkmcnt(0)
	s_cmp_eq_u32 s0, 1
	s_cselect_b64 vcc, -1, 0
	s_cmp_lg_u32 s0, 1
	s_cselect_b64 s[12:13], -1, 0
	s_ashr_i32 s7, s6, 31
	s_lshl_b64 s[0:1], s[6:7], 2
	s_add_u32 s2, s2, s0
	s_addc_u32 s3, s3, s1
	s_load_dword s7, s[2:3], 0x0
	s_add_u32 s2, s2, 4
	s_addc_u32 s3, s3, 0
	s_add_u32 s0, s14, s0
	s_addc_u32 s1, s15, s1
	s_cmp_eq_u64 s[14:15], 0
	s_cselect_b32 s1, s3, s1
	s_cselect_b32 s0, s2, s0
	s_load_dword s17, s[0:1], 0x0
	v_sub_u16_e32 v7, v0, v2
	v_mov_b32_e32 v6, 0
	s_waitcnt lgkmcnt(0)
	s_cmp_ge_i32 s7, s17
	s_cbranch_scc1 .LBB196_16
; %bb.12:
	v_mov_b32_e32 v2, 25
	s_load_dwordx4 s[0:3], s[4:5], 0x30
	s_load_dwordx2 s[14:15], s[4:5], 0x40
	v_mul_lo_u16_sdwa v2, v1, v2 dst_sel:DWORD dst_unused:UNUSED_PAD src0_sel:WORD_1 src1_sel:DWORD
	v_lshrrev_b16_e32 v2, 9, v2
	v_mul_lo_u16_e32 v2, 21, v2
	s_sub_i32 s5, s7, s10
	s_sub_i32 s4, s17, s10
	v_sub_u16_sdwa v1, v1, v2 dst_sel:DWORD dst_unused:UNUSED_PAD src0_sel:WORD_1 src1_sel:DWORD
	s_mul_i32 s17, s5, 0x1b9
	v_and_b32_e32 v1, 0xff, v1
	s_mul_hi_i32 s7, s5, 0x1b9
	s_waitcnt lgkmcnt(0)
	s_add_u32 s2, s2, s17
	v_cndmask_b32_e32 v1, v7, v1, vcc
	s_addc_u32 s3, s3, s7
	v_add_co_u32_e32 v2, vcc, s2, v0
	s_movk_i32 s2, 0x253
	v_mov_b32_e32 v3, s3
	v_mul_u32_u24_sdwa v4, v0, s2 dst_sel:DWORD dst_unused:UNUSED_PAD src0_sel:WORD_0 src1_sel:DWORD
	v_mov_b32_e32 v6, 0
	v_addc_co_u32_e32 v3, vcc, 0, v3, vcc
	v_lshrrev_b32_e32 v8, 18, v4
	s_branch .LBB196_14
.LBB196_13:                             ;   in Loop: Header=BB196_14 Depth=1
	s_or_b64 exec, exec, s[2:3]
	s_add_i32 s5, s5, 1
	s_cmp_lt_i32 s5, s4
	s_cbranch_scc0 .LBB196_16
.LBB196_14:                             ; =>This Inner Loop Header: Depth=1
	v_add_u32_e32 v4, s5, v8
	v_cmp_gt_i32_e32 vcc, s4, v4
	s_and_saveexec_b64 s[2:3], vcc
	s_cbranch_execz .LBB196_13
; %bb.15:                               ;   in Loop: Header=BB196_14 Depth=1
	v_ashrrev_i32_e32 v5, 31, v4
	v_lshlrev_b64 v[4:5], 2, v[4:5]
	v_mov_b32_e32 v9, s1
	v_add_co_u32_e32 v4, vcc, s0, v4
	v_addc_co_u32_e32 v5, vcc, v9, v5, vcc
	global_load_dword v4, v[4:5], off
	s_waitcnt vmcnt(0)
	v_subrev_u32_e32 v4, s10, v4
	v_mad_u64_u32 v[4:5], s[18:19], v4, 21, v[1:2]
	v_mov_b32_e32 v5, s15
	global_load_sbyte v9, v[2:3], off
	v_ashrrev_i32_e32 v10, 31, v4
	v_add_co_u32_e32 v4, vcc, s14, v4
	v_addc_co_u32_e32 v5, vcc, v5, v10, vcc
	global_load_sbyte v4, v[4:5], off
	v_add_co_u32_e32 v2, vcc, 0x1b9, v2
	v_addc_co_u32_e32 v3, vcc, 0, v3, vcc
	s_waitcnt vmcnt(0)
	v_mad_i32_i24 v6, v4, v9, v6
	s_branch .LBB196_13
.LBB196_16:
	v_lshlrev_b32_e32 v1, 2, v0
	s_and_b64 vcc, exec, s[12:13]
	ds_write_b32 v1, v6
	s_waitcnt lgkmcnt(0)
	s_barrier
	s_cbranch_vccz .LBB196_28
; %bb.17:
	v_cmp_gt_u16_e32 vcc, 5, v7
	s_and_saveexec_b64 s[0:1], vcc
	s_cbranch_execz .LBB196_19
; %bb.18:
	ds_read2_b32 v[2:3], v1 offset1:16
	s_waitcnt lgkmcnt(0)
	v_add_u32_e32 v2, v2, v3
	ds_write_b32 v1, v2
.LBB196_19:
	s_or_b64 exec, exec, s[0:1]
	v_cmp_gt_u16_e32 vcc, 8, v7
	s_waitcnt lgkmcnt(0)
	s_barrier
	s_and_saveexec_b64 s[0:1], vcc
	s_cbranch_execz .LBB196_21
; %bb.20:
	ds_read2_b32 v[2:3], v1 offset1:8
	s_waitcnt lgkmcnt(0)
	v_add_u32_e32 v2, v2, v3
	ds_write_b32 v1, v2
.LBB196_21:
	s_or_b64 exec, exec, s[0:1]
	v_cmp_gt_u16_e32 vcc, 4, v7
	s_waitcnt lgkmcnt(0)
	s_barrier
	;; [unrolled: 12-line block ×3, first 2 shown]
	s_and_saveexec_b64 s[0:1], vcc
	s_cbranch_execz .LBB196_25
; %bb.24:
	ds_read2_b32 v[2:3], v1 offset1:2
	s_waitcnt lgkmcnt(0)
	v_add_u32_e32 v2, v2, v3
	ds_write_b32 v1, v2
.LBB196_25:
	s_or_b64 exec, exec, s[0:1]
	v_cmp_gt_u32_e32 vcc, 21, v0
	v_mov_b32_e32 v2, v6
	s_waitcnt lgkmcnt(0)
	s_barrier
	s_and_saveexec_b64 s[0:1], vcc
	s_cbranch_execz .LBB196_27
; %bb.26:
	s_movk_i32 s2, 0x50
	v_mad_u32_u24 v2, v0, s2, v1
	ds_read2_b32 v[2:3], v2 offset1:1
	s_waitcnt lgkmcnt(0)
	v_add_u32_e32 v2, v3, v2
.LBB196_27:
	s_or_b64 exec, exec, s[0:1]
	s_branch .LBB196_40
.LBB196_28:
                                        ; implicit-def: $vgpr2
	s_cbranch_execz .LBB196_40
; %bb.29:
	s_movk_i32 s0, 0x69
	v_cmp_gt_u32_e32 vcc, s0, v0
	s_and_saveexec_b64 s[0:1], vcc
	s_cbranch_execz .LBB196_31
; %bb.30:
	ds_read_b32 v2, v1 offset:1344
	ds_read_b32 v3, v1
	s_waitcnt lgkmcnt(0)
	v_add_u32_e32 v2, v3, v2
	ds_write_b32 v1, v2
.LBB196_31:
	s_or_b64 exec, exec, s[0:1]
	s_movk_i32 s0, 0xa8
	v_cmp_gt_u32_e32 vcc, s0, v0
	s_waitcnt lgkmcnt(0)
	s_barrier
	s_and_saveexec_b64 s[0:1], vcc
	s_cbranch_execz .LBB196_33
; %bb.32:
	ds_read2_b32 v[2:3], v1 offset1:168
	s_waitcnt lgkmcnt(0)
	v_add_u32_e32 v2, v2, v3
	ds_write_b32 v1, v2
.LBB196_33:
	s_or_b64 exec, exec, s[0:1]
	s_movk_i32 s0, 0x54
	v_cmp_gt_u32_e32 vcc, s0, v0
	s_waitcnt lgkmcnt(0)
	s_barrier
	s_and_saveexec_b64 s[0:1], vcc
	s_cbranch_execz .LBB196_35
; %bb.34:
	ds_read2_b32 v[2:3], v1 offset1:84
	s_waitcnt lgkmcnt(0)
	v_add_u32_e32 v2, v2, v3
	ds_write_b32 v1, v2
.LBB196_35:
	s_or_b64 exec, exec, s[0:1]
	v_cmp_gt_u32_e32 vcc, 42, v0
	s_waitcnt lgkmcnt(0)
	s_barrier
	s_and_saveexec_b64 s[0:1], vcc
	s_cbranch_execz .LBB196_37
; %bb.36:
	ds_read2_b32 v[2:3], v1 offset1:42
	s_waitcnt lgkmcnt(0)
	v_add_u32_e32 v2, v2, v3
	ds_write_b32 v1, v2
.LBB196_37:
	s_or_b64 exec, exec, s[0:1]
	v_cmp_gt_u32_e32 vcc, 21, v0
	s_waitcnt lgkmcnt(0)
	s_and_saveexec_b64 s[0:1], vcc
	s_cbranch_execz .LBB196_39
; %bb.38:
	ds_read2_b32 v[1:2], v1 offset1:21
	s_waitcnt lgkmcnt(0)
	v_add_u32_e32 v6, v2, v1
.LBB196_39:
	s_or_b64 exec, exec, s[0:1]
	v_mov_b32_e32 v2, v6
.LBB196_40:
	v_cmp_gt_u32_e32 vcc, 21, v0
	s_and_saveexec_b64 s[0:1], vcc
	s_cbranch_execz .LBB196_44
; %bb.41:
	v_mul_lo_u32 v1, v2, s11
	s_cmp_eq_u32 s16, 0
	s_cbranch_scc1 .LBB196_45
; %bb.42:
	v_mad_u64_u32 v[2:3], s[0:1], s6, 21, v[0:1]
	v_mov_b32_e32 v3, 0
	v_mov_b32_e32 v4, s9
	v_lshlrev_b64 v[2:3], 2, v[2:3]
	v_add_co_u32_e32 v2, vcc, s8, v2
	v_addc_co_u32_e32 v3, vcc, v4, v3, vcc
	global_load_dword v4, v[2:3], off
	s_waitcnt vmcnt(0)
	v_mad_u64_u32 v[4:5], s[0:1], v4, s16, v[1:2]
	global_store_dword v[2:3], v4, off
	s_cbranch_execnz .LBB196_44
.LBB196_43:
	v_mad_u64_u32 v[2:3], s[0:1], s6, 21, v[0:1]
	v_mov_b32_e32 v3, 0
	v_mov_b32_e32 v0, s9
	v_lshlrev_b64 v[2:3], 2, v[2:3]
	v_add_co_u32_e32 v2, vcc, s8, v2
	v_addc_co_u32_e32 v3, vcc, v0, v3, vcc
	global_store_dword v[2:3], v1, off
.LBB196_44:
	s_endpgm
.LBB196_45:
	s_branch .LBB196_43
	.section	.rodata,"a",@progbits
	.p2align	6, 0x0
	.amdhsa_kernel _ZN9rocsparseL20bsrxmvn_17_32_kernelILj21EiiiaaiEEvT2_20rocsparse_direction_NS_24const_host_device_scalarIT0_EES1_PKS1_PKT1_SA_S7_PKT3_PKT4_S5_PT5_21rocsparse_index_base_b
		.amdhsa_group_segment_fixed_size 1764
		.amdhsa_private_segment_fixed_size 0
		.amdhsa_kernarg_size 96
		.amdhsa_user_sgpr_count 6
		.amdhsa_user_sgpr_private_segment_buffer 1
		.amdhsa_user_sgpr_dispatch_ptr 0
		.amdhsa_user_sgpr_queue_ptr 0
		.amdhsa_user_sgpr_kernarg_segment_ptr 1
		.amdhsa_user_sgpr_dispatch_id 0
		.amdhsa_user_sgpr_flat_scratch_init 0
		.amdhsa_user_sgpr_private_segment_size 0
		.amdhsa_uses_dynamic_stack 0
		.amdhsa_system_sgpr_private_segment_wavefront_offset 0
		.amdhsa_system_sgpr_workgroup_id_x 1
		.amdhsa_system_sgpr_workgroup_id_y 0
		.amdhsa_system_sgpr_workgroup_id_z 0
		.amdhsa_system_sgpr_workgroup_info 0
		.amdhsa_system_vgpr_workitem_id 0
		.amdhsa_next_free_vgpr 11
		.amdhsa_next_free_sgpr 20
		.amdhsa_reserve_vcc 1
		.amdhsa_reserve_flat_scratch 0
		.amdhsa_float_round_mode_32 0
		.amdhsa_float_round_mode_16_64 0
		.amdhsa_float_denorm_mode_32 3
		.amdhsa_float_denorm_mode_16_64 3
		.amdhsa_dx10_clamp 1
		.amdhsa_ieee_mode 1
		.amdhsa_fp16_overflow 0
		.amdhsa_exception_fp_ieee_invalid_op 0
		.amdhsa_exception_fp_denorm_src 0
		.amdhsa_exception_fp_ieee_div_zero 0
		.amdhsa_exception_fp_ieee_overflow 0
		.amdhsa_exception_fp_ieee_underflow 0
		.amdhsa_exception_fp_ieee_inexact 0
		.amdhsa_exception_int_div_zero 0
	.end_amdhsa_kernel
	.section	.text._ZN9rocsparseL20bsrxmvn_17_32_kernelILj21EiiiaaiEEvT2_20rocsparse_direction_NS_24const_host_device_scalarIT0_EES1_PKS1_PKT1_SA_S7_PKT3_PKT4_S5_PT5_21rocsparse_index_base_b,"axG",@progbits,_ZN9rocsparseL20bsrxmvn_17_32_kernelILj21EiiiaaiEEvT2_20rocsparse_direction_NS_24const_host_device_scalarIT0_EES1_PKS1_PKT1_SA_S7_PKT3_PKT4_S5_PT5_21rocsparse_index_base_b,comdat
.Lfunc_end196:
	.size	_ZN9rocsparseL20bsrxmvn_17_32_kernelILj21EiiiaaiEEvT2_20rocsparse_direction_NS_24const_host_device_scalarIT0_EES1_PKS1_PKT1_SA_S7_PKT3_PKT4_S5_PT5_21rocsparse_index_base_b, .Lfunc_end196-_ZN9rocsparseL20bsrxmvn_17_32_kernelILj21EiiiaaiEEvT2_20rocsparse_direction_NS_24const_host_device_scalarIT0_EES1_PKS1_PKT1_SA_S7_PKT3_PKT4_S5_PT5_21rocsparse_index_base_b
                                        ; -- End function
	.set _ZN9rocsparseL20bsrxmvn_17_32_kernelILj21EiiiaaiEEvT2_20rocsparse_direction_NS_24const_host_device_scalarIT0_EES1_PKS1_PKT1_SA_S7_PKT3_PKT4_S5_PT5_21rocsparse_index_base_b.num_vgpr, 11
	.set _ZN9rocsparseL20bsrxmvn_17_32_kernelILj21EiiiaaiEEvT2_20rocsparse_direction_NS_24const_host_device_scalarIT0_EES1_PKS1_PKT1_SA_S7_PKT3_PKT4_S5_PT5_21rocsparse_index_base_b.num_agpr, 0
	.set _ZN9rocsparseL20bsrxmvn_17_32_kernelILj21EiiiaaiEEvT2_20rocsparse_direction_NS_24const_host_device_scalarIT0_EES1_PKS1_PKT1_SA_S7_PKT3_PKT4_S5_PT5_21rocsparse_index_base_b.numbered_sgpr, 20
	.set _ZN9rocsparseL20bsrxmvn_17_32_kernelILj21EiiiaaiEEvT2_20rocsparse_direction_NS_24const_host_device_scalarIT0_EES1_PKS1_PKT1_SA_S7_PKT3_PKT4_S5_PT5_21rocsparse_index_base_b.num_named_barrier, 0
	.set _ZN9rocsparseL20bsrxmvn_17_32_kernelILj21EiiiaaiEEvT2_20rocsparse_direction_NS_24const_host_device_scalarIT0_EES1_PKS1_PKT1_SA_S7_PKT3_PKT4_S5_PT5_21rocsparse_index_base_b.private_seg_size, 0
	.set _ZN9rocsparseL20bsrxmvn_17_32_kernelILj21EiiiaaiEEvT2_20rocsparse_direction_NS_24const_host_device_scalarIT0_EES1_PKS1_PKT1_SA_S7_PKT3_PKT4_S5_PT5_21rocsparse_index_base_b.uses_vcc, 1
	.set _ZN9rocsparseL20bsrxmvn_17_32_kernelILj21EiiiaaiEEvT2_20rocsparse_direction_NS_24const_host_device_scalarIT0_EES1_PKS1_PKT1_SA_S7_PKT3_PKT4_S5_PT5_21rocsparse_index_base_b.uses_flat_scratch, 0
	.set _ZN9rocsparseL20bsrxmvn_17_32_kernelILj21EiiiaaiEEvT2_20rocsparse_direction_NS_24const_host_device_scalarIT0_EES1_PKS1_PKT1_SA_S7_PKT3_PKT4_S5_PT5_21rocsparse_index_base_b.has_dyn_sized_stack, 0
	.set _ZN9rocsparseL20bsrxmvn_17_32_kernelILj21EiiiaaiEEvT2_20rocsparse_direction_NS_24const_host_device_scalarIT0_EES1_PKS1_PKT1_SA_S7_PKT3_PKT4_S5_PT5_21rocsparse_index_base_b.has_recursion, 0
	.set _ZN9rocsparseL20bsrxmvn_17_32_kernelILj21EiiiaaiEEvT2_20rocsparse_direction_NS_24const_host_device_scalarIT0_EES1_PKS1_PKT1_SA_S7_PKT3_PKT4_S5_PT5_21rocsparse_index_base_b.has_indirect_call, 0
	.section	.AMDGPU.csdata,"",@progbits
; Kernel info:
; codeLenInByte = 1288
; TotalNumSgprs: 24
; NumVgprs: 11
; ScratchSize: 0
; MemoryBound: 0
; FloatMode: 240
; IeeeMode: 1
; LDSByteSize: 1764 bytes/workgroup (compile time only)
; SGPRBlocks: 2
; VGPRBlocks: 2
; NumSGPRsForWavesPerEU: 24
; NumVGPRsForWavesPerEU: 11
; Occupancy: 10
; WaveLimiterHint : 1
; COMPUTE_PGM_RSRC2:SCRATCH_EN: 0
; COMPUTE_PGM_RSRC2:USER_SGPR: 6
; COMPUTE_PGM_RSRC2:TRAP_HANDLER: 0
; COMPUTE_PGM_RSRC2:TGID_X_EN: 1
; COMPUTE_PGM_RSRC2:TGID_Y_EN: 0
; COMPUTE_PGM_RSRC2:TGID_Z_EN: 0
; COMPUTE_PGM_RSRC2:TIDIG_COMP_CNT: 0
	.section	.text._ZN9rocsparseL20bsrxmvn_17_32_kernelILj22EiiiaaiEEvT2_20rocsparse_direction_NS_24const_host_device_scalarIT0_EES1_PKS1_PKT1_SA_S7_PKT3_PKT4_S5_PT5_21rocsparse_index_base_b,"axG",@progbits,_ZN9rocsparseL20bsrxmvn_17_32_kernelILj22EiiiaaiEEvT2_20rocsparse_direction_NS_24const_host_device_scalarIT0_EES1_PKS1_PKT1_SA_S7_PKT3_PKT4_S5_PT5_21rocsparse_index_base_b,comdat
	.globl	_ZN9rocsparseL20bsrxmvn_17_32_kernelILj22EiiiaaiEEvT2_20rocsparse_direction_NS_24const_host_device_scalarIT0_EES1_PKS1_PKT1_SA_S7_PKT3_PKT4_S5_PT5_21rocsparse_index_base_b ; -- Begin function _ZN9rocsparseL20bsrxmvn_17_32_kernelILj22EiiiaaiEEvT2_20rocsparse_direction_NS_24const_host_device_scalarIT0_EES1_PKS1_PKT1_SA_S7_PKT3_PKT4_S5_PT5_21rocsparse_index_base_b
	.p2align	8
	.type	_ZN9rocsparseL20bsrxmvn_17_32_kernelILj22EiiiaaiEEvT2_20rocsparse_direction_NS_24const_host_device_scalarIT0_EES1_PKS1_PKT1_SA_S7_PKT3_PKT4_S5_PT5_21rocsparse_index_base_b,@function
_ZN9rocsparseL20bsrxmvn_17_32_kernelILj22EiiiaaiEEvT2_20rocsparse_direction_NS_24const_host_device_scalarIT0_EES1_PKS1_PKT1_SA_S7_PKT3_PKT4_S5_PT5_21rocsparse_index_base_b: ; @_ZN9rocsparseL20bsrxmvn_17_32_kernelILj22EiiiaaiEEvT2_20rocsparse_direction_NS_24const_host_device_scalarIT0_EES1_PKS1_PKT1_SA_S7_PKT3_PKT4_S5_PT5_21rocsparse_index_base_b
; %bb.0:
	s_load_dwordx2 s[10:11], s[4:5], 0x58
	s_load_dwordx2 s[8:9], s[4:5], 0x8
	s_mov_b64 s[12:13], -1
	s_waitcnt lgkmcnt(0)
	s_bitcmp1_b32 s11, 0
	s_cselect_b64 s[0:1], -1, 0
	s_xor_b64 s[2:3], s[0:1], -1
	s_and_b64 vcc, exec, s[2:3]
                                        ; implicit-def: $sgpr11
	s_cbranch_vccnz .LBB197_4
; %bb.1:
	s_load_dwordx2 s[0:1], s[4:5], 0x48
	s_andn2_b64 vcc, exec, s[12:13]
	s_cbranch_vccz .LBB197_5
.LBB197_2:
	s_and_b64 vcc, exec, s[2:3]
	s_cbranch_vccz .LBB197_6
.LBB197_3:
	s_waitcnt lgkmcnt(0)
	s_load_dword s16, s[0:1], 0x0
	s_cbranch_execz .LBB197_7
	s_branch .LBB197_8
.LBB197_4:
	s_load_dword s11, s[8:9], 0x0
	s_load_dwordx2 s[0:1], s[4:5], 0x48
	s_cbranch_execnz .LBB197_2
.LBB197_5:
	s_waitcnt lgkmcnt(0)
	s_mov_b32 s11, s8
	s_and_b64 vcc, exec, s[2:3]
	s_cbranch_vccnz .LBB197_3
.LBB197_6:
                                        ; implicit-def: $sgpr16
.LBB197_7:
	s_waitcnt lgkmcnt(0)
	s_mov_b32 s16, s0
.LBB197_8:
	s_waitcnt lgkmcnt(0)
	s_cmp_lg_u32 s11, 0
	s_cselect_b64 s[0:1], -1, 0
	s_cmp_lg_u32 s16, 1
	s_cselect_b64 s[2:3], -1, 0
	s_or_b64 s[0:1], s[0:1], s[2:3]
	s_andn2_b64 vcc, exec, s[0:1]
	s_cbranch_vccnz .LBB197_44
; %bb.9:
	s_load_dwordx4 s[0:3], s[4:5], 0x18
	s_load_dwordx2 s[14:15], s[4:5], 0x28
	s_waitcnt lgkmcnt(0)
	s_cmp_eq_u64 s[0:1], 0
	s_cbranch_scc1 .LBB197_11
; %bb.10:
	s_ashr_i32 s7, s6, 31
	s_lshl_b64 s[6:7], s[6:7], 2
	s_add_u32 s0, s0, s6
	s_addc_u32 s1, s1, s7
	s_load_dword s0, s[0:1], 0x0
	s_waitcnt lgkmcnt(0)
	s_sub_i32 s6, s0, s10
.LBB197_11:
	s_load_dword s0, s[4:5], 0x4
	s_load_dwordx2 s[8:9], s[4:5], 0x50
	v_mul_u32_u24_e32 v1, 0xba3, v0
	v_mov_b32_e32 v2, 22
	v_mul_lo_u16_sdwa v3, v1, v2 dst_sel:DWORD dst_unused:UNUSED_PAD src0_sel:WORD_1 src1_sel:DWORD
	s_waitcnt lgkmcnt(0)
	s_cmp_eq_u32 s0, 1
	s_cselect_b64 vcc, -1, 0
	s_cmp_lg_u32 s0, 1
	s_cselect_b64 s[12:13], -1, 0
	s_ashr_i32 s7, s6, 31
	s_lshl_b64 s[0:1], s[6:7], 2
	s_add_u32 s2, s2, s0
	s_addc_u32 s3, s3, s1
	s_load_dword s7, s[2:3], 0x0
	s_add_u32 s2, s2, 4
	s_addc_u32 s3, s3, 0
	s_add_u32 s0, s14, s0
	s_addc_u32 s1, s15, s1
	s_cmp_eq_u64 s[14:15], 0
	s_cselect_b32 s1, s3, s1
	s_cselect_b32 s0, s2, s0
	s_load_dword s17, s[0:1], 0x0
	v_sub_u16_e32 v7, v0, v3
	v_mov_b32_e32 v6, 0
	s_waitcnt lgkmcnt(0)
	s_cmp_ge_i32 s7, s17
	s_cbranch_scc1 .LBB197_16
; %bb.12:
	s_load_dwordx4 s[0:3], s[4:5], 0x30
	s_load_dwordx2 s[14:15], s[4:5], 0x40
	v_mov_b32_e32 v3, 12
	v_mul_lo_u16_sdwa v3, v1, v3 dst_sel:DWORD dst_unused:UNUSED_PAD src0_sel:WORD_1 src1_sel:DWORD
	v_mul_lo_u16_sdwa v2, v3, v2 dst_sel:DWORD dst_unused:UNUSED_PAD src0_sel:BYTE_1 src1_sel:DWORD
	s_sub_i32 s5, s7, s10
	s_sub_i32 s4, s17, s10
	v_sub_u16_sdwa v1, v1, v2 dst_sel:DWORD dst_unused:UNUSED_PAD src0_sel:WORD_1 src1_sel:DWORD
	s_mul_i32 s17, s5, 0x1e4
	v_and_b32_e32 v1, 0xff, v1
	s_mul_hi_i32 s7, s5, 0x1e4
	s_waitcnt lgkmcnt(0)
	s_add_u32 s2, s2, s17
	v_cndmask_b32_e32 v1, v7, v1, vcc
	s_addc_u32 s3, s3, s7
	v_add_co_u32_e32 v2, vcc, s2, v0
	s_movk_i32 s2, 0x10f
	v_mov_b32_e32 v3, s3
	v_mul_u32_u24_sdwa v4, v0, s2 dst_sel:DWORD dst_unused:UNUSED_PAD src0_sel:WORD_0 src1_sel:DWORD
	v_mov_b32_e32 v6, 0
	v_addc_co_u32_e32 v3, vcc, 0, v3, vcc
	v_lshrrev_b32_e32 v8, 17, v4
	s_branch .LBB197_14
.LBB197_13:                             ;   in Loop: Header=BB197_14 Depth=1
	s_or_b64 exec, exec, s[2:3]
	s_add_i32 s5, s5, 1
	s_cmp_lt_i32 s5, s4
	s_cbranch_scc0 .LBB197_16
.LBB197_14:                             ; =>This Inner Loop Header: Depth=1
	v_add_u32_e32 v4, s5, v8
	v_cmp_gt_i32_e32 vcc, s4, v4
	s_and_saveexec_b64 s[2:3], vcc
	s_cbranch_execz .LBB197_13
; %bb.15:                               ;   in Loop: Header=BB197_14 Depth=1
	v_ashrrev_i32_e32 v5, 31, v4
	v_lshlrev_b64 v[4:5], 2, v[4:5]
	v_mov_b32_e32 v9, s1
	v_add_co_u32_e32 v4, vcc, s0, v4
	v_addc_co_u32_e32 v5, vcc, v9, v5, vcc
	global_load_dword v4, v[4:5], off
	s_waitcnt vmcnt(0)
	v_subrev_u32_e32 v4, s10, v4
	v_mad_u64_u32 v[4:5], s[18:19], v4, 22, v[1:2]
	v_mov_b32_e32 v5, s15
	global_load_sbyte v9, v[2:3], off
	v_ashrrev_i32_e32 v10, 31, v4
	v_add_co_u32_e32 v4, vcc, s14, v4
	v_addc_co_u32_e32 v5, vcc, v5, v10, vcc
	global_load_sbyte v4, v[4:5], off
	v_add_co_u32_e32 v2, vcc, 0x1e4, v2
	v_addc_co_u32_e32 v3, vcc, 0, v3, vcc
	s_waitcnt vmcnt(0)
	v_mad_i32_i24 v6, v4, v9, v6
	s_branch .LBB197_13
.LBB197_16:
	v_lshlrev_b32_e32 v1, 2, v0
	s_and_b64 vcc, exec, s[12:13]
	ds_write_b32 v1, v6
	s_waitcnt lgkmcnt(0)
	s_barrier
	s_cbranch_vccz .LBB197_28
; %bb.17:
	v_cmp_gt_u16_e32 vcc, 6, v7
	s_and_saveexec_b64 s[0:1], vcc
	s_cbranch_execz .LBB197_19
; %bb.18:
	ds_read2_b32 v[2:3], v1 offset1:16
	s_waitcnt lgkmcnt(0)
	v_add_u32_e32 v2, v2, v3
	ds_write_b32 v1, v2
.LBB197_19:
	s_or_b64 exec, exec, s[0:1]
	v_cmp_gt_u16_e32 vcc, 8, v7
	s_waitcnt lgkmcnt(0)
	s_barrier
	s_and_saveexec_b64 s[0:1], vcc
	s_cbranch_execz .LBB197_21
; %bb.20:
	ds_read2_b32 v[2:3], v1 offset1:8
	s_waitcnt lgkmcnt(0)
	v_add_u32_e32 v2, v2, v3
	ds_write_b32 v1, v2
.LBB197_21:
	s_or_b64 exec, exec, s[0:1]
	v_cmp_gt_u16_e32 vcc, 4, v7
	s_waitcnt lgkmcnt(0)
	s_barrier
	;; [unrolled: 12-line block ×3, first 2 shown]
	s_and_saveexec_b64 s[0:1], vcc
	s_cbranch_execz .LBB197_25
; %bb.24:
	ds_read2_b32 v[2:3], v1 offset1:2
	s_waitcnt lgkmcnt(0)
	v_add_u32_e32 v2, v2, v3
	ds_write_b32 v1, v2
.LBB197_25:
	s_or_b64 exec, exec, s[0:1]
	v_cmp_gt_u32_e32 vcc, 22, v0
	v_mov_b32_e32 v2, v6
	s_waitcnt lgkmcnt(0)
	s_barrier
	s_and_saveexec_b64 s[0:1], vcc
	s_cbranch_execz .LBB197_27
; %bb.26:
	s_movk_i32 s2, 0x54
	v_mad_u32_u24 v2, v0, s2, v1
	ds_read_b64 v[2:3], v2
	s_waitcnt lgkmcnt(0)
	v_add_u32_e32 v2, v3, v2
.LBB197_27:
	s_or_b64 exec, exec, s[0:1]
	s_branch .LBB197_40
.LBB197_28:
                                        ; implicit-def: $vgpr2
	s_cbranch_execz .LBB197_40
; %bb.29:
	s_movk_i32 s0, 0x84
	v_cmp_gt_u32_e32 vcc, s0, v0
	s_and_saveexec_b64 s[0:1], vcc
	s_cbranch_execz .LBB197_31
; %bb.30:
	ds_read_b32 v2, v1 offset:1408
	ds_read_b32 v3, v1
	s_waitcnt lgkmcnt(0)
	v_add_u32_e32 v2, v3, v2
	ds_write_b32 v1, v2
.LBB197_31:
	s_or_b64 exec, exec, s[0:1]
	s_movk_i32 s0, 0xb0
	v_cmp_gt_u32_e32 vcc, s0, v0
	s_waitcnt lgkmcnt(0)
	s_barrier
	s_and_saveexec_b64 s[0:1], vcc
	s_cbranch_execz .LBB197_33
; %bb.32:
	ds_read2_b32 v[2:3], v1 offset1:176
	s_waitcnt lgkmcnt(0)
	v_add_u32_e32 v2, v2, v3
	ds_write_b32 v1, v2
.LBB197_33:
	s_or_b64 exec, exec, s[0:1]
	s_movk_i32 s0, 0x58
	v_cmp_gt_u32_e32 vcc, s0, v0
	s_waitcnt lgkmcnt(0)
	s_barrier
	s_and_saveexec_b64 s[0:1], vcc
	s_cbranch_execz .LBB197_35
; %bb.34:
	ds_read2_b32 v[2:3], v1 offset1:88
	s_waitcnt lgkmcnt(0)
	v_add_u32_e32 v2, v2, v3
	ds_write_b32 v1, v2
.LBB197_35:
	s_or_b64 exec, exec, s[0:1]
	v_cmp_gt_u32_e32 vcc, 44, v0
	s_waitcnt lgkmcnt(0)
	s_barrier
	s_and_saveexec_b64 s[0:1], vcc
	s_cbranch_execz .LBB197_37
; %bb.36:
	ds_read2_b32 v[2:3], v1 offset1:44
	s_waitcnt lgkmcnt(0)
	v_add_u32_e32 v2, v2, v3
	ds_write_b32 v1, v2
.LBB197_37:
	s_or_b64 exec, exec, s[0:1]
	v_cmp_gt_u32_e32 vcc, 22, v0
	s_waitcnt lgkmcnt(0)
	s_and_saveexec_b64 s[0:1], vcc
	s_cbranch_execz .LBB197_39
; %bb.38:
	ds_read2_b32 v[1:2], v1 offset1:22
	s_waitcnt lgkmcnt(0)
	v_add_u32_e32 v6, v2, v1
.LBB197_39:
	s_or_b64 exec, exec, s[0:1]
	v_mov_b32_e32 v2, v6
.LBB197_40:
	v_cmp_gt_u32_e32 vcc, 22, v0
	s_and_saveexec_b64 s[0:1], vcc
	s_cbranch_execz .LBB197_44
; %bb.41:
	v_mul_lo_u32 v1, v2, s11
	s_cmp_eq_u32 s16, 0
	s_cbranch_scc1 .LBB197_45
; %bb.42:
	v_mad_u64_u32 v[2:3], s[0:1], s6, 22, v[0:1]
	v_mov_b32_e32 v3, 0
	v_mov_b32_e32 v4, s9
	v_lshlrev_b64 v[2:3], 2, v[2:3]
	v_add_co_u32_e32 v2, vcc, s8, v2
	v_addc_co_u32_e32 v3, vcc, v4, v3, vcc
	global_load_dword v4, v[2:3], off
	s_waitcnt vmcnt(0)
	v_mad_u64_u32 v[4:5], s[0:1], v4, s16, v[1:2]
	global_store_dword v[2:3], v4, off
	s_cbranch_execnz .LBB197_44
.LBB197_43:
	v_mad_u64_u32 v[2:3], s[0:1], s6, 22, v[0:1]
	v_mov_b32_e32 v3, 0
	v_mov_b32_e32 v0, s9
	v_lshlrev_b64 v[2:3], 2, v[2:3]
	v_add_co_u32_e32 v2, vcc, s8, v2
	v_addc_co_u32_e32 v3, vcc, v0, v3, vcc
	global_store_dword v[2:3], v1, off
.LBB197_44:
	s_endpgm
.LBB197_45:
	s_branch .LBB197_43
	.section	.rodata,"a",@progbits
	.p2align	6, 0x0
	.amdhsa_kernel _ZN9rocsparseL20bsrxmvn_17_32_kernelILj22EiiiaaiEEvT2_20rocsparse_direction_NS_24const_host_device_scalarIT0_EES1_PKS1_PKT1_SA_S7_PKT3_PKT4_S5_PT5_21rocsparse_index_base_b
		.amdhsa_group_segment_fixed_size 1936
		.amdhsa_private_segment_fixed_size 0
		.amdhsa_kernarg_size 96
		.amdhsa_user_sgpr_count 6
		.amdhsa_user_sgpr_private_segment_buffer 1
		.amdhsa_user_sgpr_dispatch_ptr 0
		.amdhsa_user_sgpr_queue_ptr 0
		.amdhsa_user_sgpr_kernarg_segment_ptr 1
		.amdhsa_user_sgpr_dispatch_id 0
		.amdhsa_user_sgpr_flat_scratch_init 0
		.amdhsa_user_sgpr_private_segment_size 0
		.amdhsa_uses_dynamic_stack 0
		.amdhsa_system_sgpr_private_segment_wavefront_offset 0
		.amdhsa_system_sgpr_workgroup_id_x 1
		.amdhsa_system_sgpr_workgroup_id_y 0
		.amdhsa_system_sgpr_workgroup_id_z 0
		.amdhsa_system_sgpr_workgroup_info 0
		.amdhsa_system_vgpr_workitem_id 0
		.amdhsa_next_free_vgpr 11
		.amdhsa_next_free_sgpr 20
		.amdhsa_reserve_vcc 1
		.amdhsa_reserve_flat_scratch 0
		.amdhsa_float_round_mode_32 0
		.amdhsa_float_round_mode_16_64 0
		.amdhsa_float_denorm_mode_32 3
		.amdhsa_float_denorm_mode_16_64 3
		.amdhsa_dx10_clamp 1
		.amdhsa_ieee_mode 1
		.amdhsa_fp16_overflow 0
		.amdhsa_exception_fp_ieee_invalid_op 0
		.amdhsa_exception_fp_denorm_src 0
		.amdhsa_exception_fp_ieee_div_zero 0
		.amdhsa_exception_fp_ieee_overflow 0
		.amdhsa_exception_fp_ieee_underflow 0
		.amdhsa_exception_fp_ieee_inexact 0
		.amdhsa_exception_int_div_zero 0
	.end_amdhsa_kernel
	.section	.text._ZN9rocsparseL20bsrxmvn_17_32_kernelILj22EiiiaaiEEvT2_20rocsparse_direction_NS_24const_host_device_scalarIT0_EES1_PKS1_PKT1_SA_S7_PKT3_PKT4_S5_PT5_21rocsparse_index_base_b,"axG",@progbits,_ZN9rocsparseL20bsrxmvn_17_32_kernelILj22EiiiaaiEEvT2_20rocsparse_direction_NS_24const_host_device_scalarIT0_EES1_PKS1_PKT1_SA_S7_PKT3_PKT4_S5_PT5_21rocsparse_index_base_b,comdat
.Lfunc_end197:
	.size	_ZN9rocsparseL20bsrxmvn_17_32_kernelILj22EiiiaaiEEvT2_20rocsparse_direction_NS_24const_host_device_scalarIT0_EES1_PKS1_PKT1_SA_S7_PKT3_PKT4_S5_PT5_21rocsparse_index_base_b, .Lfunc_end197-_ZN9rocsparseL20bsrxmvn_17_32_kernelILj22EiiiaaiEEvT2_20rocsparse_direction_NS_24const_host_device_scalarIT0_EES1_PKS1_PKT1_SA_S7_PKT3_PKT4_S5_PT5_21rocsparse_index_base_b
                                        ; -- End function
	.set _ZN9rocsparseL20bsrxmvn_17_32_kernelILj22EiiiaaiEEvT2_20rocsparse_direction_NS_24const_host_device_scalarIT0_EES1_PKS1_PKT1_SA_S7_PKT3_PKT4_S5_PT5_21rocsparse_index_base_b.num_vgpr, 11
	.set _ZN9rocsparseL20bsrxmvn_17_32_kernelILj22EiiiaaiEEvT2_20rocsparse_direction_NS_24const_host_device_scalarIT0_EES1_PKS1_PKT1_SA_S7_PKT3_PKT4_S5_PT5_21rocsparse_index_base_b.num_agpr, 0
	.set _ZN9rocsparseL20bsrxmvn_17_32_kernelILj22EiiiaaiEEvT2_20rocsparse_direction_NS_24const_host_device_scalarIT0_EES1_PKS1_PKT1_SA_S7_PKT3_PKT4_S5_PT5_21rocsparse_index_base_b.numbered_sgpr, 20
	.set _ZN9rocsparseL20bsrxmvn_17_32_kernelILj22EiiiaaiEEvT2_20rocsparse_direction_NS_24const_host_device_scalarIT0_EES1_PKS1_PKT1_SA_S7_PKT3_PKT4_S5_PT5_21rocsparse_index_base_b.num_named_barrier, 0
	.set _ZN9rocsparseL20bsrxmvn_17_32_kernelILj22EiiiaaiEEvT2_20rocsparse_direction_NS_24const_host_device_scalarIT0_EES1_PKS1_PKT1_SA_S7_PKT3_PKT4_S5_PT5_21rocsparse_index_base_b.private_seg_size, 0
	.set _ZN9rocsparseL20bsrxmvn_17_32_kernelILj22EiiiaaiEEvT2_20rocsparse_direction_NS_24const_host_device_scalarIT0_EES1_PKS1_PKT1_SA_S7_PKT3_PKT4_S5_PT5_21rocsparse_index_base_b.uses_vcc, 1
	.set _ZN9rocsparseL20bsrxmvn_17_32_kernelILj22EiiiaaiEEvT2_20rocsparse_direction_NS_24const_host_device_scalarIT0_EES1_PKS1_PKT1_SA_S7_PKT3_PKT4_S5_PT5_21rocsparse_index_base_b.uses_flat_scratch, 0
	.set _ZN9rocsparseL20bsrxmvn_17_32_kernelILj22EiiiaaiEEvT2_20rocsparse_direction_NS_24const_host_device_scalarIT0_EES1_PKS1_PKT1_SA_S7_PKT3_PKT4_S5_PT5_21rocsparse_index_base_b.has_dyn_sized_stack, 0
	.set _ZN9rocsparseL20bsrxmvn_17_32_kernelILj22EiiiaaiEEvT2_20rocsparse_direction_NS_24const_host_device_scalarIT0_EES1_PKS1_PKT1_SA_S7_PKT3_PKT4_S5_PT5_21rocsparse_index_base_b.has_recursion, 0
	.set _ZN9rocsparseL20bsrxmvn_17_32_kernelILj22EiiiaaiEEvT2_20rocsparse_direction_NS_24const_host_device_scalarIT0_EES1_PKS1_PKT1_SA_S7_PKT3_PKT4_S5_PT5_21rocsparse_index_base_b.has_indirect_call, 0
	.section	.AMDGPU.csdata,"",@progbits
; Kernel info:
; codeLenInByte = 1288
; TotalNumSgprs: 24
; NumVgprs: 11
; ScratchSize: 0
; MemoryBound: 0
; FloatMode: 240
; IeeeMode: 1
; LDSByteSize: 1936 bytes/workgroup (compile time only)
; SGPRBlocks: 2
; VGPRBlocks: 2
; NumSGPRsForWavesPerEU: 24
; NumVGPRsForWavesPerEU: 11
; Occupancy: 10
; WaveLimiterHint : 1
; COMPUTE_PGM_RSRC2:SCRATCH_EN: 0
; COMPUTE_PGM_RSRC2:USER_SGPR: 6
; COMPUTE_PGM_RSRC2:TRAP_HANDLER: 0
; COMPUTE_PGM_RSRC2:TGID_X_EN: 1
; COMPUTE_PGM_RSRC2:TGID_Y_EN: 0
; COMPUTE_PGM_RSRC2:TGID_Z_EN: 0
; COMPUTE_PGM_RSRC2:TIDIG_COMP_CNT: 0
	.section	.text._ZN9rocsparseL20bsrxmvn_17_32_kernelILj23EiiiaaiEEvT2_20rocsparse_direction_NS_24const_host_device_scalarIT0_EES1_PKS1_PKT1_SA_S7_PKT3_PKT4_S5_PT5_21rocsparse_index_base_b,"axG",@progbits,_ZN9rocsparseL20bsrxmvn_17_32_kernelILj23EiiiaaiEEvT2_20rocsparse_direction_NS_24const_host_device_scalarIT0_EES1_PKS1_PKT1_SA_S7_PKT3_PKT4_S5_PT5_21rocsparse_index_base_b,comdat
	.globl	_ZN9rocsparseL20bsrxmvn_17_32_kernelILj23EiiiaaiEEvT2_20rocsparse_direction_NS_24const_host_device_scalarIT0_EES1_PKS1_PKT1_SA_S7_PKT3_PKT4_S5_PT5_21rocsparse_index_base_b ; -- Begin function _ZN9rocsparseL20bsrxmvn_17_32_kernelILj23EiiiaaiEEvT2_20rocsparse_direction_NS_24const_host_device_scalarIT0_EES1_PKS1_PKT1_SA_S7_PKT3_PKT4_S5_PT5_21rocsparse_index_base_b
	.p2align	8
	.type	_ZN9rocsparseL20bsrxmvn_17_32_kernelILj23EiiiaaiEEvT2_20rocsparse_direction_NS_24const_host_device_scalarIT0_EES1_PKS1_PKT1_SA_S7_PKT3_PKT4_S5_PT5_21rocsparse_index_base_b,@function
_ZN9rocsparseL20bsrxmvn_17_32_kernelILj23EiiiaaiEEvT2_20rocsparse_direction_NS_24const_host_device_scalarIT0_EES1_PKS1_PKT1_SA_S7_PKT3_PKT4_S5_PT5_21rocsparse_index_base_b: ; @_ZN9rocsparseL20bsrxmvn_17_32_kernelILj23EiiiaaiEEvT2_20rocsparse_direction_NS_24const_host_device_scalarIT0_EES1_PKS1_PKT1_SA_S7_PKT3_PKT4_S5_PT5_21rocsparse_index_base_b
; %bb.0:
	s_load_dwordx2 s[14:15], s[4:5], 0x58
	s_load_dwordx2 s[8:9], s[4:5], 0x8
	s_mov_b64 s[10:11], -1
	s_waitcnt lgkmcnt(0)
	s_bitcmp1_b32 s15, 0
	s_cselect_b64 s[0:1], -1, 0
	s_xor_b64 s[2:3], s[0:1], -1
	s_and_b64 vcc, exec, s[2:3]
                                        ; implicit-def: $sgpr15
	s_cbranch_vccnz .LBB198_4
; %bb.1:
	s_load_dwordx2 s[0:1], s[4:5], 0x48
	s_andn2_b64 vcc, exec, s[10:11]
	s_cbranch_vccz .LBB198_5
.LBB198_2:
	s_and_b64 vcc, exec, s[2:3]
	s_cbranch_vccz .LBB198_6
.LBB198_3:
	s_waitcnt lgkmcnt(0)
	s_load_dword s18, s[0:1], 0x0
	s_cbranch_execz .LBB198_7
	s_branch .LBB198_8
.LBB198_4:
	s_load_dword s15, s[8:9], 0x0
	s_load_dwordx2 s[0:1], s[4:5], 0x48
	s_cbranch_execnz .LBB198_2
.LBB198_5:
	s_waitcnt lgkmcnt(0)
	s_mov_b32 s15, s8
	s_and_b64 vcc, exec, s[2:3]
	s_cbranch_vccnz .LBB198_3
.LBB198_6:
                                        ; implicit-def: $sgpr18
.LBB198_7:
	s_waitcnt lgkmcnt(0)
	s_mov_b32 s18, s0
.LBB198_8:
	s_waitcnt lgkmcnt(0)
	s_cmp_lg_u32 s15, 0
	s_cselect_b64 s[0:1], -1, 0
	s_cmp_lg_u32 s18, 1
	s_cselect_b64 s[2:3], -1, 0
	s_or_b64 s[0:1], s[0:1], s[2:3]
	s_andn2_b64 vcc, exec, s[0:1]
	s_cbranch_vccnz .LBB198_44
; %bb.9:
	s_load_dwordx4 s[0:3], s[4:5], 0x18
	s_load_dwordx2 s[8:9], s[4:5], 0x28
	s_waitcnt lgkmcnt(0)
	s_cmp_eq_u64 s[0:1], 0
	s_cbranch_scc1 .LBB198_11
; %bb.10:
	s_ashr_i32 s7, s6, 31
	s_lshl_b64 s[6:7], s[6:7], 2
	s_add_u32 s0, s0, s6
	s_addc_u32 s1, s1, s7
	s_load_dword s0, s[0:1], 0x0
	s_waitcnt lgkmcnt(0)
	s_sub_i32 s6, s0, s14
.LBB198_11:
	s_load_dword s0, s[4:5], 0x4
	s_load_dwordx2 s[12:13], s[4:5], 0x50
	v_mul_u32_u24_e32 v1, 0xb22, v0
	v_mov_b32_e32 v2, 23
	v_mul_lo_u16_sdwa v2, v1, v2 dst_sel:DWORD dst_unused:UNUSED_PAD src0_sel:WORD_1 src1_sel:DWORD
	s_waitcnt lgkmcnt(0)
	s_cmp_eq_u32 s0, 1
	s_cselect_b64 vcc, -1, 0
	s_cmp_lg_u32 s0, 1
	s_cselect_b64 s[16:17], -1, 0
	s_ashr_i32 s7, s6, 31
	s_lshl_b64 s[0:1], s[6:7], 2
	s_add_u32 s2, s2, s0
	s_addc_u32 s3, s3, s1
	s_load_dword s7, s[2:3], 0x0
	s_add_u32 s2, s2, 4
	s_addc_u32 s3, s3, 0
	s_add_u32 s0, s8, s0
	s_addc_u32 s1, s9, s1
	s_cmp_eq_u64 s[8:9], 0
	s_cselect_b32 s1, s3, s1
	s_cselect_b32 s0, s2, s0
	s_load_dword s0, s[0:1], 0x0
	v_sub_u16_e32 v7, v0, v2
	v_mov_b32_e32 v6, 0
	s_waitcnt lgkmcnt(0)
	s_cmp_ge_i32 s7, s0
	s_cbranch_scc1 .LBB198_16
; %bb.12:
	s_load_dwordx4 s[8:11], s[4:5], 0x30
	s_load_dwordx2 s[2:3], s[4:5], 0x40
	s_sub_i32 s4, s0, s14
	s_mov_b32 s0, 0xffff
	s_movk_i32 s1, 0x211
	v_and_b32_sdwa v1, s0, v1 dst_sel:DWORD dst_unused:UNUSED_PAD src0_sel:DWORD src1_sel:WORD_1
	v_subrev_u32_e32 v2, 23, v1
	v_cmp_gt_u32_e64 s[0:1], s1, v0
	s_sub_i32 s5, s7, s14
	v_cndmask_b32_e64 v1, v2, v1, s[0:1]
	s_mul_i32 s1, s5, 0x211
	s_mul_hi_i32 s0, s5, 0x211
	s_waitcnt lgkmcnt(0)
	s_add_u32 s1, s10, s1
	s_addc_u32 s0, s11, s0
	v_cndmask_b32_e32 v1, v7, v1, vcc
	v_mov_b32_e32 v3, s0
	v_add_co_u32_e32 v2, vcc, s1, v0
	v_addc_co_u32_e32 v3, vcc, 0, v3, vcc
	s_movk_i32 s0, 0x210
	v_cmp_lt_u32_e32 vcc, s0, v0
	v_mov_b32_e32 v6, 0
	v_cndmask_b32_e64 v8, 0, 1, vcc
	s_branch .LBB198_14
.LBB198_13:                             ;   in Loop: Header=BB198_14 Depth=1
	s_or_b64 exec, exec, s[0:1]
	s_add_i32 s5, s5, 1
	s_cmp_lt_i32 s5, s4
	s_cbranch_scc0 .LBB198_16
.LBB198_14:                             ; =>This Inner Loop Header: Depth=1
	v_add_u32_e32 v4, s5, v8
	v_cmp_gt_i32_e32 vcc, s4, v4
	s_and_saveexec_b64 s[0:1], vcc
	s_cbranch_execz .LBB198_13
; %bb.15:                               ;   in Loop: Header=BB198_14 Depth=1
	v_ashrrev_i32_e32 v5, 31, v4
	v_lshlrev_b64 v[4:5], 2, v[4:5]
	v_mov_b32_e32 v9, s9
	v_add_co_u32_e32 v4, vcc, s8, v4
	v_addc_co_u32_e32 v5, vcc, v9, v5, vcc
	global_load_dword v4, v[4:5], off
	s_waitcnt vmcnt(0)
	v_subrev_u32_e32 v4, s14, v4
	v_mad_u64_u32 v[4:5], s[10:11], v4, 23, v[1:2]
	v_mov_b32_e32 v5, s3
	global_load_sbyte v9, v[2:3], off
	v_ashrrev_i32_e32 v10, 31, v4
	v_add_co_u32_e32 v4, vcc, s2, v4
	v_addc_co_u32_e32 v5, vcc, v5, v10, vcc
	global_load_sbyte v4, v[4:5], off
	v_add_co_u32_e32 v2, vcc, 0x211, v2
	v_addc_co_u32_e32 v3, vcc, 0, v3, vcc
	s_waitcnt vmcnt(0)
	v_mad_i32_i24 v6, v4, v9, v6
	s_branch .LBB198_13
.LBB198_16:
	v_lshlrev_b32_e32 v1, 2, v0
	s_and_b64 vcc, exec, s[16:17]
	ds_write_b32 v1, v6
	s_waitcnt lgkmcnt(0)
	s_barrier
	s_cbranch_vccz .LBB198_28
; %bb.17:
	v_cmp_gt_u16_e32 vcc, 7, v7
	s_and_saveexec_b64 s[0:1], vcc
	s_cbranch_execz .LBB198_19
; %bb.18:
	ds_read2_b32 v[2:3], v1 offset1:16
	s_waitcnt lgkmcnt(0)
	v_add_u32_e32 v2, v2, v3
	ds_write_b32 v1, v2
.LBB198_19:
	s_or_b64 exec, exec, s[0:1]
	v_cmp_gt_u16_e32 vcc, 8, v7
	s_waitcnt lgkmcnt(0)
	s_barrier
	s_and_saveexec_b64 s[0:1], vcc
	s_cbranch_execz .LBB198_21
; %bb.20:
	ds_read2_b32 v[2:3], v1 offset1:8
	s_waitcnt lgkmcnt(0)
	v_add_u32_e32 v2, v2, v3
	ds_write_b32 v1, v2
.LBB198_21:
	s_or_b64 exec, exec, s[0:1]
	v_cmp_gt_u16_e32 vcc, 4, v7
	s_waitcnt lgkmcnt(0)
	s_barrier
	;; [unrolled: 12-line block ×3, first 2 shown]
	s_and_saveexec_b64 s[0:1], vcc
	s_cbranch_execz .LBB198_25
; %bb.24:
	ds_read2_b32 v[2:3], v1 offset1:2
	s_waitcnt lgkmcnt(0)
	v_add_u32_e32 v2, v2, v3
	ds_write_b32 v1, v2
.LBB198_25:
	s_or_b64 exec, exec, s[0:1]
	v_cmp_gt_u32_e32 vcc, 23, v0
	v_mov_b32_e32 v2, v6
	s_waitcnt lgkmcnt(0)
	s_barrier
	s_and_saveexec_b64 s[0:1], vcc
	s_cbranch_execz .LBB198_27
; %bb.26:
	s_movk_i32 s2, 0x58
	v_mad_u32_u24 v2, v0, s2, v1
	ds_read2_b32 v[2:3], v2 offset1:1
	s_waitcnt lgkmcnt(0)
	v_add_u32_e32 v2, v3, v2
.LBB198_27:
	s_or_b64 exec, exec, s[0:1]
	s_branch .LBB198_40
.LBB198_28:
                                        ; implicit-def: $vgpr2
	s_cbranch_execz .LBB198_40
; %bb.29:
	s_movk_i32 s0, 0xa1
	v_cmp_gt_u32_e32 vcc, s0, v0
	s_and_saveexec_b64 s[0:1], vcc
	s_cbranch_execz .LBB198_31
; %bb.30:
	ds_read_b32 v2, v1 offset:1472
	ds_read_b32 v3, v1
	s_waitcnt lgkmcnt(0)
	v_add_u32_e32 v2, v3, v2
	ds_write_b32 v1, v2
.LBB198_31:
	s_or_b64 exec, exec, s[0:1]
	s_movk_i32 s0, 0xb8
	v_cmp_gt_u32_e32 vcc, s0, v0
	s_waitcnt lgkmcnt(0)
	s_barrier
	s_and_saveexec_b64 s[0:1], vcc
	s_cbranch_execz .LBB198_33
; %bb.32:
	ds_read2_b32 v[2:3], v1 offset1:184
	s_waitcnt lgkmcnt(0)
	v_add_u32_e32 v2, v2, v3
	ds_write_b32 v1, v2
.LBB198_33:
	s_or_b64 exec, exec, s[0:1]
	s_movk_i32 s0, 0x5c
	v_cmp_gt_u32_e32 vcc, s0, v0
	s_waitcnt lgkmcnt(0)
	s_barrier
	s_and_saveexec_b64 s[0:1], vcc
	s_cbranch_execz .LBB198_35
; %bb.34:
	ds_read2_b32 v[2:3], v1 offset1:92
	s_waitcnt lgkmcnt(0)
	v_add_u32_e32 v2, v2, v3
	ds_write_b32 v1, v2
.LBB198_35:
	s_or_b64 exec, exec, s[0:1]
	v_cmp_gt_u32_e32 vcc, 46, v0
	s_waitcnt lgkmcnt(0)
	s_barrier
	s_and_saveexec_b64 s[0:1], vcc
	s_cbranch_execz .LBB198_37
; %bb.36:
	ds_read2_b32 v[2:3], v1 offset1:46
	s_waitcnt lgkmcnt(0)
	v_add_u32_e32 v2, v2, v3
	ds_write_b32 v1, v2
.LBB198_37:
	s_or_b64 exec, exec, s[0:1]
	v_cmp_gt_u32_e32 vcc, 23, v0
	s_waitcnt lgkmcnt(0)
	s_and_saveexec_b64 s[0:1], vcc
	s_cbranch_execz .LBB198_39
; %bb.38:
	ds_read2_b32 v[1:2], v1 offset1:23
	s_waitcnt lgkmcnt(0)
	v_add_u32_e32 v6, v2, v1
.LBB198_39:
	s_or_b64 exec, exec, s[0:1]
	v_mov_b32_e32 v2, v6
.LBB198_40:
	v_cmp_gt_u32_e32 vcc, 23, v0
	s_and_saveexec_b64 s[0:1], vcc
	s_cbranch_execz .LBB198_44
; %bb.41:
	v_mul_lo_u32 v1, v2, s15
	s_cmp_eq_u32 s18, 0
	s_cbranch_scc1 .LBB198_45
; %bb.42:
	v_mad_u64_u32 v[2:3], s[0:1], s6, 23, v[0:1]
	v_mov_b32_e32 v3, 0
	v_mov_b32_e32 v4, s13
	v_lshlrev_b64 v[2:3], 2, v[2:3]
	v_add_co_u32_e32 v2, vcc, s12, v2
	v_addc_co_u32_e32 v3, vcc, v4, v3, vcc
	global_load_dword v4, v[2:3], off
	s_waitcnt vmcnt(0)
	v_mad_u64_u32 v[4:5], s[0:1], v4, s18, v[1:2]
	global_store_dword v[2:3], v4, off
	s_cbranch_execnz .LBB198_44
.LBB198_43:
	v_mad_u64_u32 v[2:3], s[0:1], s6, 23, v[0:1]
	v_mov_b32_e32 v3, 0
	v_mov_b32_e32 v0, s13
	v_lshlrev_b64 v[2:3], 2, v[2:3]
	v_add_co_u32_e32 v2, vcc, s12, v2
	v_addc_co_u32_e32 v3, vcc, v0, v3, vcc
	global_store_dword v[2:3], v1, off
.LBB198_44:
	s_endpgm
.LBB198_45:
	s_branch .LBB198_43
	.section	.rodata,"a",@progbits
	.p2align	6, 0x0
	.amdhsa_kernel _ZN9rocsparseL20bsrxmvn_17_32_kernelILj23EiiiaaiEEvT2_20rocsparse_direction_NS_24const_host_device_scalarIT0_EES1_PKS1_PKT1_SA_S7_PKT3_PKT4_S5_PT5_21rocsparse_index_base_b
		.amdhsa_group_segment_fixed_size 2116
		.amdhsa_private_segment_fixed_size 0
		.amdhsa_kernarg_size 96
		.amdhsa_user_sgpr_count 6
		.amdhsa_user_sgpr_private_segment_buffer 1
		.amdhsa_user_sgpr_dispatch_ptr 0
		.amdhsa_user_sgpr_queue_ptr 0
		.amdhsa_user_sgpr_kernarg_segment_ptr 1
		.amdhsa_user_sgpr_dispatch_id 0
		.amdhsa_user_sgpr_flat_scratch_init 0
		.amdhsa_user_sgpr_private_segment_size 0
		.amdhsa_uses_dynamic_stack 0
		.amdhsa_system_sgpr_private_segment_wavefront_offset 0
		.amdhsa_system_sgpr_workgroup_id_x 1
		.amdhsa_system_sgpr_workgroup_id_y 0
		.amdhsa_system_sgpr_workgroup_id_z 0
		.amdhsa_system_sgpr_workgroup_info 0
		.amdhsa_system_vgpr_workitem_id 0
		.amdhsa_next_free_vgpr 25
		.amdhsa_next_free_sgpr 61
		.amdhsa_reserve_vcc 1
		.amdhsa_reserve_flat_scratch 0
		.amdhsa_float_round_mode_32 0
		.amdhsa_float_round_mode_16_64 0
		.amdhsa_float_denorm_mode_32 3
		.amdhsa_float_denorm_mode_16_64 3
		.amdhsa_dx10_clamp 1
		.amdhsa_ieee_mode 1
		.amdhsa_fp16_overflow 0
		.amdhsa_exception_fp_ieee_invalid_op 0
		.amdhsa_exception_fp_denorm_src 0
		.amdhsa_exception_fp_ieee_div_zero 0
		.amdhsa_exception_fp_ieee_overflow 0
		.amdhsa_exception_fp_ieee_underflow 0
		.amdhsa_exception_fp_ieee_inexact 0
		.amdhsa_exception_int_div_zero 0
	.end_amdhsa_kernel
	.section	.text._ZN9rocsparseL20bsrxmvn_17_32_kernelILj23EiiiaaiEEvT2_20rocsparse_direction_NS_24const_host_device_scalarIT0_EES1_PKS1_PKT1_SA_S7_PKT3_PKT4_S5_PT5_21rocsparse_index_base_b,"axG",@progbits,_ZN9rocsparseL20bsrxmvn_17_32_kernelILj23EiiiaaiEEvT2_20rocsparse_direction_NS_24const_host_device_scalarIT0_EES1_PKS1_PKT1_SA_S7_PKT3_PKT4_S5_PT5_21rocsparse_index_base_b,comdat
.Lfunc_end198:
	.size	_ZN9rocsparseL20bsrxmvn_17_32_kernelILj23EiiiaaiEEvT2_20rocsparse_direction_NS_24const_host_device_scalarIT0_EES1_PKS1_PKT1_SA_S7_PKT3_PKT4_S5_PT5_21rocsparse_index_base_b, .Lfunc_end198-_ZN9rocsparseL20bsrxmvn_17_32_kernelILj23EiiiaaiEEvT2_20rocsparse_direction_NS_24const_host_device_scalarIT0_EES1_PKS1_PKT1_SA_S7_PKT3_PKT4_S5_PT5_21rocsparse_index_base_b
                                        ; -- End function
	.set _ZN9rocsparseL20bsrxmvn_17_32_kernelILj23EiiiaaiEEvT2_20rocsparse_direction_NS_24const_host_device_scalarIT0_EES1_PKS1_PKT1_SA_S7_PKT3_PKT4_S5_PT5_21rocsparse_index_base_b.num_vgpr, 11
	.set _ZN9rocsparseL20bsrxmvn_17_32_kernelILj23EiiiaaiEEvT2_20rocsparse_direction_NS_24const_host_device_scalarIT0_EES1_PKS1_PKT1_SA_S7_PKT3_PKT4_S5_PT5_21rocsparse_index_base_b.num_agpr, 0
	.set _ZN9rocsparseL20bsrxmvn_17_32_kernelILj23EiiiaaiEEvT2_20rocsparse_direction_NS_24const_host_device_scalarIT0_EES1_PKS1_PKT1_SA_S7_PKT3_PKT4_S5_PT5_21rocsparse_index_base_b.numbered_sgpr, 19
	.set _ZN9rocsparseL20bsrxmvn_17_32_kernelILj23EiiiaaiEEvT2_20rocsparse_direction_NS_24const_host_device_scalarIT0_EES1_PKS1_PKT1_SA_S7_PKT3_PKT4_S5_PT5_21rocsparse_index_base_b.num_named_barrier, 0
	.set _ZN9rocsparseL20bsrxmvn_17_32_kernelILj23EiiiaaiEEvT2_20rocsparse_direction_NS_24const_host_device_scalarIT0_EES1_PKS1_PKT1_SA_S7_PKT3_PKT4_S5_PT5_21rocsparse_index_base_b.private_seg_size, 0
	.set _ZN9rocsparseL20bsrxmvn_17_32_kernelILj23EiiiaaiEEvT2_20rocsparse_direction_NS_24const_host_device_scalarIT0_EES1_PKS1_PKT1_SA_S7_PKT3_PKT4_S5_PT5_21rocsparse_index_base_b.uses_vcc, 1
	.set _ZN9rocsparseL20bsrxmvn_17_32_kernelILj23EiiiaaiEEvT2_20rocsparse_direction_NS_24const_host_device_scalarIT0_EES1_PKS1_PKT1_SA_S7_PKT3_PKT4_S5_PT5_21rocsparse_index_base_b.uses_flat_scratch, 0
	.set _ZN9rocsparseL20bsrxmvn_17_32_kernelILj23EiiiaaiEEvT2_20rocsparse_direction_NS_24const_host_device_scalarIT0_EES1_PKS1_PKT1_SA_S7_PKT3_PKT4_S5_PT5_21rocsparse_index_base_b.has_dyn_sized_stack, 0
	.set _ZN9rocsparseL20bsrxmvn_17_32_kernelILj23EiiiaaiEEvT2_20rocsparse_direction_NS_24const_host_device_scalarIT0_EES1_PKS1_PKT1_SA_S7_PKT3_PKT4_S5_PT5_21rocsparse_index_base_b.has_recursion, 0
	.set _ZN9rocsparseL20bsrxmvn_17_32_kernelILj23EiiiaaiEEvT2_20rocsparse_direction_NS_24const_host_device_scalarIT0_EES1_PKS1_PKT1_SA_S7_PKT3_PKT4_S5_PT5_21rocsparse_index_base_b.has_indirect_call, 0
	.section	.AMDGPU.csdata,"",@progbits
; Kernel info:
; codeLenInByte = 1292
; TotalNumSgprs: 23
; NumVgprs: 11
; ScratchSize: 0
; MemoryBound: 0
; FloatMode: 240
; IeeeMode: 1
; LDSByteSize: 2116 bytes/workgroup (compile time only)
; SGPRBlocks: 8
; VGPRBlocks: 6
; NumSGPRsForWavesPerEU: 65
; NumVGPRsForWavesPerEU: 25
; Occupancy: 9
; WaveLimiterHint : 1
; COMPUTE_PGM_RSRC2:SCRATCH_EN: 0
; COMPUTE_PGM_RSRC2:USER_SGPR: 6
; COMPUTE_PGM_RSRC2:TRAP_HANDLER: 0
; COMPUTE_PGM_RSRC2:TGID_X_EN: 1
; COMPUTE_PGM_RSRC2:TGID_Y_EN: 0
; COMPUTE_PGM_RSRC2:TGID_Z_EN: 0
; COMPUTE_PGM_RSRC2:TIDIG_COMP_CNT: 0
	.section	.text._ZN9rocsparseL20bsrxmvn_17_32_kernelILj24EiiiaaiEEvT2_20rocsparse_direction_NS_24const_host_device_scalarIT0_EES1_PKS1_PKT1_SA_S7_PKT3_PKT4_S5_PT5_21rocsparse_index_base_b,"axG",@progbits,_ZN9rocsparseL20bsrxmvn_17_32_kernelILj24EiiiaaiEEvT2_20rocsparse_direction_NS_24const_host_device_scalarIT0_EES1_PKS1_PKT1_SA_S7_PKT3_PKT4_S5_PT5_21rocsparse_index_base_b,comdat
	.globl	_ZN9rocsparseL20bsrxmvn_17_32_kernelILj24EiiiaaiEEvT2_20rocsparse_direction_NS_24const_host_device_scalarIT0_EES1_PKS1_PKT1_SA_S7_PKT3_PKT4_S5_PT5_21rocsparse_index_base_b ; -- Begin function _ZN9rocsparseL20bsrxmvn_17_32_kernelILj24EiiiaaiEEvT2_20rocsparse_direction_NS_24const_host_device_scalarIT0_EES1_PKS1_PKT1_SA_S7_PKT3_PKT4_S5_PT5_21rocsparse_index_base_b
	.p2align	8
	.type	_ZN9rocsparseL20bsrxmvn_17_32_kernelILj24EiiiaaiEEvT2_20rocsparse_direction_NS_24const_host_device_scalarIT0_EES1_PKS1_PKT1_SA_S7_PKT3_PKT4_S5_PT5_21rocsparse_index_base_b,@function
_ZN9rocsparseL20bsrxmvn_17_32_kernelILj24EiiiaaiEEvT2_20rocsparse_direction_NS_24const_host_device_scalarIT0_EES1_PKS1_PKT1_SA_S7_PKT3_PKT4_S5_PT5_21rocsparse_index_base_b: ; @_ZN9rocsparseL20bsrxmvn_17_32_kernelILj24EiiiaaiEEvT2_20rocsparse_direction_NS_24const_host_device_scalarIT0_EES1_PKS1_PKT1_SA_S7_PKT3_PKT4_S5_PT5_21rocsparse_index_base_b
; %bb.0:
	s_load_dwordx2 s[14:15], s[4:5], 0x58
	s_load_dwordx2 s[8:9], s[4:5], 0x8
	s_mov_b64 s[10:11], -1
	s_waitcnt lgkmcnt(0)
	s_bitcmp1_b32 s15, 0
	s_cselect_b64 s[0:1], -1, 0
	s_xor_b64 s[2:3], s[0:1], -1
	s_and_b64 vcc, exec, s[2:3]
                                        ; implicit-def: $sgpr15
	s_cbranch_vccnz .LBB199_4
; %bb.1:
	s_load_dwordx2 s[0:1], s[4:5], 0x48
	s_andn2_b64 vcc, exec, s[10:11]
	s_cbranch_vccz .LBB199_5
.LBB199_2:
	s_and_b64 vcc, exec, s[2:3]
	s_cbranch_vccz .LBB199_6
.LBB199_3:
	s_waitcnt lgkmcnt(0)
	s_load_dword s18, s[0:1], 0x0
	s_cbranch_execz .LBB199_7
	s_branch .LBB199_8
.LBB199_4:
	s_load_dword s15, s[8:9], 0x0
	s_load_dwordx2 s[0:1], s[4:5], 0x48
	s_cbranch_execnz .LBB199_2
.LBB199_5:
	s_waitcnt lgkmcnt(0)
	s_mov_b32 s15, s8
	s_and_b64 vcc, exec, s[2:3]
	s_cbranch_vccnz .LBB199_3
.LBB199_6:
                                        ; implicit-def: $sgpr18
.LBB199_7:
	s_waitcnt lgkmcnt(0)
	s_mov_b32 s18, s0
.LBB199_8:
	s_waitcnt lgkmcnt(0)
	s_cmp_lg_u32 s15, 0
	s_cselect_b64 s[0:1], -1, 0
	s_cmp_lg_u32 s18, 1
	s_cselect_b64 s[2:3], -1, 0
	s_or_b64 s[0:1], s[0:1], s[2:3]
	s_andn2_b64 vcc, exec, s[0:1]
	s_cbranch_vccnz .LBB199_44
; %bb.9:
	s_load_dwordx4 s[0:3], s[4:5], 0x18
	s_load_dwordx2 s[8:9], s[4:5], 0x28
	s_waitcnt lgkmcnt(0)
	s_cmp_eq_u64 s[0:1], 0
	s_cbranch_scc1 .LBB199_11
; %bb.10:
	s_ashr_i32 s7, s6, 31
	s_lshl_b64 s[6:7], s[6:7], 2
	s_add_u32 s0, s0, s6
	s_addc_u32 s1, s1, s7
	s_load_dword s0, s[0:1], 0x0
	s_waitcnt lgkmcnt(0)
	s_sub_i32 s6, s0, s14
.LBB199_11:
	s_load_dword s0, s[4:5], 0x4
	s_load_dwordx2 s[12:13], s[4:5], 0x50
	v_mul_u32_u24_e32 v1, 0xaab, v0
	v_mov_b32_e32 v2, 24
	v_mul_lo_u16_sdwa v2, v1, v2 dst_sel:DWORD dst_unused:UNUSED_PAD src0_sel:WORD_1 src1_sel:DWORD
	s_waitcnt lgkmcnt(0)
	s_cmp_eq_u32 s0, 1
	s_cselect_b64 vcc, -1, 0
	s_cmp_lg_u32 s0, 1
	s_cselect_b64 s[16:17], -1, 0
	s_ashr_i32 s7, s6, 31
	s_lshl_b64 s[0:1], s[6:7], 2
	s_add_u32 s2, s2, s0
	s_addc_u32 s3, s3, s1
	s_load_dword s7, s[2:3], 0x0
	s_add_u32 s2, s2, 4
	s_addc_u32 s3, s3, 0
	s_add_u32 s0, s8, s0
	s_addc_u32 s1, s9, s1
	s_cmp_eq_u64 s[8:9], 0
	s_cselect_b32 s1, s3, s1
	s_cselect_b32 s0, s2, s0
	s_load_dword s0, s[0:1], 0x0
	v_sub_u16_e32 v7, v0, v2
	v_mov_b32_e32 v6, 0
	s_waitcnt lgkmcnt(0)
	s_cmp_ge_i32 s7, s0
	s_cbranch_scc1 .LBB199_16
; %bb.12:
	s_load_dwordx4 s[8:11], s[4:5], 0x30
	s_load_dwordx2 s[2:3], s[4:5], 0x40
	s_sub_i32 s4, s0, s14
	s_mov_b32 s0, 0xffff
	s_movk_i32 s1, 0x240
	v_and_b32_sdwa v1, s0, v1 dst_sel:DWORD dst_unused:UNUSED_PAD src0_sel:DWORD src1_sel:WORD_1
	v_subrev_u32_e32 v2, 24, v1
	v_cmp_gt_u32_e64 s[0:1], s1, v0
	s_sub_i32 s5, s7, s14
	v_cndmask_b32_e64 v1, v2, v1, s[0:1]
	s_mul_i32 s1, s5, 0x240
	s_mul_hi_i32 s0, s5, 0x240
	s_waitcnt lgkmcnt(0)
	s_add_u32 s1, s10, s1
	s_addc_u32 s0, s11, s0
	v_cndmask_b32_e32 v1, v7, v1, vcc
	v_mov_b32_e32 v3, s0
	v_add_co_u32_e32 v2, vcc, s1, v0
	v_addc_co_u32_e32 v3, vcc, 0, v3, vcc
	s_movk_i32 s0, 0x23f
	v_cmp_lt_u32_e32 vcc, s0, v0
	v_mov_b32_e32 v6, 0
	v_cndmask_b32_e64 v8, 0, 1, vcc
	s_branch .LBB199_14
.LBB199_13:                             ;   in Loop: Header=BB199_14 Depth=1
	s_or_b64 exec, exec, s[0:1]
	s_add_i32 s5, s5, 1
	s_cmp_lt_i32 s5, s4
	s_cbranch_scc0 .LBB199_16
.LBB199_14:                             ; =>This Inner Loop Header: Depth=1
	v_add_u32_e32 v4, s5, v8
	v_cmp_gt_i32_e32 vcc, s4, v4
	s_and_saveexec_b64 s[0:1], vcc
	s_cbranch_execz .LBB199_13
; %bb.15:                               ;   in Loop: Header=BB199_14 Depth=1
	v_ashrrev_i32_e32 v5, 31, v4
	v_lshlrev_b64 v[4:5], 2, v[4:5]
	v_mov_b32_e32 v9, s9
	v_add_co_u32_e32 v4, vcc, s8, v4
	v_addc_co_u32_e32 v5, vcc, v9, v5, vcc
	global_load_dword v4, v[4:5], off
	s_waitcnt vmcnt(0)
	v_subrev_u32_e32 v4, s14, v4
	v_mad_u64_u32 v[4:5], s[10:11], v4, 24, v[1:2]
	v_mov_b32_e32 v5, s3
	global_load_sbyte v9, v[2:3], off
	v_ashrrev_i32_e32 v10, 31, v4
	v_add_co_u32_e32 v4, vcc, s2, v4
	v_addc_co_u32_e32 v5, vcc, v5, v10, vcc
	global_load_sbyte v4, v[4:5], off
	v_add_co_u32_e32 v2, vcc, 0x240, v2
	v_addc_co_u32_e32 v3, vcc, 0, v3, vcc
	s_waitcnt vmcnt(0)
	v_mad_i32_i24 v6, v4, v9, v6
	s_branch .LBB199_13
.LBB199_16:
	v_lshlrev_b32_e32 v1, 2, v0
	s_and_b64 vcc, exec, s[16:17]
	ds_write_b32 v1, v6
	s_waitcnt lgkmcnt(0)
	s_barrier
	s_cbranch_vccz .LBB199_28
; %bb.17:
	v_cmp_gt_u16_e32 vcc, 8, v7
	s_and_saveexec_b64 s[0:1], vcc
	s_cbranch_execz .LBB199_19
; %bb.18:
	ds_read2_b32 v[2:3], v1 offset1:16
	s_waitcnt lgkmcnt(0)
	v_add_u32_e32 v2, v2, v3
	ds_write_b32 v1, v2
.LBB199_19:
	s_or_b64 exec, exec, s[0:1]
	s_waitcnt lgkmcnt(0)
	s_barrier
	s_and_saveexec_b64 s[0:1], vcc
	s_cbranch_execz .LBB199_21
; %bb.20:
	ds_read2_b32 v[2:3], v1 offset1:8
	s_waitcnt lgkmcnt(0)
	v_add_u32_e32 v2, v2, v3
	ds_write_b32 v1, v2
.LBB199_21:
	s_or_b64 exec, exec, s[0:1]
	v_cmp_gt_u16_e32 vcc, 4, v7
	s_waitcnt lgkmcnt(0)
	s_barrier
	s_and_saveexec_b64 s[0:1], vcc
	s_cbranch_execz .LBB199_23
; %bb.22:
	ds_read2_b32 v[2:3], v1 offset1:4
	s_waitcnt lgkmcnt(0)
	v_add_u32_e32 v2, v2, v3
	ds_write_b32 v1, v2
.LBB199_23:
	s_or_b64 exec, exec, s[0:1]
	v_cmp_gt_u16_e32 vcc, 2, v7
	s_waitcnt lgkmcnt(0)
	s_barrier
	s_and_saveexec_b64 s[0:1], vcc
	s_cbranch_execz .LBB199_25
; %bb.24:
	ds_read2_b32 v[2:3], v1 offset1:2
	s_waitcnt lgkmcnt(0)
	v_add_u32_e32 v2, v2, v3
	ds_write_b32 v1, v2
.LBB199_25:
	s_or_b64 exec, exec, s[0:1]
	v_cmp_gt_u32_e32 vcc, 24, v0
	v_mov_b32_e32 v2, v6
	s_waitcnt lgkmcnt(0)
	s_barrier
	s_and_saveexec_b64 s[0:1], vcc
	s_cbranch_execz .LBB199_27
; %bb.26:
	s_movk_i32 s2, 0x5c
	v_mad_u32_u24 v2, v0, s2, v1
	ds_read_b64 v[2:3], v2
	s_waitcnt lgkmcnt(0)
	v_add_u32_e32 v2, v3, v2
.LBB199_27:
	s_or_b64 exec, exec, s[0:1]
	s_branch .LBB199_40
.LBB199_28:
                                        ; implicit-def: $vgpr2
	s_cbranch_execz .LBB199_40
; %bb.29:
	s_movk_i32 s0, 0xc0
	v_cmp_gt_u32_e32 vcc, s0, v0
	s_and_saveexec_b64 s[0:1], vcc
	s_cbranch_execz .LBB199_31
; %bb.30:
	ds_read2st64_b32 v[2:3], v1 offset1:6
	s_waitcnt lgkmcnt(0)
	v_add_u32_e32 v2, v2, v3
	ds_write_b32 v1, v2
.LBB199_31:
	s_or_b64 exec, exec, s[0:1]
	s_waitcnt lgkmcnt(0)
	s_barrier
	s_and_saveexec_b64 s[0:1], vcc
	s_cbranch_execz .LBB199_33
; %bb.32:
	ds_read2st64_b32 v[2:3], v1 offset1:3
	s_waitcnt lgkmcnt(0)
	v_add_u32_e32 v2, v2, v3
	ds_write_b32 v1, v2
.LBB199_33:
	s_or_b64 exec, exec, s[0:1]
	s_movk_i32 s0, 0x60
	v_cmp_gt_u32_e32 vcc, s0, v0
	s_waitcnt lgkmcnt(0)
	s_barrier
	s_and_saveexec_b64 s[0:1], vcc
	s_cbranch_execz .LBB199_35
; %bb.34:
	ds_read2_b32 v[2:3], v1 offset1:96
	s_waitcnt lgkmcnt(0)
	v_add_u32_e32 v2, v2, v3
	ds_write_b32 v1, v2
.LBB199_35:
	s_or_b64 exec, exec, s[0:1]
	v_cmp_gt_u32_e32 vcc, 48, v0
	s_waitcnt lgkmcnt(0)
	s_barrier
	s_and_saveexec_b64 s[0:1], vcc
	s_cbranch_execz .LBB199_37
; %bb.36:
	ds_read2_b32 v[2:3], v1 offset1:48
	s_waitcnt lgkmcnt(0)
	v_add_u32_e32 v2, v2, v3
	ds_write_b32 v1, v2
.LBB199_37:
	s_or_b64 exec, exec, s[0:1]
	v_cmp_gt_u32_e32 vcc, 24, v0
	s_waitcnt lgkmcnt(0)
	s_and_saveexec_b64 s[0:1], vcc
	s_cbranch_execz .LBB199_39
; %bb.38:
	ds_read2_b32 v[1:2], v1 offset1:24
	s_waitcnt lgkmcnt(0)
	v_add_u32_e32 v6, v2, v1
.LBB199_39:
	s_or_b64 exec, exec, s[0:1]
	v_mov_b32_e32 v2, v6
.LBB199_40:
	v_cmp_gt_u32_e32 vcc, 24, v0
	s_and_saveexec_b64 s[0:1], vcc
	s_cbranch_execz .LBB199_44
; %bb.41:
	v_mul_lo_u32 v1, v2, s15
	s_cmp_eq_u32 s18, 0
	s_cbranch_scc1 .LBB199_45
; %bb.42:
	v_mad_u64_u32 v[2:3], s[0:1], s6, 24, v[0:1]
	v_mov_b32_e32 v3, 0
	v_mov_b32_e32 v4, s13
	v_lshlrev_b64 v[2:3], 2, v[2:3]
	v_add_co_u32_e32 v2, vcc, s12, v2
	v_addc_co_u32_e32 v3, vcc, v4, v3, vcc
	global_load_dword v4, v[2:3], off
	s_waitcnt vmcnt(0)
	v_mad_u64_u32 v[4:5], s[0:1], v4, s18, v[1:2]
	global_store_dword v[2:3], v4, off
	s_cbranch_execnz .LBB199_44
.LBB199_43:
	v_mad_u64_u32 v[2:3], s[0:1], s6, 24, v[0:1]
	v_mov_b32_e32 v3, 0
	v_mov_b32_e32 v0, s13
	v_lshlrev_b64 v[2:3], 2, v[2:3]
	v_add_co_u32_e32 v2, vcc, s12, v2
	v_addc_co_u32_e32 v3, vcc, v0, v3, vcc
	global_store_dword v[2:3], v1, off
.LBB199_44:
	s_endpgm
.LBB199_45:
	s_branch .LBB199_43
	.section	.rodata,"a",@progbits
	.p2align	6, 0x0
	.amdhsa_kernel _ZN9rocsparseL20bsrxmvn_17_32_kernelILj24EiiiaaiEEvT2_20rocsparse_direction_NS_24const_host_device_scalarIT0_EES1_PKS1_PKT1_SA_S7_PKT3_PKT4_S5_PT5_21rocsparse_index_base_b
		.amdhsa_group_segment_fixed_size 2304
		.amdhsa_private_segment_fixed_size 0
		.amdhsa_kernarg_size 96
		.amdhsa_user_sgpr_count 6
		.amdhsa_user_sgpr_private_segment_buffer 1
		.amdhsa_user_sgpr_dispatch_ptr 0
		.amdhsa_user_sgpr_queue_ptr 0
		.amdhsa_user_sgpr_kernarg_segment_ptr 1
		.amdhsa_user_sgpr_dispatch_id 0
		.amdhsa_user_sgpr_flat_scratch_init 0
		.amdhsa_user_sgpr_private_segment_size 0
		.amdhsa_uses_dynamic_stack 0
		.amdhsa_system_sgpr_private_segment_wavefront_offset 0
		.amdhsa_system_sgpr_workgroup_id_x 1
		.amdhsa_system_sgpr_workgroup_id_y 0
		.amdhsa_system_sgpr_workgroup_id_z 0
		.amdhsa_system_sgpr_workgroup_info 0
		.amdhsa_system_vgpr_workitem_id 0
		.amdhsa_next_free_vgpr 25
		.amdhsa_next_free_sgpr 61
		.amdhsa_reserve_vcc 1
		.amdhsa_reserve_flat_scratch 0
		.amdhsa_float_round_mode_32 0
		.amdhsa_float_round_mode_16_64 0
		.amdhsa_float_denorm_mode_32 3
		.amdhsa_float_denorm_mode_16_64 3
		.amdhsa_dx10_clamp 1
		.amdhsa_ieee_mode 1
		.amdhsa_fp16_overflow 0
		.amdhsa_exception_fp_ieee_invalid_op 0
		.amdhsa_exception_fp_denorm_src 0
		.amdhsa_exception_fp_ieee_div_zero 0
		.amdhsa_exception_fp_ieee_overflow 0
		.amdhsa_exception_fp_ieee_underflow 0
		.amdhsa_exception_fp_ieee_inexact 0
		.amdhsa_exception_int_div_zero 0
	.end_amdhsa_kernel
	.section	.text._ZN9rocsparseL20bsrxmvn_17_32_kernelILj24EiiiaaiEEvT2_20rocsparse_direction_NS_24const_host_device_scalarIT0_EES1_PKS1_PKT1_SA_S7_PKT3_PKT4_S5_PT5_21rocsparse_index_base_b,"axG",@progbits,_ZN9rocsparseL20bsrxmvn_17_32_kernelILj24EiiiaaiEEvT2_20rocsparse_direction_NS_24const_host_device_scalarIT0_EES1_PKS1_PKT1_SA_S7_PKT3_PKT4_S5_PT5_21rocsparse_index_base_b,comdat
.Lfunc_end199:
	.size	_ZN9rocsparseL20bsrxmvn_17_32_kernelILj24EiiiaaiEEvT2_20rocsparse_direction_NS_24const_host_device_scalarIT0_EES1_PKS1_PKT1_SA_S7_PKT3_PKT4_S5_PT5_21rocsparse_index_base_b, .Lfunc_end199-_ZN9rocsparseL20bsrxmvn_17_32_kernelILj24EiiiaaiEEvT2_20rocsparse_direction_NS_24const_host_device_scalarIT0_EES1_PKS1_PKT1_SA_S7_PKT3_PKT4_S5_PT5_21rocsparse_index_base_b
                                        ; -- End function
	.set _ZN9rocsparseL20bsrxmvn_17_32_kernelILj24EiiiaaiEEvT2_20rocsparse_direction_NS_24const_host_device_scalarIT0_EES1_PKS1_PKT1_SA_S7_PKT3_PKT4_S5_PT5_21rocsparse_index_base_b.num_vgpr, 11
	.set _ZN9rocsparseL20bsrxmvn_17_32_kernelILj24EiiiaaiEEvT2_20rocsparse_direction_NS_24const_host_device_scalarIT0_EES1_PKS1_PKT1_SA_S7_PKT3_PKT4_S5_PT5_21rocsparse_index_base_b.num_agpr, 0
	.set _ZN9rocsparseL20bsrxmvn_17_32_kernelILj24EiiiaaiEEvT2_20rocsparse_direction_NS_24const_host_device_scalarIT0_EES1_PKS1_PKT1_SA_S7_PKT3_PKT4_S5_PT5_21rocsparse_index_base_b.numbered_sgpr, 19
	.set _ZN9rocsparseL20bsrxmvn_17_32_kernelILj24EiiiaaiEEvT2_20rocsparse_direction_NS_24const_host_device_scalarIT0_EES1_PKS1_PKT1_SA_S7_PKT3_PKT4_S5_PT5_21rocsparse_index_base_b.num_named_barrier, 0
	.set _ZN9rocsparseL20bsrxmvn_17_32_kernelILj24EiiiaaiEEvT2_20rocsparse_direction_NS_24const_host_device_scalarIT0_EES1_PKS1_PKT1_SA_S7_PKT3_PKT4_S5_PT5_21rocsparse_index_base_b.private_seg_size, 0
	.set _ZN9rocsparseL20bsrxmvn_17_32_kernelILj24EiiiaaiEEvT2_20rocsparse_direction_NS_24const_host_device_scalarIT0_EES1_PKS1_PKT1_SA_S7_PKT3_PKT4_S5_PT5_21rocsparse_index_base_b.uses_vcc, 1
	.set _ZN9rocsparseL20bsrxmvn_17_32_kernelILj24EiiiaaiEEvT2_20rocsparse_direction_NS_24const_host_device_scalarIT0_EES1_PKS1_PKT1_SA_S7_PKT3_PKT4_S5_PT5_21rocsparse_index_base_b.uses_flat_scratch, 0
	.set _ZN9rocsparseL20bsrxmvn_17_32_kernelILj24EiiiaaiEEvT2_20rocsparse_direction_NS_24const_host_device_scalarIT0_EES1_PKS1_PKT1_SA_S7_PKT3_PKT4_S5_PT5_21rocsparse_index_base_b.has_dyn_sized_stack, 0
	.set _ZN9rocsparseL20bsrxmvn_17_32_kernelILj24EiiiaaiEEvT2_20rocsparse_direction_NS_24const_host_device_scalarIT0_EES1_PKS1_PKT1_SA_S7_PKT3_PKT4_S5_PT5_21rocsparse_index_base_b.has_recursion, 0
	.set _ZN9rocsparseL20bsrxmvn_17_32_kernelILj24EiiiaaiEEvT2_20rocsparse_direction_NS_24const_host_device_scalarIT0_EES1_PKS1_PKT1_SA_S7_PKT3_PKT4_S5_PT5_21rocsparse_index_base_b.has_indirect_call, 0
	.section	.AMDGPU.csdata,"",@progbits
; Kernel info:
; codeLenInByte = 1272
; TotalNumSgprs: 23
; NumVgprs: 11
; ScratchSize: 0
; MemoryBound: 0
; FloatMode: 240
; IeeeMode: 1
; LDSByteSize: 2304 bytes/workgroup (compile time only)
; SGPRBlocks: 8
; VGPRBlocks: 6
; NumSGPRsForWavesPerEU: 65
; NumVGPRsForWavesPerEU: 25
; Occupancy: 9
; WaveLimiterHint : 1
; COMPUTE_PGM_RSRC2:SCRATCH_EN: 0
; COMPUTE_PGM_RSRC2:USER_SGPR: 6
; COMPUTE_PGM_RSRC2:TRAP_HANDLER: 0
; COMPUTE_PGM_RSRC2:TGID_X_EN: 1
; COMPUTE_PGM_RSRC2:TGID_Y_EN: 0
; COMPUTE_PGM_RSRC2:TGID_Z_EN: 0
; COMPUTE_PGM_RSRC2:TIDIG_COMP_CNT: 0
	.section	.text._ZN9rocsparseL20bsrxmvn_17_32_kernelILj25EiiiaaiEEvT2_20rocsparse_direction_NS_24const_host_device_scalarIT0_EES1_PKS1_PKT1_SA_S7_PKT3_PKT4_S5_PT5_21rocsparse_index_base_b,"axG",@progbits,_ZN9rocsparseL20bsrxmvn_17_32_kernelILj25EiiiaaiEEvT2_20rocsparse_direction_NS_24const_host_device_scalarIT0_EES1_PKS1_PKT1_SA_S7_PKT3_PKT4_S5_PT5_21rocsparse_index_base_b,comdat
	.globl	_ZN9rocsparseL20bsrxmvn_17_32_kernelILj25EiiiaaiEEvT2_20rocsparse_direction_NS_24const_host_device_scalarIT0_EES1_PKS1_PKT1_SA_S7_PKT3_PKT4_S5_PT5_21rocsparse_index_base_b ; -- Begin function _ZN9rocsparseL20bsrxmvn_17_32_kernelILj25EiiiaaiEEvT2_20rocsparse_direction_NS_24const_host_device_scalarIT0_EES1_PKS1_PKT1_SA_S7_PKT3_PKT4_S5_PT5_21rocsparse_index_base_b
	.p2align	8
	.type	_ZN9rocsparseL20bsrxmvn_17_32_kernelILj25EiiiaaiEEvT2_20rocsparse_direction_NS_24const_host_device_scalarIT0_EES1_PKS1_PKT1_SA_S7_PKT3_PKT4_S5_PT5_21rocsparse_index_base_b,@function
_ZN9rocsparseL20bsrxmvn_17_32_kernelILj25EiiiaaiEEvT2_20rocsparse_direction_NS_24const_host_device_scalarIT0_EES1_PKS1_PKT1_SA_S7_PKT3_PKT4_S5_PT5_21rocsparse_index_base_b: ; @_ZN9rocsparseL20bsrxmvn_17_32_kernelILj25EiiiaaiEEvT2_20rocsparse_direction_NS_24const_host_device_scalarIT0_EES1_PKS1_PKT1_SA_S7_PKT3_PKT4_S5_PT5_21rocsparse_index_base_b
; %bb.0:
	s_load_dwordx2 s[14:15], s[4:5], 0x58
	s_load_dwordx2 s[8:9], s[4:5], 0x8
	s_mov_b64 s[10:11], -1
	s_waitcnt lgkmcnt(0)
	s_bitcmp1_b32 s15, 0
	s_cselect_b64 s[0:1], -1, 0
	s_xor_b64 s[2:3], s[0:1], -1
	s_and_b64 vcc, exec, s[2:3]
                                        ; implicit-def: $sgpr15
	s_cbranch_vccnz .LBB200_4
; %bb.1:
	s_load_dwordx2 s[0:1], s[4:5], 0x48
	s_andn2_b64 vcc, exec, s[10:11]
	s_cbranch_vccz .LBB200_5
.LBB200_2:
	s_and_b64 vcc, exec, s[2:3]
	s_cbranch_vccz .LBB200_6
.LBB200_3:
	s_waitcnt lgkmcnt(0)
	s_load_dword s18, s[0:1], 0x0
	s_cbranch_execz .LBB200_7
	s_branch .LBB200_8
.LBB200_4:
	s_load_dword s15, s[8:9], 0x0
	s_load_dwordx2 s[0:1], s[4:5], 0x48
	s_cbranch_execnz .LBB200_2
.LBB200_5:
	s_waitcnt lgkmcnt(0)
	s_mov_b32 s15, s8
	s_and_b64 vcc, exec, s[2:3]
	s_cbranch_vccnz .LBB200_3
.LBB200_6:
                                        ; implicit-def: $sgpr18
.LBB200_7:
	s_waitcnt lgkmcnt(0)
	s_mov_b32 s18, s0
.LBB200_8:
	s_waitcnt lgkmcnt(0)
	s_cmp_lg_u32 s15, 0
	s_cselect_b64 s[0:1], -1, 0
	s_cmp_lg_u32 s18, 1
	s_cselect_b64 s[2:3], -1, 0
	s_or_b64 s[0:1], s[0:1], s[2:3]
	s_andn2_b64 vcc, exec, s[0:1]
	s_cbranch_vccnz .LBB200_44
; %bb.9:
	s_load_dwordx4 s[0:3], s[4:5], 0x18
	s_load_dwordx2 s[8:9], s[4:5], 0x28
	s_waitcnt lgkmcnt(0)
	s_cmp_eq_u64 s[0:1], 0
	s_cbranch_scc1 .LBB200_11
; %bb.10:
	s_ashr_i32 s7, s6, 31
	s_lshl_b64 s[6:7], s[6:7], 2
	s_add_u32 s0, s0, s6
	s_addc_u32 s1, s1, s7
	s_load_dword s0, s[0:1], 0x0
	s_waitcnt lgkmcnt(0)
	s_sub_i32 s6, s0, s14
.LBB200_11:
	s_load_dword s0, s[4:5], 0x4
	s_load_dwordx2 s[12:13], s[4:5], 0x50
	v_mul_u32_u24_e32 v1, 0xa3e, v0
	v_mov_b32_e32 v2, 25
	v_mul_lo_u16_sdwa v2, v1, v2 dst_sel:DWORD dst_unused:UNUSED_PAD src0_sel:WORD_1 src1_sel:DWORD
	s_waitcnt lgkmcnt(0)
	s_cmp_eq_u32 s0, 1
	s_cselect_b64 vcc, -1, 0
	s_cmp_lg_u32 s0, 1
	s_cselect_b64 s[16:17], -1, 0
	s_ashr_i32 s7, s6, 31
	s_lshl_b64 s[0:1], s[6:7], 2
	s_add_u32 s2, s2, s0
	s_addc_u32 s3, s3, s1
	s_load_dword s7, s[2:3], 0x0
	s_add_u32 s2, s2, 4
	s_addc_u32 s3, s3, 0
	s_add_u32 s0, s8, s0
	s_addc_u32 s1, s9, s1
	s_cmp_eq_u64 s[8:9], 0
	s_cselect_b32 s1, s3, s1
	s_cselect_b32 s0, s2, s0
	s_load_dword s0, s[0:1], 0x0
	v_sub_u16_e32 v7, v0, v2
	v_mov_b32_e32 v6, 0
	s_waitcnt lgkmcnt(0)
	s_cmp_ge_i32 s7, s0
	s_cbranch_scc1 .LBB200_16
; %bb.12:
	s_load_dwordx4 s[8:11], s[4:5], 0x30
	s_load_dwordx2 s[2:3], s[4:5], 0x40
	s_sub_i32 s4, s0, s14
	s_mov_b32 s0, 0xffff
	s_movk_i32 s1, 0x271
	v_and_b32_sdwa v1, s0, v1 dst_sel:DWORD dst_unused:UNUSED_PAD src0_sel:DWORD src1_sel:WORD_1
	v_subrev_u32_e32 v2, 25, v1
	v_cmp_gt_u32_e64 s[0:1], s1, v0
	s_sub_i32 s5, s7, s14
	v_cndmask_b32_e64 v1, v2, v1, s[0:1]
	s_mul_i32 s1, s5, 0x271
	s_mul_hi_i32 s0, s5, 0x271
	s_waitcnt lgkmcnt(0)
	s_add_u32 s1, s10, s1
	s_addc_u32 s0, s11, s0
	v_cndmask_b32_e32 v1, v7, v1, vcc
	v_mov_b32_e32 v3, s0
	v_add_co_u32_e32 v2, vcc, s1, v0
	v_addc_co_u32_e32 v3, vcc, 0, v3, vcc
	s_movk_i32 s0, 0x270
	v_cmp_lt_u32_e32 vcc, s0, v0
	v_mov_b32_e32 v6, 0
	v_cndmask_b32_e64 v8, 0, 1, vcc
	s_branch .LBB200_14
.LBB200_13:                             ;   in Loop: Header=BB200_14 Depth=1
	s_or_b64 exec, exec, s[0:1]
	s_add_i32 s5, s5, 1
	s_cmp_lt_i32 s5, s4
	s_cbranch_scc0 .LBB200_16
.LBB200_14:                             ; =>This Inner Loop Header: Depth=1
	v_add_u32_e32 v4, s5, v8
	v_cmp_gt_i32_e32 vcc, s4, v4
	s_and_saveexec_b64 s[0:1], vcc
	s_cbranch_execz .LBB200_13
; %bb.15:                               ;   in Loop: Header=BB200_14 Depth=1
	v_ashrrev_i32_e32 v5, 31, v4
	v_lshlrev_b64 v[4:5], 2, v[4:5]
	v_mov_b32_e32 v9, s9
	v_add_co_u32_e32 v4, vcc, s8, v4
	v_addc_co_u32_e32 v5, vcc, v9, v5, vcc
	global_load_dword v4, v[4:5], off
	s_waitcnt vmcnt(0)
	v_subrev_u32_e32 v4, s14, v4
	v_mad_u64_u32 v[4:5], s[10:11], v4, 25, v[1:2]
	v_mov_b32_e32 v5, s3
	global_load_sbyte v9, v[2:3], off
	v_ashrrev_i32_e32 v10, 31, v4
	v_add_co_u32_e32 v4, vcc, s2, v4
	v_addc_co_u32_e32 v5, vcc, v5, v10, vcc
	global_load_sbyte v4, v[4:5], off
	v_add_co_u32_e32 v2, vcc, 0x271, v2
	v_addc_co_u32_e32 v3, vcc, 0, v3, vcc
	s_waitcnt vmcnt(0)
	v_mad_i32_i24 v6, v4, v9, v6
	s_branch .LBB200_13
.LBB200_16:
	v_lshlrev_b32_e32 v1, 2, v0
	s_and_b64 vcc, exec, s[16:17]
	ds_write_b32 v1, v6
	s_waitcnt lgkmcnt(0)
	s_barrier
	s_cbranch_vccz .LBB200_28
; %bb.17:
	v_cmp_gt_u16_e32 vcc, 9, v7
	s_and_saveexec_b64 s[0:1], vcc
	s_cbranch_execz .LBB200_19
; %bb.18:
	ds_read2_b32 v[2:3], v1 offset1:16
	s_waitcnt lgkmcnt(0)
	v_add_u32_e32 v2, v2, v3
	ds_write_b32 v1, v2
.LBB200_19:
	s_or_b64 exec, exec, s[0:1]
	v_cmp_gt_u16_e32 vcc, 8, v7
	s_waitcnt lgkmcnt(0)
	s_barrier
	s_and_saveexec_b64 s[0:1], vcc
	s_cbranch_execz .LBB200_21
; %bb.20:
	ds_read2_b32 v[2:3], v1 offset1:8
	s_waitcnt lgkmcnt(0)
	v_add_u32_e32 v2, v2, v3
	ds_write_b32 v1, v2
.LBB200_21:
	s_or_b64 exec, exec, s[0:1]
	v_cmp_gt_u16_e32 vcc, 4, v7
	s_waitcnt lgkmcnt(0)
	s_barrier
	;; [unrolled: 12-line block ×3, first 2 shown]
	s_and_saveexec_b64 s[0:1], vcc
	s_cbranch_execz .LBB200_25
; %bb.24:
	ds_read2_b32 v[2:3], v1 offset1:2
	s_waitcnt lgkmcnt(0)
	v_add_u32_e32 v2, v2, v3
	ds_write_b32 v1, v2
.LBB200_25:
	s_or_b64 exec, exec, s[0:1]
	v_cmp_gt_u32_e32 vcc, 25, v0
	v_mov_b32_e32 v2, v6
	s_waitcnt lgkmcnt(0)
	s_barrier
	s_and_saveexec_b64 s[0:1], vcc
	s_cbranch_execz .LBB200_27
; %bb.26:
	s_movk_i32 s2, 0x60
	v_mad_u32_u24 v2, v0, s2, v1
	ds_read2_b32 v[2:3], v2 offset1:1
	s_waitcnt lgkmcnt(0)
	v_add_u32_e32 v2, v3, v2
.LBB200_27:
	s_or_b64 exec, exec, s[0:1]
	s_branch .LBB200_40
.LBB200_28:
                                        ; implicit-def: $vgpr2
	s_cbranch_execz .LBB200_40
; %bb.29:
	s_movk_i32 s0, 0xe1
	v_cmp_gt_u32_e32 vcc, s0, v0
	s_and_saveexec_b64 s[0:1], vcc
	s_cbranch_execz .LBB200_31
; %bb.30:
	ds_read_b32 v2, v1 offset:1600
	ds_read_b32 v3, v1
	s_waitcnt lgkmcnt(0)
	v_add_u32_e32 v2, v3, v2
	ds_write_b32 v1, v2
.LBB200_31:
	s_or_b64 exec, exec, s[0:1]
	s_movk_i32 s0, 0xc8
	v_cmp_gt_u32_e32 vcc, s0, v0
	s_waitcnt lgkmcnt(0)
	s_barrier
	s_and_saveexec_b64 s[0:1], vcc
	s_cbranch_execz .LBB200_33
; %bb.32:
	ds_read2_b32 v[2:3], v1 offset1:200
	s_waitcnt lgkmcnt(0)
	v_add_u32_e32 v2, v2, v3
	ds_write_b32 v1, v2
.LBB200_33:
	s_or_b64 exec, exec, s[0:1]
	s_movk_i32 s0, 0x64
	v_cmp_gt_u32_e32 vcc, s0, v0
	s_waitcnt lgkmcnt(0)
	s_barrier
	s_and_saveexec_b64 s[0:1], vcc
	s_cbranch_execz .LBB200_35
; %bb.34:
	ds_read2_b32 v[2:3], v1 offset1:100
	s_waitcnt lgkmcnt(0)
	v_add_u32_e32 v2, v2, v3
	ds_write_b32 v1, v2
.LBB200_35:
	s_or_b64 exec, exec, s[0:1]
	v_cmp_gt_u32_e32 vcc, 50, v0
	s_waitcnt lgkmcnt(0)
	s_barrier
	s_and_saveexec_b64 s[0:1], vcc
	s_cbranch_execz .LBB200_37
; %bb.36:
	ds_read2_b32 v[2:3], v1 offset1:50
	s_waitcnt lgkmcnt(0)
	v_add_u32_e32 v2, v2, v3
	ds_write_b32 v1, v2
.LBB200_37:
	s_or_b64 exec, exec, s[0:1]
	v_cmp_gt_u32_e32 vcc, 25, v0
	s_waitcnt lgkmcnt(0)
	s_and_saveexec_b64 s[0:1], vcc
	s_cbranch_execz .LBB200_39
; %bb.38:
	ds_read2_b32 v[1:2], v1 offset1:25
	s_waitcnt lgkmcnt(0)
	v_add_u32_e32 v6, v2, v1
.LBB200_39:
	s_or_b64 exec, exec, s[0:1]
	v_mov_b32_e32 v2, v6
.LBB200_40:
	v_cmp_gt_u32_e32 vcc, 25, v0
	s_and_saveexec_b64 s[0:1], vcc
	s_cbranch_execz .LBB200_44
; %bb.41:
	v_mul_lo_u32 v1, v2, s15
	s_cmp_eq_u32 s18, 0
	s_cbranch_scc1 .LBB200_45
; %bb.42:
	v_mad_u64_u32 v[2:3], s[0:1], s6, 25, v[0:1]
	v_mov_b32_e32 v3, 0
	v_mov_b32_e32 v4, s13
	v_lshlrev_b64 v[2:3], 2, v[2:3]
	v_add_co_u32_e32 v2, vcc, s12, v2
	v_addc_co_u32_e32 v3, vcc, v4, v3, vcc
	global_load_dword v4, v[2:3], off
	s_waitcnt vmcnt(0)
	v_mad_u64_u32 v[4:5], s[0:1], v4, s18, v[1:2]
	global_store_dword v[2:3], v4, off
	s_cbranch_execnz .LBB200_44
.LBB200_43:
	v_mad_u64_u32 v[2:3], s[0:1], s6, 25, v[0:1]
	v_mov_b32_e32 v3, 0
	v_mov_b32_e32 v0, s13
	v_lshlrev_b64 v[2:3], 2, v[2:3]
	v_add_co_u32_e32 v2, vcc, s12, v2
	v_addc_co_u32_e32 v3, vcc, v0, v3, vcc
	global_store_dword v[2:3], v1, off
.LBB200_44:
	s_endpgm
.LBB200_45:
	s_branch .LBB200_43
	.section	.rodata,"a",@progbits
	.p2align	6, 0x0
	.amdhsa_kernel _ZN9rocsparseL20bsrxmvn_17_32_kernelILj25EiiiaaiEEvT2_20rocsparse_direction_NS_24const_host_device_scalarIT0_EES1_PKS1_PKT1_SA_S7_PKT3_PKT4_S5_PT5_21rocsparse_index_base_b
		.amdhsa_group_segment_fixed_size 2500
		.amdhsa_private_segment_fixed_size 0
		.amdhsa_kernarg_size 96
		.amdhsa_user_sgpr_count 6
		.amdhsa_user_sgpr_private_segment_buffer 1
		.amdhsa_user_sgpr_dispatch_ptr 0
		.amdhsa_user_sgpr_queue_ptr 0
		.amdhsa_user_sgpr_kernarg_segment_ptr 1
		.amdhsa_user_sgpr_dispatch_id 0
		.amdhsa_user_sgpr_flat_scratch_init 0
		.amdhsa_user_sgpr_private_segment_size 0
		.amdhsa_uses_dynamic_stack 0
		.amdhsa_system_sgpr_private_segment_wavefront_offset 0
		.amdhsa_system_sgpr_workgroup_id_x 1
		.amdhsa_system_sgpr_workgroup_id_y 0
		.amdhsa_system_sgpr_workgroup_id_z 0
		.amdhsa_system_sgpr_workgroup_info 0
		.amdhsa_system_vgpr_workitem_id 0
		.amdhsa_next_free_vgpr 11
		.amdhsa_next_free_sgpr 19
		.amdhsa_reserve_vcc 1
		.amdhsa_reserve_flat_scratch 0
		.amdhsa_float_round_mode_32 0
		.amdhsa_float_round_mode_16_64 0
		.amdhsa_float_denorm_mode_32 3
		.amdhsa_float_denorm_mode_16_64 3
		.amdhsa_dx10_clamp 1
		.amdhsa_ieee_mode 1
		.amdhsa_fp16_overflow 0
		.amdhsa_exception_fp_ieee_invalid_op 0
		.amdhsa_exception_fp_denorm_src 0
		.amdhsa_exception_fp_ieee_div_zero 0
		.amdhsa_exception_fp_ieee_overflow 0
		.amdhsa_exception_fp_ieee_underflow 0
		.amdhsa_exception_fp_ieee_inexact 0
		.amdhsa_exception_int_div_zero 0
	.end_amdhsa_kernel
	.section	.text._ZN9rocsparseL20bsrxmvn_17_32_kernelILj25EiiiaaiEEvT2_20rocsparse_direction_NS_24const_host_device_scalarIT0_EES1_PKS1_PKT1_SA_S7_PKT3_PKT4_S5_PT5_21rocsparse_index_base_b,"axG",@progbits,_ZN9rocsparseL20bsrxmvn_17_32_kernelILj25EiiiaaiEEvT2_20rocsparse_direction_NS_24const_host_device_scalarIT0_EES1_PKS1_PKT1_SA_S7_PKT3_PKT4_S5_PT5_21rocsparse_index_base_b,comdat
.Lfunc_end200:
	.size	_ZN9rocsparseL20bsrxmvn_17_32_kernelILj25EiiiaaiEEvT2_20rocsparse_direction_NS_24const_host_device_scalarIT0_EES1_PKS1_PKT1_SA_S7_PKT3_PKT4_S5_PT5_21rocsparse_index_base_b, .Lfunc_end200-_ZN9rocsparseL20bsrxmvn_17_32_kernelILj25EiiiaaiEEvT2_20rocsparse_direction_NS_24const_host_device_scalarIT0_EES1_PKS1_PKT1_SA_S7_PKT3_PKT4_S5_PT5_21rocsparse_index_base_b
                                        ; -- End function
	.set _ZN9rocsparseL20bsrxmvn_17_32_kernelILj25EiiiaaiEEvT2_20rocsparse_direction_NS_24const_host_device_scalarIT0_EES1_PKS1_PKT1_SA_S7_PKT3_PKT4_S5_PT5_21rocsparse_index_base_b.num_vgpr, 11
	.set _ZN9rocsparseL20bsrxmvn_17_32_kernelILj25EiiiaaiEEvT2_20rocsparse_direction_NS_24const_host_device_scalarIT0_EES1_PKS1_PKT1_SA_S7_PKT3_PKT4_S5_PT5_21rocsparse_index_base_b.num_agpr, 0
	.set _ZN9rocsparseL20bsrxmvn_17_32_kernelILj25EiiiaaiEEvT2_20rocsparse_direction_NS_24const_host_device_scalarIT0_EES1_PKS1_PKT1_SA_S7_PKT3_PKT4_S5_PT5_21rocsparse_index_base_b.numbered_sgpr, 19
	.set _ZN9rocsparseL20bsrxmvn_17_32_kernelILj25EiiiaaiEEvT2_20rocsparse_direction_NS_24const_host_device_scalarIT0_EES1_PKS1_PKT1_SA_S7_PKT3_PKT4_S5_PT5_21rocsparse_index_base_b.num_named_barrier, 0
	.set _ZN9rocsparseL20bsrxmvn_17_32_kernelILj25EiiiaaiEEvT2_20rocsparse_direction_NS_24const_host_device_scalarIT0_EES1_PKS1_PKT1_SA_S7_PKT3_PKT4_S5_PT5_21rocsparse_index_base_b.private_seg_size, 0
	.set _ZN9rocsparseL20bsrxmvn_17_32_kernelILj25EiiiaaiEEvT2_20rocsparse_direction_NS_24const_host_device_scalarIT0_EES1_PKS1_PKT1_SA_S7_PKT3_PKT4_S5_PT5_21rocsparse_index_base_b.uses_vcc, 1
	.set _ZN9rocsparseL20bsrxmvn_17_32_kernelILj25EiiiaaiEEvT2_20rocsparse_direction_NS_24const_host_device_scalarIT0_EES1_PKS1_PKT1_SA_S7_PKT3_PKT4_S5_PT5_21rocsparse_index_base_b.uses_flat_scratch, 0
	.set _ZN9rocsparseL20bsrxmvn_17_32_kernelILj25EiiiaaiEEvT2_20rocsparse_direction_NS_24const_host_device_scalarIT0_EES1_PKS1_PKT1_SA_S7_PKT3_PKT4_S5_PT5_21rocsparse_index_base_b.has_dyn_sized_stack, 0
	.set _ZN9rocsparseL20bsrxmvn_17_32_kernelILj25EiiiaaiEEvT2_20rocsparse_direction_NS_24const_host_device_scalarIT0_EES1_PKS1_PKT1_SA_S7_PKT3_PKT4_S5_PT5_21rocsparse_index_base_b.has_recursion, 0
	.set _ZN9rocsparseL20bsrxmvn_17_32_kernelILj25EiiiaaiEEvT2_20rocsparse_direction_NS_24const_host_device_scalarIT0_EES1_PKS1_PKT1_SA_S7_PKT3_PKT4_S5_PT5_21rocsparse_index_base_b.has_indirect_call, 0
	.section	.AMDGPU.csdata,"",@progbits
; Kernel info:
; codeLenInByte = 1292
; TotalNumSgprs: 23
; NumVgprs: 11
; ScratchSize: 0
; MemoryBound: 0
; FloatMode: 240
; IeeeMode: 1
; LDSByteSize: 2500 bytes/workgroup (compile time only)
; SGPRBlocks: 2
; VGPRBlocks: 2
; NumSGPRsForWavesPerEU: 23
; NumVGPRsForWavesPerEU: 11
; Occupancy: 10
; WaveLimiterHint : 1
; COMPUTE_PGM_RSRC2:SCRATCH_EN: 0
; COMPUTE_PGM_RSRC2:USER_SGPR: 6
; COMPUTE_PGM_RSRC2:TRAP_HANDLER: 0
; COMPUTE_PGM_RSRC2:TGID_X_EN: 1
; COMPUTE_PGM_RSRC2:TGID_Y_EN: 0
; COMPUTE_PGM_RSRC2:TGID_Z_EN: 0
; COMPUTE_PGM_RSRC2:TIDIG_COMP_CNT: 0
	.section	.text._ZN9rocsparseL20bsrxmvn_17_32_kernelILj26EiiiaaiEEvT2_20rocsparse_direction_NS_24const_host_device_scalarIT0_EES1_PKS1_PKT1_SA_S7_PKT3_PKT4_S5_PT5_21rocsparse_index_base_b,"axG",@progbits,_ZN9rocsparseL20bsrxmvn_17_32_kernelILj26EiiiaaiEEvT2_20rocsparse_direction_NS_24const_host_device_scalarIT0_EES1_PKS1_PKT1_SA_S7_PKT3_PKT4_S5_PT5_21rocsparse_index_base_b,comdat
	.globl	_ZN9rocsparseL20bsrxmvn_17_32_kernelILj26EiiiaaiEEvT2_20rocsparse_direction_NS_24const_host_device_scalarIT0_EES1_PKS1_PKT1_SA_S7_PKT3_PKT4_S5_PT5_21rocsparse_index_base_b ; -- Begin function _ZN9rocsparseL20bsrxmvn_17_32_kernelILj26EiiiaaiEEvT2_20rocsparse_direction_NS_24const_host_device_scalarIT0_EES1_PKS1_PKT1_SA_S7_PKT3_PKT4_S5_PT5_21rocsparse_index_base_b
	.p2align	8
	.type	_ZN9rocsparseL20bsrxmvn_17_32_kernelILj26EiiiaaiEEvT2_20rocsparse_direction_NS_24const_host_device_scalarIT0_EES1_PKS1_PKT1_SA_S7_PKT3_PKT4_S5_PT5_21rocsparse_index_base_b,@function
_ZN9rocsparseL20bsrxmvn_17_32_kernelILj26EiiiaaiEEvT2_20rocsparse_direction_NS_24const_host_device_scalarIT0_EES1_PKS1_PKT1_SA_S7_PKT3_PKT4_S5_PT5_21rocsparse_index_base_b: ; @_ZN9rocsparseL20bsrxmvn_17_32_kernelILj26EiiiaaiEEvT2_20rocsparse_direction_NS_24const_host_device_scalarIT0_EES1_PKS1_PKT1_SA_S7_PKT3_PKT4_S5_PT5_21rocsparse_index_base_b
; %bb.0:
	s_load_dwordx2 s[14:15], s[4:5], 0x58
	s_load_dwordx2 s[8:9], s[4:5], 0x8
	s_mov_b64 s[10:11], -1
	s_waitcnt lgkmcnt(0)
	s_bitcmp1_b32 s15, 0
	s_cselect_b64 s[0:1], -1, 0
	s_xor_b64 s[2:3], s[0:1], -1
	s_and_b64 vcc, exec, s[2:3]
                                        ; implicit-def: $sgpr15
	s_cbranch_vccnz .LBB201_4
; %bb.1:
	s_load_dwordx2 s[0:1], s[4:5], 0x48
	s_andn2_b64 vcc, exec, s[10:11]
	s_cbranch_vccz .LBB201_5
.LBB201_2:
	s_and_b64 vcc, exec, s[2:3]
	s_cbranch_vccz .LBB201_6
.LBB201_3:
	s_waitcnt lgkmcnt(0)
	s_load_dword s18, s[0:1], 0x0
	s_cbranch_execz .LBB201_7
	s_branch .LBB201_8
.LBB201_4:
	s_load_dword s15, s[8:9], 0x0
	s_load_dwordx2 s[0:1], s[4:5], 0x48
	s_cbranch_execnz .LBB201_2
.LBB201_5:
	s_waitcnt lgkmcnt(0)
	s_mov_b32 s15, s8
	s_and_b64 vcc, exec, s[2:3]
	s_cbranch_vccnz .LBB201_3
.LBB201_6:
                                        ; implicit-def: $sgpr18
.LBB201_7:
	s_waitcnt lgkmcnt(0)
	s_mov_b32 s18, s0
.LBB201_8:
	s_waitcnt lgkmcnt(0)
	s_cmp_lg_u32 s15, 0
	s_cselect_b64 s[0:1], -1, 0
	s_cmp_lg_u32 s18, 1
	s_cselect_b64 s[2:3], -1, 0
	s_or_b64 s[0:1], s[0:1], s[2:3]
	s_andn2_b64 vcc, exec, s[0:1]
	s_cbranch_vccnz .LBB201_44
; %bb.9:
	s_load_dwordx4 s[0:3], s[4:5], 0x18
	s_load_dwordx2 s[8:9], s[4:5], 0x28
	s_waitcnt lgkmcnt(0)
	s_cmp_eq_u64 s[0:1], 0
	s_cbranch_scc1 .LBB201_11
; %bb.10:
	s_ashr_i32 s7, s6, 31
	s_lshl_b64 s[6:7], s[6:7], 2
	s_add_u32 s0, s0, s6
	s_addc_u32 s1, s1, s7
	s_load_dword s0, s[0:1], 0x0
	s_waitcnt lgkmcnt(0)
	s_sub_i32 s6, s0, s14
.LBB201_11:
	s_load_dword s0, s[4:5], 0x4
	s_load_dwordx2 s[12:13], s[4:5], 0x50
	v_mul_u32_u24_e32 v1, 0x9d9, v0
	v_mov_b32_e32 v2, 26
	v_mul_lo_u16_sdwa v2, v1, v2 dst_sel:DWORD dst_unused:UNUSED_PAD src0_sel:WORD_1 src1_sel:DWORD
	s_waitcnt lgkmcnt(0)
	s_cmp_eq_u32 s0, 1
	s_cselect_b64 vcc, -1, 0
	s_cmp_lg_u32 s0, 1
	s_cselect_b64 s[16:17], -1, 0
	s_ashr_i32 s7, s6, 31
	s_lshl_b64 s[0:1], s[6:7], 2
	s_add_u32 s2, s2, s0
	s_addc_u32 s3, s3, s1
	s_load_dword s7, s[2:3], 0x0
	s_add_u32 s2, s2, 4
	s_addc_u32 s3, s3, 0
	s_add_u32 s0, s8, s0
	s_addc_u32 s1, s9, s1
	s_cmp_eq_u64 s[8:9], 0
	s_cselect_b32 s1, s3, s1
	s_cselect_b32 s0, s2, s0
	s_load_dword s0, s[0:1], 0x0
	v_sub_u16_e32 v7, v0, v2
	v_mov_b32_e32 v6, 0
	s_waitcnt lgkmcnt(0)
	s_cmp_ge_i32 s7, s0
	s_cbranch_scc1 .LBB201_16
; %bb.12:
	s_load_dwordx4 s[8:11], s[4:5], 0x30
	s_load_dwordx2 s[2:3], s[4:5], 0x40
	s_sub_i32 s4, s0, s14
	s_mov_b32 s0, 0xffff
	s_movk_i32 s1, 0x2a4
	v_and_b32_sdwa v1, s0, v1 dst_sel:DWORD dst_unused:UNUSED_PAD src0_sel:DWORD src1_sel:WORD_1
	v_subrev_u32_e32 v2, 26, v1
	v_cmp_gt_u32_e64 s[0:1], s1, v0
	s_sub_i32 s5, s7, s14
	v_cndmask_b32_e64 v1, v2, v1, s[0:1]
	s_mul_i32 s1, s5, 0x2a4
	s_mul_hi_i32 s0, s5, 0x2a4
	s_waitcnt lgkmcnt(0)
	s_add_u32 s1, s10, s1
	s_addc_u32 s0, s11, s0
	v_cndmask_b32_e32 v1, v7, v1, vcc
	v_mov_b32_e32 v3, s0
	v_add_co_u32_e32 v2, vcc, s1, v0
	v_addc_co_u32_e32 v3, vcc, 0, v3, vcc
	s_movk_i32 s0, 0x2a3
	v_cmp_lt_u32_e32 vcc, s0, v0
	v_mov_b32_e32 v6, 0
	v_cndmask_b32_e64 v8, 0, 1, vcc
	s_branch .LBB201_14
.LBB201_13:                             ;   in Loop: Header=BB201_14 Depth=1
	s_or_b64 exec, exec, s[0:1]
	s_add_i32 s5, s5, 1
	s_cmp_lt_i32 s5, s4
	s_cbranch_scc0 .LBB201_16
.LBB201_14:                             ; =>This Inner Loop Header: Depth=1
	v_add_u32_e32 v4, s5, v8
	v_cmp_gt_i32_e32 vcc, s4, v4
	s_and_saveexec_b64 s[0:1], vcc
	s_cbranch_execz .LBB201_13
; %bb.15:                               ;   in Loop: Header=BB201_14 Depth=1
	v_ashrrev_i32_e32 v5, 31, v4
	v_lshlrev_b64 v[4:5], 2, v[4:5]
	v_mov_b32_e32 v9, s9
	v_add_co_u32_e32 v4, vcc, s8, v4
	v_addc_co_u32_e32 v5, vcc, v9, v5, vcc
	global_load_dword v4, v[4:5], off
	s_waitcnt vmcnt(0)
	v_subrev_u32_e32 v4, s14, v4
	v_mad_u64_u32 v[4:5], s[10:11], v4, 26, v[1:2]
	v_mov_b32_e32 v5, s3
	global_load_sbyte v9, v[2:3], off
	v_ashrrev_i32_e32 v10, 31, v4
	v_add_co_u32_e32 v4, vcc, s2, v4
	v_addc_co_u32_e32 v5, vcc, v5, v10, vcc
	global_load_sbyte v4, v[4:5], off
	v_add_co_u32_e32 v2, vcc, 0x2a4, v2
	v_addc_co_u32_e32 v3, vcc, 0, v3, vcc
	s_waitcnt vmcnt(0)
	v_mad_i32_i24 v6, v4, v9, v6
	s_branch .LBB201_13
.LBB201_16:
	v_lshlrev_b32_e32 v1, 2, v0
	s_and_b64 vcc, exec, s[16:17]
	ds_write_b32 v1, v6
	s_waitcnt lgkmcnt(0)
	s_barrier
	s_cbranch_vccz .LBB201_28
; %bb.17:
	v_cmp_gt_u16_e32 vcc, 10, v7
	s_and_saveexec_b64 s[0:1], vcc
	s_cbranch_execz .LBB201_19
; %bb.18:
	ds_read2_b32 v[2:3], v1 offset1:16
	s_waitcnt lgkmcnt(0)
	v_add_u32_e32 v2, v2, v3
	ds_write_b32 v1, v2
.LBB201_19:
	s_or_b64 exec, exec, s[0:1]
	v_cmp_gt_u16_e32 vcc, 8, v7
	s_waitcnt lgkmcnt(0)
	s_barrier
	s_and_saveexec_b64 s[0:1], vcc
	s_cbranch_execz .LBB201_21
; %bb.20:
	ds_read2_b32 v[2:3], v1 offset1:8
	s_waitcnt lgkmcnt(0)
	v_add_u32_e32 v2, v2, v3
	ds_write_b32 v1, v2
.LBB201_21:
	s_or_b64 exec, exec, s[0:1]
	v_cmp_gt_u16_e32 vcc, 4, v7
	s_waitcnt lgkmcnt(0)
	s_barrier
	;; [unrolled: 12-line block ×3, first 2 shown]
	s_and_saveexec_b64 s[0:1], vcc
	s_cbranch_execz .LBB201_25
; %bb.24:
	ds_read2_b32 v[2:3], v1 offset1:2
	s_waitcnt lgkmcnt(0)
	v_add_u32_e32 v2, v2, v3
	ds_write_b32 v1, v2
.LBB201_25:
	s_or_b64 exec, exec, s[0:1]
	v_cmp_gt_u32_e32 vcc, 26, v0
	v_mov_b32_e32 v2, v6
	s_waitcnt lgkmcnt(0)
	s_barrier
	s_and_saveexec_b64 s[0:1], vcc
	s_cbranch_execz .LBB201_27
; %bb.26:
	s_movk_i32 s2, 0x64
	v_mad_u32_u24 v2, v0, s2, v1
	ds_read_b64 v[2:3], v2
	s_waitcnt lgkmcnt(0)
	v_add_u32_e32 v2, v3, v2
.LBB201_27:
	s_or_b64 exec, exec, s[0:1]
	s_branch .LBB201_40
.LBB201_28:
                                        ; implicit-def: $vgpr2
	s_cbranch_execz .LBB201_40
; %bb.29:
	s_movk_i32 s0, 0x104
	v_cmp_gt_u32_e32 vcc, s0, v0
	s_and_saveexec_b64 s[0:1], vcc
	s_cbranch_execz .LBB201_31
; %bb.30:
	ds_read_b32 v2, v1 offset:1664
	ds_read_b32 v3, v1
	s_waitcnt lgkmcnt(0)
	v_add_u32_e32 v2, v3, v2
	ds_write_b32 v1, v2
.LBB201_31:
	s_or_b64 exec, exec, s[0:1]
	s_movk_i32 s0, 0xd0
	v_cmp_gt_u32_e32 vcc, s0, v0
	s_waitcnt lgkmcnt(0)
	s_barrier
	s_and_saveexec_b64 s[0:1], vcc
	s_cbranch_execz .LBB201_33
; %bb.32:
	ds_read2_b32 v[2:3], v1 offset1:208
	s_waitcnt lgkmcnt(0)
	v_add_u32_e32 v2, v2, v3
	ds_write_b32 v1, v2
.LBB201_33:
	s_or_b64 exec, exec, s[0:1]
	s_movk_i32 s0, 0x68
	v_cmp_gt_u32_e32 vcc, s0, v0
	s_waitcnt lgkmcnt(0)
	s_barrier
	s_and_saveexec_b64 s[0:1], vcc
	s_cbranch_execz .LBB201_35
; %bb.34:
	ds_read2_b32 v[2:3], v1 offset1:104
	s_waitcnt lgkmcnt(0)
	v_add_u32_e32 v2, v2, v3
	ds_write_b32 v1, v2
.LBB201_35:
	s_or_b64 exec, exec, s[0:1]
	v_cmp_gt_u32_e32 vcc, 52, v0
	s_waitcnt lgkmcnt(0)
	s_barrier
	s_and_saveexec_b64 s[0:1], vcc
	s_cbranch_execz .LBB201_37
; %bb.36:
	ds_read2_b32 v[2:3], v1 offset1:52
	s_waitcnt lgkmcnt(0)
	v_add_u32_e32 v2, v2, v3
	ds_write_b32 v1, v2
.LBB201_37:
	s_or_b64 exec, exec, s[0:1]
	v_cmp_gt_u32_e32 vcc, 26, v0
	s_waitcnt lgkmcnt(0)
	s_and_saveexec_b64 s[0:1], vcc
	s_cbranch_execz .LBB201_39
; %bb.38:
	ds_read2_b32 v[1:2], v1 offset1:26
	s_waitcnt lgkmcnt(0)
	v_add_u32_e32 v6, v2, v1
.LBB201_39:
	s_or_b64 exec, exec, s[0:1]
	v_mov_b32_e32 v2, v6
.LBB201_40:
	v_cmp_gt_u32_e32 vcc, 26, v0
	s_and_saveexec_b64 s[0:1], vcc
	s_cbranch_execz .LBB201_44
; %bb.41:
	v_mul_lo_u32 v1, v2, s15
	s_cmp_eq_u32 s18, 0
	s_cbranch_scc1 .LBB201_45
; %bb.42:
	v_mad_u64_u32 v[2:3], s[0:1], s6, 26, v[0:1]
	v_mov_b32_e32 v3, 0
	v_mov_b32_e32 v4, s13
	v_lshlrev_b64 v[2:3], 2, v[2:3]
	v_add_co_u32_e32 v2, vcc, s12, v2
	v_addc_co_u32_e32 v3, vcc, v4, v3, vcc
	global_load_dword v4, v[2:3], off
	s_waitcnt vmcnt(0)
	v_mad_u64_u32 v[4:5], s[0:1], v4, s18, v[1:2]
	global_store_dword v[2:3], v4, off
	s_cbranch_execnz .LBB201_44
.LBB201_43:
	v_mad_u64_u32 v[2:3], s[0:1], s6, 26, v[0:1]
	v_mov_b32_e32 v3, 0
	v_mov_b32_e32 v0, s13
	v_lshlrev_b64 v[2:3], 2, v[2:3]
	v_add_co_u32_e32 v2, vcc, s12, v2
	v_addc_co_u32_e32 v3, vcc, v0, v3, vcc
	global_store_dword v[2:3], v1, off
.LBB201_44:
	s_endpgm
.LBB201_45:
	s_branch .LBB201_43
	.section	.rodata,"a",@progbits
	.p2align	6, 0x0
	.amdhsa_kernel _ZN9rocsparseL20bsrxmvn_17_32_kernelILj26EiiiaaiEEvT2_20rocsparse_direction_NS_24const_host_device_scalarIT0_EES1_PKS1_PKT1_SA_S7_PKT3_PKT4_S5_PT5_21rocsparse_index_base_b
		.amdhsa_group_segment_fixed_size 2704
		.amdhsa_private_segment_fixed_size 0
		.amdhsa_kernarg_size 96
		.amdhsa_user_sgpr_count 6
		.amdhsa_user_sgpr_private_segment_buffer 1
		.amdhsa_user_sgpr_dispatch_ptr 0
		.amdhsa_user_sgpr_queue_ptr 0
		.amdhsa_user_sgpr_kernarg_segment_ptr 1
		.amdhsa_user_sgpr_dispatch_id 0
		.amdhsa_user_sgpr_flat_scratch_init 0
		.amdhsa_user_sgpr_private_segment_size 0
		.amdhsa_uses_dynamic_stack 0
		.amdhsa_system_sgpr_private_segment_wavefront_offset 0
		.amdhsa_system_sgpr_workgroup_id_x 1
		.amdhsa_system_sgpr_workgroup_id_y 0
		.amdhsa_system_sgpr_workgroup_id_z 0
		.amdhsa_system_sgpr_workgroup_info 0
		.amdhsa_system_vgpr_workitem_id 0
		.amdhsa_next_free_vgpr 25
		.amdhsa_next_free_sgpr 61
		.amdhsa_reserve_vcc 1
		.amdhsa_reserve_flat_scratch 0
		.amdhsa_float_round_mode_32 0
		.amdhsa_float_round_mode_16_64 0
		.amdhsa_float_denorm_mode_32 3
		.amdhsa_float_denorm_mode_16_64 3
		.amdhsa_dx10_clamp 1
		.amdhsa_ieee_mode 1
		.amdhsa_fp16_overflow 0
		.amdhsa_exception_fp_ieee_invalid_op 0
		.amdhsa_exception_fp_denorm_src 0
		.amdhsa_exception_fp_ieee_div_zero 0
		.amdhsa_exception_fp_ieee_overflow 0
		.amdhsa_exception_fp_ieee_underflow 0
		.amdhsa_exception_fp_ieee_inexact 0
		.amdhsa_exception_int_div_zero 0
	.end_amdhsa_kernel
	.section	.text._ZN9rocsparseL20bsrxmvn_17_32_kernelILj26EiiiaaiEEvT2_20rocsparse_direction_NS_24const_host_device_scalarIT0_EES1_PKS1_PKT1_SA_S7_PKT3_PKT4_S5_PT5_21rocsparse_index_base_b,"axG",@progbits,_ZN9rocsparseL20bsrxmvn_17_32_kernelILj26EiiiaaiEEvT2_20rocsparse_direction_NS_24const_host_device_scalarIT0_EES1_PKS1_PKT1_SA_S7_PKT3_PKT4_S5_PT5_21rocsparse_index_base_b,comdat
.Lfunc_end201:
	.size	_ZN9rocsparseL20bsrxmvn_17_32_kernelILj26EiiiaaiEEvT2_20rocsparse_direction_NS_24const_host_device_scalarIT0_EES1_PKS1_PKT1_SA_S7_PKT3_PKT4_S5_PT5_21rocsparse_index_base_b, .Lfunc_end201-_ZN9rocsparseL20bsrxmvn_17_32_kernelILj26EiiiaaiEEvT2_20rocsparse_direction_NS_24const_host_device_scalarIT0_EES1_PKS1_PKT1_SA_S7_PKT3_PKT4_S5_PT5_21rocsparse_index_base_b
                                        ; -- End function
	.set _ZN9rocsparseL20bsrxmvn_17_32_kernelILj26EiiiaaiEEvT2_20rocsparse_direction_NS_24const_host_device_scalarIT0_EES1_PKS1_PKT1_SA_S7_PKT3_PKT4_S5_PT5_21rocsparse_index_base_b.num_vgpr, 11
	.set _ZN9rocsparseL20bsrxmvn_17_32_kernelILj26EiiiaaiEEvT2_20rocsparse_direction_NS_24const_host_device_scalarIT0_EES1_PKS1_PKT1_SA_S7_PKT3_PKT4_S5_PT5_21rocsparse_index_base_b.num_agpr, 0
	.set _ZN9rocsparseL20bsrxmvn_17_32_kernelILj26EiiiaaiEEvT2_20rocsparse_direction_NS_24const_host_device_scalarIT0_EES1_PKS1_PKT1_SA_S7_PKT3_PKT4_S5_PT5_21rocsparse_index_base_b.numbered_sgpr, 19
	.set _ZN9rocsparseL20bsrxmvn_17_32_kernelILj26EiiiaaiEEvT2_20rocsparse_direction_NS_24const_host_device_scalarIT0_EES1_PKS1_PKT1_SA_S7_PKT3_PKT4_S5_PT5_21rocsparse_index_base_b.num_named_barrier, 0
	.set _ZN9rocsparseL20bsrxmvn_17_32_kernelILj26EiiiaaiEEvT2_20rocsparse_direction_NS_24const_host_device_scalarIT0_EES1_PKS1_PKT1_SA_S7_PKT3_PKT4_S5_PT5_21rocsparse_index_base_b.private_seg_size, 0
	.set _ZN9rocsparseL20bsrxmvn_17_32_kernelILj26EiiiaaiEEvT2_20rocsparse_direction_NS_24const_host_device_scalarIT0_EES1_PKS1_PKT1_SA_S7_PKT3_PKT4_S5_PT5_21rocsparse_index_base_b.uses_vcc, 1
	.set _ZN9rocsparseL20bsrxmvn_17_32_kernelILj26EiiiaaiEEvT2_20rocsparse_direction_NS_24const_host_device_scalarIT0_EES1_PKS1_PKT1_SA_S7_PKT3_PKT4_S5_PT5_21rocsparse_index_base_b.uses_flat_scratch, 0
	.set _ZN9rocsparseL20bsrxmvn_17_32_kernelILj26EiiiaaiEEvT2_20rocsparse_direction_NS_24const_host_device_scalarIT0_EES1_PKS1_PKT1_SA_S7_PKT3_PKT4_S5_PT5_21rocsparse_index_base_b.has_dyn_sized_stack, 0
	.set _ZN9rocsparseL20bsrxmvn_17_32_kernelILj26EiiiaaiEEvT2_20rocsparse_direction_NS_24const_host_device_scalarIT0_EES1_PKS1_PKT1_SA_S7_PKT3_PKT4_S5_PT5_21rocsparse_index_base_b.has_recursion, 0
	.set _ZN9rocsparseL20bsrxmvn_17_32_kernelILj26EiiiaaiEEvT2_20rocsparse_direction_NS_24const_host_device_scalarIT0_EES1_PKS1_PKT1_SA_S7_PKT3_PKT4_S5_PT5_21rocsparse_index_base_b.has_indirect_call, 0
	.section	.AMDGPU.csdata,"",@progbits
; Kernel info:
; codeLenInByte = 1292
; TotalNumSgprs: 23
; NumVgprs: 11
; ScratchSize: 0
; MemoryBound: 0
; FloatMode: 240
; IeeeMode: 1
; LDSByteSize: 2704 bytes/workgroup (compile time only)
; SGPRBlocks: 8
; VGPRBlocks: 6
; NumSGPRsForWavesPerEU: 65
; NumVGPRsForWavesPerEU: 25
; Occupancy: 9
; WaveLimiterHint : 1
; COMPUTE_PGM_RSRC2:SCRATCH_EN: 0
; COMPUTE_PGM_RSRC2:USER_SGPR: 6
; COMPUTE_PGM_RSRC2:TRAP_HANDLER: 0
; COMPUTE_PGM_RSRC2:TGID_X_EN: 1
; COMPUTE_PGM_RSRC2:TGID_Y_EN: 0
; COMPUTE_PGM_RSRC2:TGID_Z_EN: 0
; COMPUTE_PGM_RSRC2:TIDIG_COMP_CNT: 0
	.section	.text._ZN9rocsparseL20bsrxmvn_17_32_kernelILj27EiiiaaiEEvT2_20rocsparse_direction_NS_24const_host_device_scalarIT0_EES1_PKS1_PKT1_SA_S7_PKT3_PKT4_S5_PT5_21rocsparse_index_base_b,"axG",@progbits,_ZN9rocsparseL20bsrxmvn_17_32_kernelILj27EiiiaaiEEvT2_20rocsparse_direction_NS_24const_host_device_scalarIT0_EES1_PKS1_PKT1_SA_S7_PKT3_PKT4_S5_PT5_21rocsparse_index_base_b,comdat
	.globl	_ZN9rocsparseL20bsrxmvn_17_32_kernelILj27EiiiaaiEEvT2_20rocsparse_direction_NS_24const_host_device_scalarIT0_EES1_PKS1_PKT1_SA_S7_PKT3_PKT4_S5_PT5_21rocsparse_index_base_b ; -- Begin function _ZN9rocsparseL20bsrxmvn_17_32_kernelILj27EiiiaaiEEvT2_20rocsparse_direction_NS_24const_host_device_scalarIT0_EES1_PKS1_PKT1_SA_S7_PKT3_PKT4_S5_PT5_21rocsparse_index_base_b
	.p2align	8
	.type	_ZN9rocsparseL20bsrxmvn_17_32_kernelILj27EiiiaaiEEvT2_20rocsparse_direction_NS_24const_host_device_scalarIT0_EES1_PKS1_PKT1_SA_S7_PKT3_PKT4_S5_PT5_21rocsparse_index_base_b,@function
_ZN9rocsparseL20bsrxmvn_17_32_kernelILj27EiiiaaiEEvT2_20rocsparse_direction_NS_24const_host_device_scalarIT0_EES1_PKS1_PKT1_SA_S7_PKT3_PKT4_S5_PT5_21rocsparse_index_base_b: ; @_ZN9rocsparseL20bsrxmvn_17_32_kernelILj27EiiiaaiEEvT2_20rocsparse_direction_NS_24const_host_device_scalarIT0_EES1_PKS1_PKT1_SA_S7_PKT3_PKT4_S5_PT5_21rocsparse_index_base_b
; %bb.0:
	s_load_dwordx2 s[14:15], s[4:5], 0x58
	s_load_dwordx2 s[8:9], s[4:5], 0x8
	s_mov_b64 s[10:11], -1
	s_waitcnt lgkmcnt(0)
	s_bitcmp1_b32 s15, 0
	s_cselect_b64 s[0:1], -1, 0
	s_xor_b64 s[2:3], s[0:1], -1
	s_and_b64 vcc, exec, s[2:3]
                                        ; implicit-def: $sgpr15
	s_cbranch_vccnz .LBB202_4
; %bb.1:
	s_load_dwordx2 s[0:1], s[4:5], 0x48
	s_andn2_b64 vcc, exec, s[10:11]
	s_cbranch_vccz .LBB202_5
.LBB202_2:
	s_and_b64 vcc, exec, s[2:3]
	s_cbranch_vccz .LBB202_6
.LBB202_3:
	s_waitcnt lgkmcnt(0)
	s_load_dword s18, s[0:1], 0x0
	s_cbranch_execz .LBB202_7
	s_branch .LBB202_8
.LBB202_4:
	s_load_dword s15, s[8:9], 0x0
	s_load_dwordx2 s[0:1], s[4:5], 0x48
	s_cbranch_execnz .LBB202_2
.LBB202_5:
	s_waitcnt lgkmcnt(0)
	s_mov_b32 s15, s8
	s_and_b64 vcc, exec, s[2:3]
	s_cbranch_vccnz .LBB202_3
.LBB202_6:
                                        ; implicit-def: $sgpr18
.LBB202_7:
	s_waitcnt lgkmcnt(0)
	s_mov_b32 s18, s0
.LBB202_8:
	s_waitcnt lgkmcnt(0)
	s_cmp_lg_u32 s15, 0
	s_cselect_b64 s[0:1], -1, 0
	s_cmp_lg_u32 s18, 1
	s_cselect_b64 s[2:3], -1, 0
	s_or_b64 s[0:1], s[0:1], s[2:3]
	s_andn2_b64 vcc, exec, s[0:1]
	s_cbranch_vccnz .LBB202_44
; %bb.9:
	s_load_dwordx4 s[0:3], s[4:5], 0x18
	s_load_dwordx2 s[8:9], s[4:5], 0x28
	s_waitcnt lgkmcnt(0)
	s_cmp_eq_u64 s[0:1], 0
	s_cbranch_scc1 .LBB202_11
; %bb.10:
	s_ashr_i32 s7, s6, 31
	s_lshl_b64 s[6:7], s[6:7], 2
	s_add_u32 s0, s0, s6
	s_addc_u32 s1, s1, s7
	s_load_dword s0, s[0:1], 0x0
	s_waitcnt lgkmcnt(0)
	s_sub_i32 s6, s0, s14
.LBB202_11:
	s_load_dword s0, s[4:5], 0x4
	s_load_dwordx2 s[12:13], s[4:5], 0x50
	v_mul_u32_u24_e32 v1, 0x97c, v0
	v_mov_b32_e32 v2, 27
	v_mul_lo_u16_sdwa v2, v1, v2 dst_sel:DWORD dst_unused:UNUSED_PAD src0_sel:WORD_1 src1_sel:DWORD
	s_waitcnt lgkmcnt(0)
	s_cmp_eq_u32 s0, 1
	s_cselect_b64 vcc, -1, 0
	s_cmp_lg_u32 s0, 1
	s_cselect_b64 s[16:17], -1, 0
	s_ashr_i32 s7, s6, 31
	s_lshl_b64 s[0:1], s[6:7], 2
	s_add_u32 s2, s2, s0
	s_addc_u32 s3, s3, s1
	s_load_dword s7, s[2:3], 0x0
	s_add_u32 s2, s2, 4
	s_addc_u32 s3, s3, 0
	s_add_u32 s0, s8, s0
	s_addc_u32 s1, s9, s1
	s_cmp_eq_u64 s[8:9], 0
	s_cselect_b32 s1, s3, s1
	s_cselect_b32 s0, s2, s0
	s_load_dword s0, s[0:1], 0x0
	v_sub_u16_e32 v7, v0, v2
	v_mov_b32_e32 v6, 0
	s_waitcnt lgkmcnt(0)
	s_cmp_ge_i32 s7, s0
	s_cbranch_scc1 .LBB202_16
; %bb.12:
	s_load_dwordx4 s[8:11], s[4:5], 0x30
	s_load_dwordx2 s[2:3], s[4:5], 0x40
	s_sub_i32 s4, s0, s14
	s_mov_b32 s0, 0xffff
	s_movk_i32 s1, 0x2d9
	v_and_b32_sdwa v1, s0, v1 dst_sel:DWORD dst_unused:UNUSED_PAD src0_sel:DWORD src1_sel:WORD_1
	v_subrev_u32_e32 v2, 27, v1
	v_cmp_gt_u32_e64 s[0:1], s1, v0
	s_sub_i32 s5, s7, s14
	v_cndmask_b32_e64 v1, v2, v1, s[0:1]
	s_mul_i32 s1, s5, 0x2d9
	s_mul_hi_i32 s0, s5, 0x2d9
	s_waitcnt lgkmcnt(0)
	s_add_u32 s1, s10, s1
	s_addc_u32 s0, s11, s0
	v_cndmask_b32_e32 v1, v7, v1, vcc
	v_mov_b32_e32 v3, s0
	v_add_co_u32_e32 v2, vcc, s1, v0
	v_addc_co_u32_e32 v3, vcc, 0, v3, vcc
	s_movk_i32 s0, 0x2d8
	v_cmp_lt_u32_e32 vcc, s0, v0
	v_mov_b32_e32 v6, 0
	v_cndmask_b32_e64 v8, 0, 1, vcc
	s_branch .LBB202_14
.LBB202_13:                             ;   in Loop: Header=BB202_14 Depth=1
	s_or_b64 exec, exec, s[0:1]
	s_add_i32 s5, s5, 1
	s_cmp_lt_i32 s5, s4
	s_cbranch_scc0 .LBB202_16
.LBB202_14:                             ; =>This Inner Loop Header: Depth=1
	v_add_u32_e32 v4, s5, v8
	v_cmp_gt_i32_e32 vcc, s4, v4
	s_and_saveexec_b64 s[0:1], vcc
	s_cbranch_execz .LBB202_13
; %bb.15:                               ;   in Loop: Header=BB202_14 Depth=1
	v_ashrrev_i32_e32 v5, 31, v4
	v_lshlrev_b64 v[4:5], 2, v[4:5]
	v_mov_b32_e32 v9, s9
	v_add_co_u32_e32 v4, vcc, s8, v4
	v_addc_co_u32_e32 v5, vcc, v9, v5, vcc
	global_load_dword v4, v[4:5], off
	s_waitcnt vmcnt(0)
	v_subrev_u32_e32 v4, s14, v4
	v_mad_u64_u32 v[4:5], s[10:11], v4, 27, v[1:2]
	v_mov_b32_e32 v5, s3
	global_load_sbyte v9, v[2:3], off
	v_ashrrev_i32_e32 v10, 31, v4
	v_add_co_u32_e32 v4, vcc, s2, v4
	v_addc_co_u32_e32 v5, vcc, v5, v10, vcc
	global_load_sbyte v4, v[4:5], off
	v_add_co_u32_e32 v2, vcc, 0x2d9, v2
	v_addc_co_u32_e32 v3, vcc, 0, v3, vcc
	s_waitcnt vmcnt(0)
	v_mad_i32_i24 v6, v4, v9, v6
	s_branch .LBB202_13
.LBB202_16:
	v_lshlrev_b32_e32 v1, 2, v0
	s_and_b64 vcc, exec, s[16:17]
	ds_write_b32 v1, v6
	s_waitcnt lgkmcnt(0)
	s_barrier
	s_cbranch_vccz .LBB202_28
; %bb.17:
	v_cmp_gt_u16_e32 vcc, 11, v7
	s_and_saveexec_b64 s[0:1], vcc
	s_cbranch_execz .LBB202_19
; %bb.18:
	ds_read2_b32 v[2:3], v1 offset1:16
	s_waitcnt lgkmcnt(0)
	v_add_u32_e32 v2, v2, v3
	ds_write_b32 v1, v2
.LBB202_19:
	s_or_b64 exec, exec, s[0:1]
	v_cmp_gt_u16_e32 vcc, 8, v7
	s_waitcnt lgkmcnt(0)
	s_barrier
	s_and_saveexec_b64 s[0:1], vcc
	s_cbranch_execz .LBB202_21
; %bb.20:
	ds_read2_b32 v[2:3], v1 offset1:8
	s_waitcnt lgkmcnt(0)
	v_add_u32_e32 v2, v2, v3
	ds_write_b32 v1, v2
.LBB202_21:
	s_or_b64 exec, exec, s[0:1]
	v_cmp_gt_u16_e32 vcc, 4, v7
	s_waitcnt lgkmcnt(0)
	s_barrier
	;; [unrolled: 12-line block ×3, first 2 shown]
	s_and_saveexec_b64 s[0:1], vcc
	s_cbranch_execz .LBB202_25
; %bb.24:
	ds_read2_b32 v[2:3], v1 offset1:2
	s_waitcnt lgkmcnt(0)
	v_add_u32_e32 v2, v2, v3
	ds_write_b32 v1, v2
.LBB202_25:
	s_or_b64 exec, exec, s[0:1]
	v_cmp_gt_u32_e32 vcc, 27, v0
	v_mov_b32_e32 v2, v6
	s_waitcnt lgkmcnt(0)
	s_barrier
	s_and_saveexec_b64 s[0:1], vcc
	s_cbranch_execz .LBB202_27
; %bb.26:
	s_movk_i32 s2, 0x68
	v_mad_u32_u24 v2, v0, s2, v1
	ds_read2_b32 v[2:3], v2 offset1:1
	s_waitcnt lgkmcnt(0)
	v_add_u32_e32 v2, v3, v2
.LBB202_27:
	s_or_b64 exec, exec, s[0:1]
	s_branch .LBB202_40
.LBB202_28:
                                        ; implicit-def: $vgpr2
	s_cbranch_execz .LBB202_40
; %bb.29:
	s_movk_i32 s0, 0x129
	v_cmp_gt_u32_e32 vcc, s0, v0
	s_and_saveexec_b64 s[0:1], vcc
	s_cbranch_execz .LBB202_31
; %bb.30:
	ds_read_b32 v2, v1 offset:1728
	ds_read_b32 v3, v1
	s_waitcnt lgkmcnt(0)
	v_add_u32_e32 v2, v3, v2
	ds_write_b32 v1, v2
.LBB202_31:
	s_or_b64 exec, exec, s[0:1]
	s_movk_i32 s0, 0xd8
	v_cmp_gt_u32_e32 vcc, s0, v0
	s_waitcnt lgkmcnt(0)
	s_barrier
	s_and_saveexec_b64 s[0:1], vcc
	s_cbranch_execz .LBB202_33
; %bb.32:
	ds_read2_b32 v[2:3], v1 offset1:216
	s_waitcnt lgkmcnt(0)
	v_add_u32_e32 v2, v2, v3
	ds_write_b32 v1, v2
.LBB202_33:
	s_or_b64 exec, exec, s[0:1]
	s_movk_i32 s0, 0x6c
	v_cmp_gt_u32_e32 vcc, s0, v0
	s_waitcnt lgkmcnt(0)
	s_barrier
	s_and_saveexec_b64 s[0:1], vcc
	s_cbranch_execz .LBB202_35
; %bb.34:
	ds_read2_b32 v[2:3], v1 offset1:108
	s_waitcnt lgkmcnt(0)
	v_add_u32_e32 v2, v2, v3
	ds_write_b32 v1, v2
.LBB202_35:
	s_or_b64 exec, exec, s[0:1]
	v_cmp_gt_u32_e32 vcc, 54, v0
	s_waitcnt lgkmcnt(0)
	s_barrier
	s_and_saveexec_b64 s[0:1], vcc
	s_cbranch_execz .LBB202_37
; %bb.36:
	ds_read2_b32 v[2:3], v1 offset1:54
	s_waitcnt lgkmcnt(0)
	v_add_u32_e32 v2, v2, v3
	ds_write_b32 v1, v2
.LBB202_37:
	s_or_b64 exec, exec, s[0:1]
	v_cmp_gt_u32_e32 vcc, 27, v0
	s_waitcnt lgkmcnt(0)
	s_and_saveexec_b64 s[0:1], vcc
	s_cbranch_execz .LBB202_39
; %bb.38:
	ds_read2_b32 v[1:2], v1 offset1:27
	s_waitcnt lgkmcnt(0)
	v_add_u32_e32 v6, v2, v1
.LBB202_39:
	s_or_b64 exec, exec, s[0:1]
	v_mov_b32_e32 v2, v6
.LBB202_40:
	v_cmp_gt_u32_e32 vcc, 27, v0
	s_and_saveexec_b64 s[0:1], vcc
	s_cbranch_execz .LBB202_44
; %bb.41:
	v_mul_lo_u32 v1, v2, s15
	s_cmp_eq_u32 s18, 0
	s_cbranch_scc1 .LBB202_45
; %bb.42:
	v_mad_u64_u32 v[2:3], s[0:1], s6, 27, v[0:1]
	v_mov_b32_e32 v3, 0
	v_mov_b32_e32 v4, s13
	v_lshlrev_b64 v[2:3], 2, v[2:3]
	v_add_co_u32_e32 v2, vcc, s12, v2
	v_addc_co_u32_e32 v3, vcc, v4, v3, vcc
	global_load_dword v4, v[2:3], off
	s_waitcnt vmcnt(0)
	v_mad_u64_u32 v[4:5], s[0:1], v4, s18, v[1:2]
	global_store_dword v[2:3], v4, off
	s_cbranch_execnz .LBB202_44
.LBB202_43:
	v_mad_u64_u32 v[2:3], s[0:1], s6, 27, v[0:1]
	v_mov_b32_e32 v3, 0
	v_mov_b32_e32 v0, s13
	v_lshlrev_b64 v[2:3], 2, v[2:3]
	v_add_co_u32_e32 v2, vcc, s12, v2
	v_addc_co_u32_e32 v3, vcc, v0, v3, vcc
	global_store_dword v[2:3], v1, off
.LBB202_44:
	s_endpgm
.LBB202_45:
	s_branch .LBB202_43
	.section	.rodata,"a",@progbits
	.p2align	6, 0x0
	.amdhsa_kernel _ZN9rocsparseL20bsrxmvn_17_32_kernelILj27EiiiaaiEEvT2_20rocsparse_direction_NS_24const_host_device_scalarIT0_EES1_PKS1_PKT1_SA_S7_PKT3_PKT4_S5_PT5_21rocsparse_index_base_b
		.amdhsa_group_segment_fixed_size 2916
		.amdhsa_private_segment_fixed_size 0
		.amdhsa_kernarg_size 96
		.amdhsa_user_sgpr_count 6
		.amdhsa_user_sgpr_private_segment_buffer 1
		.amdhsa_user_sgpr_dispatch_ptr 0
		.amdhsa_user_sgpr_queue_ptr 0
		.amdhsa_user_sgpr_kernarg_segment_ptr 1
		.amdhsa_user_sgpr_dispatch_id 0
		.amdhsa_user_sgpr_flat_scratch_init 0
		.amdhsa_user_sgpr_private_segment_size 0
		.amdhsa_uses_dynamic_stack 0
		.amdhsa_system_sgpr_private_segment_wavefront_offset 0
		.amdhsa_system_sgpr_workgroup_id_x 1
		.amdhsa_system_sgpr_workgroup_id_y 0
		.amdhsa_system_sgpr_workgroup_id_z 0
		.amdhsa_system_sgpr_workgroup_info 0
		.amdhsa_system_vgpr_workitem_id 0
		.amdhsa_next_free_vgpr 25
		.amdhsa_next_free_sgpr 61
		.amdhsa_reserve_vcc 1
		.amdhsa_reserve_flat_scratch 0
		.amdhsa_float_round_mode_32 0
		.amdhsa_float_round_mode_16_64 0
		.amdhsa_float_denorm_mode_32 3
		.amdhsa_float_denorm_mode_16_64 3
		.amdhsa_dx10_clamp 1
		.amdhsa_ieee_mode 1
		.amdhsa_fp16_overflow 0
		.amdhsa_exception_fp_ieee_invalid_op 0
		.amdhsa_exception_fp_denorm_src 0
		.amdhsa_exception_fp_ieee_div_zero 0
		.amdhsa_exception_fp_ieee_overflow 0
		.amdhsa_exception_fp_ieee_underflow 0
		.amdhsa_exception_fp_ieee_inexact 0
		.amdhsa_exception_int_div_zero 0
	.end_amdhsa_kernel
	.section	.text._ZN9rocsparseL20bsrxmvn_17_32_kernelILj27EiiiaaiEEvT2_20rocsparse_direction_NS_24const_host_device_scalarIT0_EES1_PKS1_PKT1_SA_S7_PKT3_PKT4_S5_PT5_21rocsparse_index_base_b,"axG",@progbits,_ZN9rocsparseL20bsrxmvn_17_32_kernelILj27EiiiaaiEEvT2_20rocsparse_direction_NS_24const_host_device_scalarIT0_EES1_PKS1_PKT1_SA_S7_PKT3_PKT4_S5_PT5_21rocsparse_index_base_b,comdat
.Lfunc_end202:
	.size	_ZN9rocsparseL20bsrxmvn_17_32_kernelILj27EiiiaaiEEvT2_20rocsparse_direction_NS_24const_host_device_scalarIT0_EES1_PKS1_PKT1_SA_S7_PKT3_PKT4_S5_PT5_21rocsparse_index_base_b, .Lfunc_end202-_ZN9rocsparseL20bsrxmvn_17_32_kernelILj27EiiiaaiEEvT2_20rocsparse_direction_NS_24const_host_device_scalarIT0_EES1_PKS1_PKT1_SA_S7_PKT3_PKT4_S5_PT5_21rocsparse_index_base_b
                                        ; -- End function
	.set _ZN9rocsparseL20bsrxmvn_17_32_kernelILj27EiiiaaiEEvT2_20rocsparse_direction_NS_24const_host_device_scalarIT0_EES1_PKS1_PKT1_SA_S7_PKT3_PKT4_S5_PT5_21rocsparse_index_base_b.num_vgpr, 11
	.set _ZN9rocsparseL20bsrxmvn_17_32_kernelILj27EiiiaaiEEvT2_20rocsparse_direction_NS_24const_host_device_scalarIT0_EES1_PKS1_PKT1_SA_S7_PKT3_PKT4_S5_PT5_21rocsparse_index_base_b.num_agpr, 0
	.set _ZN9rocsparseL20bsrxmvn_17_32_kernelILj27EiiiaaiEEvT2_20rocsparse_direction_NS_24const_host_device_scalarIT0_EES1_PKS1_PKT1_SA_S7_PKT3_PKT4_S5_PT5_21rocsparse_index_base_b.numbered_sgpr, 19
	.set _ZN9rocsparseL20bsrxmvn_17_32_kernelILj27EiiiaaiEEvT2_20rocsparse_direction_NS_24const_host_device_scalarIT0_EES1_PKS1_PKT1_SA_S7_PKT3_PKT4_S5_PT5_21rocsparse_index_base_b.num_named_barrier, 0
	.set _ZN9rocsparseL20bsrxmvn_17_32_kernelILj27EiiiaaiEEvT2_20rocsparse_direction_NS_24const_host_device_scalarIT0_EES1_PKS1_PKT1_SA_S7_PKT3_PKT4_S5_PT5_21rocsparse_index_base_b.private_seg_size, 0
	.set _ZN9rocsparseL20bsrxmvn_17_32_kernelILj27EiiiaaiEEvT2_20rocsparse_direction_NS_24const_host_device_scalarIT0_EES1_PKS1_PKT1_SA_S7_PKT3_PKT4_S5_PT5_21rocsparse_index_base_b.uses_vcc, 1
	.set _ZN9rocsparseL20bsrxmvn_17_32_kernelILj27EiiiaaiEEvT2_20rocsparse_direction_NS_24const_host_device_scalarIT0_EES1_PKS1_PKT1_SA_S7_PKT3_PKT4_S5_PT5_21rocsparse_index_base_b.uses_flat_scratch, 0
	.set _ZN9rocsparseL20bsrxmvn_17_32_kernelILj27EiiiaaiEEvT2_20rocsparse_direction_NS_24const_host_device_scalarIT0_EES1_PKS1_PKT1_SA_S7_PKT3_PKT4_S5_PT5_21rocsparse_index_base_b.has_dyn_sized_stack, 0
	.set _ZN9rocsparseL20bsrxmvn_17_32_kernelILj27EiiiaaiEEvT2_20rocsparse_direction_NS_24const_host_device_scalarIT0_EES1_PKS1_PKT1_SA_S7_PKT3_PKT4_S5_PT5_21rocsparse_index_base_b.has_recursion, 0
	.set _ZN9rocsparseL20bsrxmvn_17_32_kernelILj27EiiiaaiEEvT2_20rocsparse_direction_NS_24const_host_device_scalarIT0_EES1_PKS1_PKT1_SA_S7_PKT3_PKT4_S5_PT5_21rocsparse_index_base_b.has_indirect_call, 0
	.section	.AMDGPU.csdata,"",@progbits
; Kernel info:
; codeLenInByte = 1292
; TotalNumSgprs: 23
; NumVgprs: 11
; ScratchSize: 0
; MemoryBound: 0
; FloatMode: 240
; IeeeMode: 1
; LDSByteSize: 2916 bytes/workgroup (compile time only)
; SGPRBlocks: 8
; VGPRBlocks: 6
; NumSGPRsForWavesPerEU: 65
; NumVGPRsForWavesPerEU: 25
; Occupancy: 9
; WaveLimiterHint : 1
; COMPUTE_PGM_RSRC2:SCRATCH_EN: 0
; COMPUTE_PGM_RSRC2:USER_SGPR: 6
; COMPUTE_PGM_RSRC2:TRAP_HANDLER: 0
; COMPUTE_PGM_RSRC2:TGID_X_EN: 1
; COMPUTE_PGM_RSRC2:TGID_Y_EN: 0
; COMPUTE_PGM_RSRC2:TGID_Z_EN: 0
; COMPUTE_PGM_RSRC2:TIDIG_COMP_CNT: 0
	.section	.text._ZN9rocsparseL20bsrxmvn_17_32_kernelILj28EiiiaaiEEvT2_20rocsparse_direction_NS_24const_host_device_scalarIT0_EES1_PKS1_PKT1_SA_S7_PKT3_PKT4_S5_PT5_21rocsparse_index_base_b,"axG",@progbits,_ZN9rocsparseL20bsrxmvn_17_32_kernelILj28EiiiaaiEEvT2_20rocsparse_direction_NS_24const_host_device_scalarIT0_EES1_PKS1_PKT1_SA_S7_PKT3_PKT4_S5_PT5_21rocsparse_index_base_b,comdat
	.globl	_ZN9rocsparseL20bsrxmvn_17_32_kernelILj28EiiiaaiEEvT2_20rocsparse_direction_NS_24const_host_device_scalarIT0_EES1_PKS1_PKT1_SA_S7_PKT3_PKT4_S5_PT5_21rocsparse_index_base_b ; -- Begin function _ZN9rocsparseL20bsrxmvn_17_32_kernelILj28EiiiaaiEEvT2_20rocsparse_direction_NS_24const_host_device_scalarIT0_EES1_PKS1_PKT1_SA_S7_PKT3_PKT4_S5_PT5_21rocsparse_index_base_b
	.p2align	8
	.type	_ZN9rocsparseL20bsrxmvn_17_32_kernelILj28EiiiaaiEEvT2_20rocsparse_direction_NS_24const_host_device_scalarIT0_EES1_PKS1_PKT1_SA_S7_PKT3_PKT4_S5_PT5_21rocsparse_index_base_b,@function
_ZN9rocsparseL20bsrxmvn_17_32_kernelILj28EiiiaaiEEvT2_20rocsparse_direction_NS_24const_host_device_scalarIT0_EES1_PKS1_PKT1_SA_S7_PKT3_PKT4_S5_PT5_21rocsparse_index_base_b: ; @_ZN9rocsparseL20bsrxmvn_17_32_kernelILj28EiiiaaiEEvT2_20rocsparse_direction_NS_24const_host_device_scalarIT0_EES1_PKS1_PKT1_SA_S7_PKT3_PKT4_S5_PT5_21rocsparse_index_base_b
; %bb.0:
	s_load_dwordx2 s[14:15], s[4:5], 0x58
	s_load_dwordx2 s[8:9], s[4:5], 0x8
	s_mov_b64 s[10:11], -1
	s_waitcnt lgkmcnt(0)
	s_bitcmp1_b32 s15, 0
	s_cselect_b64 s[0:1], -1, 0
	s_xor_b64 s[2:3], s[0:1], -1
	s_and_b64 vcc, exec, s[2:3]
                                        ; implicit-def: $sgpr15
	s_cbranch_vccnz .LBB203_4
; %bb.1:
	s_load_dwordx2 s[0:1], s[4:5], 0x48
	s_andn2_b64 vcc, exec, s[10:11]
	s_cbranch_vccz .LBB203_5
.LBB203_2:
	s_and_b64 vcc, exec, s[2:3]
	s_cbranch_vccz .LBB203_6
.LBB203_3:
	s_waitcnt lgkmcnt(0)
	s_load_dword s18, s[0:1], 0x0
	s_cbranch_execz .LBB203_7
	s_branch .LBB203_8
.LBB203_4:
	s_load_dword s15, s[8:9], 0x0
	s_load_dwordx2 s[0:1], s[4:5], 0x48
	s_cbranch_execnz .LBB203_2
.LBB203_5:
	s_waitcnt lgkmcnt(0)
	s_mov_b32 s15, s8
	s_and_b64 vcc, exec, s[2:3]
	s_cbranch_vccnz .LBB203_3
.LBB203_6:
                                        ; implicit-def: $sgpr18
.LBB203_7:
	s_waitcnt lgkmcnt(0)
	s_mov_b32 s18, s0
.LBB203_8:
	s_waitcnt lgkmcnt(0)
	s_cmp_lg_u32 s15, 0
	s_cselect_b64 s[0:1], -1, 0
	s_cmp_lg_u32 s18, 1
	s_cselect_b64 s[2:3], -1, 0
	s_or_b64 s[0:1], s[0:1], s[2:3]
	s_andn2_b64 vcc, exec, s[0:1]
	s_cbranch_vccnz .LBB203_44
; %bb.9:
	s_load_dwordx4 s[0:3], s[4:5], 0x18
	s_load_dwordx2 s[8:9], s[4:5], 0x28
	s_waitcnt lgkmcnt(0)
	s_cmp_eq_u64 s[0:1], 0
	s_cbranch_scc1 .LBB203_11
; %bb.10:
	s_ashr_i32 s7, s6, 31
	s_lshl_b64 s[6:7], s[6:7], 2
	s_add_u32 s0, s0, s6
	s_addc_u32 s1, s1, s7
	s_load_dword s0, s[0:1], 0x0
	s_waitcnt lgkmcnt(0)
	s_sub_i32 s6, s0, s14
.LBB203_11:
	s_load_dword s0, s[4:5], 0x4
	s_load_dwordx2 s[12:13], s[4:5], 0x50
	v_mul_u32_u24_e32 v1, 0x925, v0
	v_mov_b32_e32 v2, 28
	v_mul_lo_u16_sdwa v2, v1, v2 dst_sel:DWORD dst_unused:UNUSED_PAD src0_sel:WORD_1 src1_sel:DWORD
	s_waitcnt lgkmcnt(0)
	s_cmp_eq_u32 s0, 1
	s_cselect_b64 vcc, -1, 0
	s_cmp_lg_u32 s0, 1
	s_cselect_b64 s[16:17], -1, 0
	s_ashr_i32 s7, s6, 31
	s_lshl_b64 s[0:1], s[6:7], 2
	s_add_u32 s2, s2, s0
	s_addc_u32 s3, s3, s1
	s_load_dword s7, s[2:3], 0x0
	s_add_u32 s2, s2, 4
	s_addc_u32 s3, s3, 0
	s_add_u32 s0, s8, s0
	s_addc_u32 s1, s9, s1
	s_cmp_eq_u64 s[8:9], 0
	s_cselect_b32 s1, s3, s1
	s_cselect_b32 s0, s2, s0
	s_load_dword s0, s[0:1], 0x0
	v_sub_u16_e32 v7, v0, v2
	v_mov_b32_e32 v6, 0
	s_waitcnt lgkmcnt(0)
	s_cmp_ge_i32 s7, s0
	s_cbranch_scc1 .LBB203_16
; %bb.12:
	s_load_dwordx4 s[8:11], s[4:5], 0x30
	s_load_dwordx2 s[2:3], s[4:5], 0x40
	s_sub_i32 s4, s0, s14
	s_mov_b32 s0, 0xffff
	s_movk_i32 s1, 0x310
	v_and_b32_sdwa v1, s0, v1 dst_sel:DWORD dst_unused:UNUSED_PAD src0_sel:DWORD src1_sel:WORD_1
	v_subrev_u32_e32 v2, 28, v1
	v_cmp_gt_u32_e64 s[0:1], s1, v0
	s_sub_i32 s5, s7, s14
	v_cndmask_b32_e64 v1, v2, v1, s[0:1]
	s_mul_i32 s1, s5, 0x310
	s_mul_hi_i32 s0, s5, 0x310
	s_waitcnt lgkmcnt(0)
	s_add_u32 s1, s10, s1
	s_addc_u32 s0, s11, s0
	v_cndmask_b32_e32 v1, v7, v1, vcc
	v_mov_b32_e32 v3, s0
	v_add_co_u32_e32 v2, vcc, s1, v0
	v_addc_co_u32_e32 v3, vcc, 0, v3, vcc
	s_movk_i32 s0, 0x30f
	v_cmp_lt_u32_e32 vcc, s0, v0
	v_mov_b32_e32 v6, 0
	v_cndmask_b32_e64 v8, 0, 1, vcc
	s_branch .LBB203_14
.LBB203_13:                             ;   in Loop: Header=BB203_14 Depth=1
	s_or_b64 exec, exec, s[0:1]
	s_add_i32 s5, s5, 1
	s_cmp_lt_i32 s5, s4
	s_cbranch_scc0 .LBB203_16
.LBB203_14:                             ; =>This Inner Loop Header: Depth=1
	v_add_u32_e32 v4, s5, v8
	v_cmp_gt_i32_e32 vcc, s4, v4
	s_and_saveexec_b64 s[0:1], vcc
	s_cbranch_execz .LBB203_13
; %bb.15:                               ;   in Loop: Header=BB203_14 Depth=1
	v_ashrrev_i32_e32 v5, 31, v4
	v_lshlrev_b64 v[4:5], 2, v[4:5]
	v_mov_b32_e32 v9, s9
	v_add_co_u32_e32 v4, vcc, s8, v4
	v_addc_co_u32_e32 v5, vcc, v9, v5, vcc
	global_load_dword v4, v[4:5], off
	s_waitcnt vmcnt(0)
	v_subrev_u32_e32 v4, s14, v4
	v_mad_u64_u32 v[4:5], s[10:11], v4, 28, v[1:2]
	v_mov_b32_e32 v5, s3
	global_load_sbyte v9, v[2:3], off
	v_ashrrev_i32_e32 v10, 31, v4
	v_add_co_u32_e32 v4, vcc, s2, v4
	v_addc_co_u32_e32 v5, vcc, v5, v10, vcc
	global_load_sbyte v4, v[4:5], off
	v_add_co_u32_e32 v2, vcc, 0x310, v2
	v_addc_co_u32_e32 v3, vcc, 0, v3, vcc
	s_waitcnt vmcnt(0)
	v_mad_i32_i24 v6, v4, v9, v6
	s_branch .LBB203_13
.LBB203_16:
	v_lshlrev_b32_e32 v1, 2, v0
	s_and_b64 vcc, exec, s[16:17]
	ds_write_b32 v1, v6
	s_waitcnt lgkmcnt(0)
	s_barrier
	s_cbranch_vccz .LBB203_28
; %bb.17:
	v_cmp_gt_u16_e32 vcc, 12, v7
	s_and_saveexec_b64 s[0:1], vcc
	s_cbranch_execz .LBB203_19
; %bb.18:
	ds_read2_b32 v[2:3], v1 offset1:16
	s_waitcnt lgkmcnt(0)
	v_add_u32_e32 v2, v2, v3
	ds_write_b32 v1, v2
.LBB203_19:
	s_or_b64 exec, exec, s[0:1]
	v_cmp_gt_u16_e32 vcc, 8, v7
	s_waitcnt lgkmcnt(0)
	s_barrier
	s_and_saveexec_b64 s[0:1], vcc
	s_cbranch_execz .LBB203_21
; %bb.20:
	ds_read2_b32 v[2:3], v1 offset1:8
	s_waitcnt lgkmcnt(0)
	v_add_u32_e32 v2, v2, v3
	ds_write_b32 v1, v2
.LBB203_21:
	s_or_b64 exec, exec, s[0:1]
	v_cmp_gt_u16_e32 vcc, 4, v7
	s_waitcnt lgkmcnt(0)
	s_barrier
	;; [unrolled: 12-line block ×3, first 2 shown]
	s_and_saveexec_b64 s[0:1], vcc
	s_cbranch_execz .LBB203_25
; %bb.24:
	ds_read2_b32 v[2:3], v1 offset1:2
	s_waitcnt lgkmcnt(0)
	v_add_u32_e32 v2, v2, v3
	ds_write_b32 v1, v2
.LBB203_25:
	s_or_b64 exec, exec, s[0:1]
	v_cmp_gt_u32_e32 vcc, 28, v0
	v_mov_b32_e32 v2, v6
	s_waitcnt lgkmcnt(0)
	s_barrier
	s_and_saveexec_b64 s[0:1], vcc
	s_cbranch_execz .LBB203_27
; %bb.26:
	s_movk_i32 s2, 0x6c
	v_mad_u32_u24 v2, v0, s2, v1
	ds_read_b64 v[2:3], v2
	s_waitcnt lgkmcnt(0)
	v_add_u32_e32 v2, v3, v2
.LBB203_27:
	s_or_b64 exec, exec, s[0:1]
	s_branch .LBB203_40
.LBB203_28:
                                        ; implicit-def: $vgpr2
	s_cbranch_execz .LBB203_40
; %bb.29:
	s_movk_i32 s0, 0x150
	v_cmp_gt_u32_e32 vcc, s0, v0
	s_and_saveexec_b64 s[0:1], vcc
	s_cbranch_execz .LBB203_31
; %bb.30:
	ds_read2st64_b32 v[2:3], v1 offset1:7
	s_waitcnt lgkmcnt(0)
	v_add_u32_e32 v2, v2, v3
	ds_write_b32 v1, v2
.LBB203_31:
	s_or_b64 exec, exec, s[0:1]
	s_movk_i32 s0, 0xe0
	v_cmp_gt_u32_e32 vcc, s0, v0
	s_waitcnt lgkmcnt(0)
	s_barrier
	s_and_saveexec_b64 s[0:1], vcc
	s_cbranch_execz .LBB203_33
; %bb.32:
	ds_read2_b32 v[2:3], v1 offset1:224
	s_waitcnt lgkmcnt(0)
	v_add_u32_e32 v2, v2, v3
	ds_write_b32 v1, v2
.LBB203_33:
	s_or_b64 exec, exec, s[0:1]
	s_movk_i32 s0, 0x70
	v_cmp_gt_u32_e32 vcc, s0, v0
	s_waitcnt lgkmcnt(0)
	s_barrier
	s_and_saveexec_b64 s[0:1], vcc
	s_cbranch_execz .LBB203_35
; %bb.34:
	ds_read2_b32 v[2:3], v1 offset1:112
	s_waitcnt lgkmcnt(0)
	v_add_u32_e32 v2, v2, v3
	ds_write_b32 v1, v2
.LBB203_35:
	s_or_b64 exec, exec, s[0:1]
	v_cmp_gt_u32_e32 vcc, 56, v0
	s_waitcnt lgkmcnt(0)
	s_barrier
	s_and_saveexec_b64 s[0:1], vcc
	s_cbranch_execz .LBB203_37
; %bb.36:
	ds_read2_b32 v[2:3], v1 offset1:56
	s_waitcnt lgkmcnt(0)
	v_add_u32_e32 v2, v2, v3
	ds_write_b32 v1, v2
.LBB203_37:
	s_or_b64 exec, exec, s[0:1]
	v_cmp_gt_u32_e32 vcc, 28, v0
	s_waitcnt lgkmcnt(0)
	s_and_saveexec_b64 s[0:1], vcc
	s_cbranch_execz .LBB203_39
; %bb.38:
	ds_read2_b32 v[1:2], v1 offset1:28
	s_waitcnt lgkmcnt(0)
	v_add_u32_e32 v6, v2, v1
.LBB203_39:
	s_or_b64 exec, exec, s[0:1]
	v_mov_b32_e32 v2, v6
.LBB203_40:
	v_cmp_gt_u32_e32 vcc, 28, v0
	s_and_saveexec_b64 s[0:1], vcc
	s_cbranch_execz .LBB203_44
; %bb.41:
	v_mul_lo_u32 v1, v2, s15
	s_cmp_eq_u32 s18, 0
	s_cbranch_scc1 .LBB203_45
; %bb.42:
	v_mad_u64_u32 v[2:3], s[0:1], s6, 28, v[0:1]
	v_mov_b32_e32 v3, 0
	v_mov_b32_e32 v4, s13
	v_lshlrev_b64 v[2:3], 2, v[2:3]
	v_add_co_u32_e32 v2, vcc, s12, v2
	v_addc_co_u32_e32 v3, vcc, v4, v3, vcc
	global_load_dword v4, v[2:3], off
	s_waitcnt vmcnt(0)
	v_mad_u64_u32 v[4:5], s[0:1], v4, s18, v[1:2]
	global_store_dword v[2:3], v4, off
	s_cbranch_execnz .LBB203_44
.LBB203_43:
	v_mad_u64_u32 v[2:3], s[0:1], s6, 28, v[0:1]
	v_mov_b32_e32 v3, 0
	v_mov_b32_e32 v0, s13
	v_lshlrev_b64 v[2:3], 2, v[2:3]
	v_add_co_u32_e32 v2, vcc, s12, v2
	v_addc_co_u32_e32 v3, vcc, v0, v3, vcc
	global_store_dword v[2:3], v1, off
.LBB203_44:
	s_endpgm
.LBB203_45:
	s_branch .LBB203_43
	.section	.rodata,"a",@progbits
	.p2align	6, 0x0
	.amdhsa_kernel _ZN9rocsparseL20bsrxmvn_17_32_kernelILj28EiiiaaiEEvT2_20rocsparse_direction_NS_24const_host_device_scalarIT0_EES1_PKS1_PKT1_SA_S7_PKT3_PKT4_S5_PT5_21rocsparse_index_base_b
		.amdhsa_group_segment_fixed_size 3136
		.amdhsa_private_segment_fixed_size 0
		.amdhsa_kernarg_size 96
		.amdhsa_user_sgpr_count 6
		.amdhsa_user_sgpr_private_segment_buffer 1
		.amdhsa_user_sgpr_dispatch_ptr 0
		.amdhsa_user_sgpr_queue_ptr 0
		.amdhsa_user_sgpr_kernarg_segment_ptr 1
		.amdhsa_user_sgpr_dispatch_id 0
		.amdhsa_user_sgpr_flat_scratch_init 0
		.amdhsa_user_sgpr_private_segment_size 0
		.amdhsa_uses_dynamic_stack 0
		.amdhsa_system_sgpr_private_segment_wavefront_offset 0
		.amdhsa_system_sgpr_workgroup_id_x 1
		.amdhsa_system_sgpr_workgroup_id_y 0
		.amdhsa_system_sgpr_workgroup_id_z 0
		.amdhsa_system_sgpr_workgroup_info 0
		.amdhsa_system_vgpr_workitem_id 0
		.amdhsa_next_free_vgpr 11
		.amdhsa_next_free_sgpr 19
		.amdhsa_reserve_vcc 1
		.amdhsa_reserve_flat_scratch 0
		.amdhsa_float_round_mode_32 0
		.amdhsa_float_round_mode_16_64 0
		.amdhsa_float_denorm_mode_32 3
		.amdhsa_float_denorm_mode_16_64 3
		.amdhsa_dx10_clamp 1
		.amdhsa_ieee_mode 1
		.amdhsa_fp16_overflow 0
		.amdhsa_exception_fp_ieee_invalid_op 0
		.amdhsa_exception_fp_denorm_src 0
		.amdhsa_exception_fp_ieee_div_zero 0
		.amdhsa_exception_fp_ieee_overflow 0
		.amdhsa_exception_fp_ieee_underflow 0
		.amdhsa_exception_fp_ieee_inexact 0
		.amdhsa_exception_int_div_zero 0
	.end_amdhsa_kernel
	.section	.text._ZN9rocsparseL20bsrxmvn_17_32_kernelILj28EiiiaaiEEvT2_20rocsparse_direction_NS_24const_host_device_scalarIT0_EES1_PKS1_PKT1_SA_S7_PKT3_PKT4_S5_PT5_21rocsparse_index_base_b,"axG",@progbits,_ZN9rocsparseL20bsrxmvn_17_32_kernelILj28EiiiaaiEEvT2_20rocsparse_direction_NS_24const_host_device_scalarIT0_EES1_PKS1_PKT1_SA_S7_PKT3_PKT4_S5_PT5_21rocsparse_index_base_b,comdat
.Lfunc_end203:
	.size	_ZN9rocsparseL20bsrxmvn_17_32_kernelILj28EiiiaaiEEvT2_20rocsparse_direction_NS_24const_host_device_scalarIT0_EES1_PKS1_PKT1_SA_S7_PKT3_PKT4_S5_PT5_21rocsparse_index_base_b, .Lfunc_end203-_ZN9rocsparseL20bsrxmvn_17_32_kernelILj28EiiiaaiEEvT2_20rocsparse_direction_NS_24const_host_device_scalarIT0_EES1_PKS1_PKT1_SA_S7_PKT3_PKT4_S5_PT5_21rocsparse_index_base_b
                                        ; -- End function
	.set _ZN9rocsparseL20bsrxmvn_17_32_kernelILj28EiiiaaiEEvT2_20rocsparse_direction_NS_24const_host_device_scalarIT0_EES1_PKS1_PKT1_SA_S7_PKT3_PKT4_S5_PT5_21rocsparse_index_base_b.num_vgpr, 11
	.set _ZN9rocsparseL20bsrxmvn_17_32_kernelILj28EiiiaaiEEvT2_20rocsparse_direction_NS_24const_host_device_scalarIT0_EES1_PKS1_PKT1_SA_S7_PKT3_PKT4_S5_PT5_21rocsparse_index_base_b.num_agpr, 0
	.set _ZN9rocsparseL20bsrxmvn_17_32_kernelILj28EiiiaaiEEvT2_20rocsparse_direction_NS_24const_host_device_scalarIT0_EES1_PKS1_PKT1_SA_S7_PKT3_PKT4_S5_PT5_21rocsparse_index_base_b.numbered_sgpr, 19
	.set _ZN9rocsparseL20bsrxmvn_17_32_kernelILj28EiiiaaiEEvT2_20rocsparse_direction_NS_24const_host_device_scalarIT0_EES1_PKS1_PKT1_SA_S7_PKT3_PKT4_S5_PT5_21rocsparse_index_base_b.num_named_barrier, 0
	.set _ZN9rocsparseL20bsrxmvn_17_32_kernelILj28EiiiaaiEEvT2_20rocsparse_direction_NS_24const_host_device_scalarIT0_EES1_PKS1_PKT1_SA_S7_PKT3_PKT4_S5_PT5_21rocsparse_index_base_b.private_seg_size, 0
	.set _ZN9rocsparseL20bsrxmvn_17_32_kernelILj28EiiiaaiEEvT2_20rocsparse_direction_NS_24const_host_device_scalarIT0_EES1_PKS1_PKT1_SA_S7_PKT3_PKT4_S5_PT5_21rocsparse_index_base_b.uses_vcc, 1
	.set _ZN9rocsparseL20bsrxmvn_17_32_kernelILj28EiiiaaiEEvT2_20rocsparse_direction_NS_24const_host_device_scalarIT0_EES1_PKS1_PKT1_SA_S7_PKT3_PKT4_S5_PT5_21rocsparse_index_base_b.uses_flat_scratch, 0
	.set _ZN9rocsparseL20bsrxmvn_17_32_kernelILj28EiiiaaiEEvT2_20rocsparse_direction_NS_24const_host_device_scalarIT0_EES1_PKS1_PKT1_SA_S7_PKT3_PKT4_S5_PT5_21rocsparse_index_base_b.has_dyn_sized_stack, 0
	.set _ZN9rocsparseL20bsrxmvn_17_32_kernelILj28EiiiaaiEEvT2_20rocsparse_direction_NS_24const_host_device_scalarIT0_EES1_PKS1_PKT1_SA_S7_PKT3_PKT4_S5_PT5_21rocsparse_index_base_b.has_recursion, 0
	.set _ZN9rocsparseL20bsrxmvn_17_32_kernelILj28EiiiaaiEEvT2_20rocsparse_direction_NS_24const_host_device_scalarIT0_EES1_PKS1_PKT1_SA_S7_PKT3_PKT4_S5_PT5_21rocsparse_index_base_b.has_indirect_call, 0
	.section	.AMDGPU.csdata,"",@progbits
; Kernel info:
; codeLenInByte = 1284
; TotalNumSgprs: 23
; NumVgprs: 11
; ScratchSize: 0
; MemoryBound: 0
; FloatMode: 240
; IeeeMode: 1
; LDSByteSize: 3136 bytes/workgroup (compile time only)
; SGPRBlocks: 2
; VGPRBlocks: 2
; NumSGPRsForWavesPerEU: 23
; NumVGPRsForWavesPerEU: 11
; Occupancy: 10
; WaveLimiterHint : 1
; COMPUTE_PGM_RSRC2:SCRATCH_EN: 0
; COMPUTE_PGM_RSRC2:USER_SGPR: 6
; COMPUTE_PGM_RSRC2:TRAP_HANDLER: 0
; COMPUTE_PGM_RSRC2:TGID_X_EN: 1
; COMPUTE_PGM_RSRC2:TGID_Y_EN: 0
; COMPUTE_PGM_RSRC2:TGID_Z_EN: 0
; COMPUTE_PGM_RSRC2:TIDIG_COMP_CNT: 0
	.section	.text._ZN9rocsparseL20bsrxmvn_17_32_kernelILj29EiiiaaiEEvT2_20rocsparse_direction_NS_24const_host_device_scalarIT0_EES1_PKS1_PKT1_SA_S7_PKT3_PKT4_S5_PT5_21rocsparse_index_base_b,"axG",@progbits,_ZN9rocsparseL20bsrxmvn_17_32_kernelILj29EiiiaaiEEvT2_20rocsparse_direction_NS_24const_host_device_scalarIT0_EES1_PKS1_PKT1_SA_S7_PKT3_PKT4_S5_PT5_21rocsparse_index_base_b,comdat
	.globl	_ZN9rocsparseL20bsrxmvn_17_32_kernelILj29EiiiaaiEEvT2_20rocsparse_direction_NS_24const_host_device_scalarIT0_EES1_PKS1_PKT1_SA_S7_PKT3_PKT4_S5_PT5_21rocsparse_index_base_b ; -- Begin function _ZN9rocsparseL20bsrxmvn_17_32_kernelILj29EiiiaaiEEvT2_20rocsparse_direction_NS_24const_host_device_scalarIT0_EES1_PKS1_PKT1_SA_S7_PKT3_PKT4_S5_PT5_21rocsparse_index_base_b
	.p2align	8
	.type	_ZN9rocsparseL20bsrxmvn_17_32_kernelILj29EiiiaaiEEvT2_20rocsparse_direction_NS_24const_host_device_scalarIT0_EES1_PKS1_PKT1_SA_S7_PKT3_PKT4_S5_PT5_21rocsparse_index_base_b,@function
_ZN9rocsparseL20bsrxmvn_17_32_kernelILj29EiiiaaiEEvT2_20rocsparse_direction_NS_24const_host_device_scalarIT0_EES1_PKS1_PKT1_SA_S7_PKT3_PKT4_S5_PT5_21rocsparse_index_base_b: ; @_ZN9rocsparseL20bsrxmvn_17_32_kernelILj29EiiiaaiEEvT2_20rocsparse_direction_NS_24const_host_device_scalarIT0_EES1_PKS1_PKT1_SA_S7_PKT3_PKT4_S5_PT5_21rocsparse_index_base_b
; %bb.0:
	s_load_dwordx2 s[14:15], s[4:5], 0x58
	s_load_dwordx2 s[8:9], s[4:5], 0x8
	s_mov_b64 s[10:11], -1
	s_waitcnt lgkmcnt(0)
	s_bitcmp1_b32 s15, 0
	s_cselect_b64 s[0:1], -1, 0
	s_xor_b64 s[2:3], s[0:1], -1
	s_and_b64 vcc, exec, s[2:3]
                                        ; implicit-def: $sgpr15
	s_cbranch_vccnz .LBB204_4
; %bb.1:
	s_load_dwordx2 s[0:1], s[4:5], 0x48
	s_andn2_b64 vcc, exec, s[10:11]
	s_cbranch_vccz .LBB204_5
.LBB204_2:
	s_and_b64 vcc, exec, s[2:3]
	s_cbranch_vccz .LBB204_6
.LBB204_3:
	s_waitcnt lgkmcnt(0)
	s_load_dword s18, s[0:1], 0x0
	s_cbranch_execz .LBB204_7
	s_branch .LBB204_8
.LBB204_4:
	s_load_dword s15, s[8:9], 0x0
	s_load_dwordx2 s[0:1], s[4:5], 0x48
	s_cbranch_execnz .LBB204_2
.LBB204_5:
	s_waitcnt lgkmcnt(0)
	s_mov_b32 s15, s8
	s_and_b64 vcc, exec, s[2:3]
	s_cbranch_vccnz .LBB204_3
.LBB204_6:
                                        ; implicit-def: $sgpr18
.LBB204_7:
	s_waitcnt lgkmcnt(0)
	s_mov_b32 s18, s0
.LBB204_8:
	s_waitcnt lgkmcnt(0)
	s_cmp_lg_u32 s15, 0
	s_cselect_b64 s[0:1], -1, 0
	s_cmp_lg_u32 s18, 1
	s_cselect_b64 s[2:3], -1, 0
	s_or_b64 s[0:1], s[0:1], s[2:3]
	s_andn2_b64 vcc, exec, s[0:1]
	s_cbranch_vccnz .LBB204_44
; %bb.9:
	s_load_dwordx4 s[0:3], s[4:5], 0x18
	s_load_dwordx2 s[8:9], s[4:5], 0x28
	s_waitcnt lgkmcnt(0)
	s_cmp_eq_u64 s[0:1], 0
	s_cbranch_scc1 .LBB204_11
; %bb.10:
	s_ashr_i32 s7, s6, 31
	s_lshl_b64 s[6:7], s[6:7], 2
	s_add_u32 s0, s0, s6
	s_addc_u32 s1, s1, s7
	s_load_dword s0, s[0:1], 0x0
	s_waitcnt lgkmcnt(0)
	s_sub_i32 s6, s0, s14
.LBB204_11:
	s_load_dword s0, s[4:5], 0x4
	s_load_dwordx2 s[12:13], s[4:5], 0x50
	v_mul_u32_u24_e32 v1, 0x8d4, v0
	v_mov_b32_e32 v2, 29
	v_mul_lo_u16_sdwa v2, v1, v2 dst_sel:DWORD dst_unused:UNUSED_PAD src0_sel:WORD_1 src1_sel:DWORD
	s_waitcnt lgkmcnt(0)
	s_cmp_eq_u32 s0, 1
	s_cselect_b64 vcc, -1, 0
	s_cmp_lg_u32 s0, 1
	s_cselect_b64 s[16:17], -1, 0
	s_ashr_i32 s7, s6, 31
	s_lshl_b64 s[0:1], s[6:7], 2
	s_add_u32 s2, s2, s0
	s_addc_u32 s3, s3, s1
	s_load_dword s7, s[2:3], 0x0
	s_add_u32 s2, s2, 4
	s_addc_u32 s3, s3, 0
	s_add_u32 s0, s8, s0
	s_addc_u32 s1, s9, s1
	s_cmp_eq_u64 s[8:9], 0
	s_cselect_b32 s1, s3, s1
	s_cselect_b32 s0, s2, s0
	s_load_dword s0, s[0:1], 0x0
	v_sub_u16_e32 v7, v0, v2
	v_mov_b32_e32 v6, 0
	s_waitcnt lgkmcnt(0)
	s_cmp_ge_i32 s7, s0
	s_cbranch_scc1 .LBB204_16
; %bb.12:
	s_load_dwordx4 s[8:11], s[4:5], 0x30
	s_load_dwordx2 s[2:3], s[4:5], 0x40
	s_sub_i32 s4, s0, s14
	s_mov_b32 s0, 0xffff
	s_movk_i32 s1, 0x349
	v_and_b32_sdwa v1, s0, v1 dst_sel:DWORD dst_unused:UNUSED_PAD src0_sel:DWORD src1_sel:WORD_1
	v_subrev_u32_e32 v2, 29, v1
	v_cmp_gt_u32_e64 s[0:1], s1, v0
	s_sub_i32 s5, s7, s14
	v_cndmask_b32_e64 v1, v2, v1, s[0:1]
	s_mul_i32 s1, s5, 0x349
	s_mul_hi_i32 s0, s5, 0x349
	s_waitcnt lgkmcnt(0)
	s_add_u32 s1, s10, s1
	s_addc_u32 s0, s11, s0
	v_cndmask_b32_e32 v1, v7, v1, vcc
	v_mov_b32_e32 v3, s0
	v_add_co_u32_e32 v2, vcc, s1, v0
	v_addc_co_u32_e32 v3, vcc, 0, v3, vcc
	s_movk_i32 s0, 0x348
	v_cmp_lt_u32_e32 vcc, s0, v0
	v_mov_b32_e32 v6, 0
	v_cndmask_b32_e64 v8, 0, 1, vcc
	s_branch .LBB204_14
.LBB204_13:                             ;   in Loop: Header=BB204_14 Depth=1
	s_or_b64 exec, exec, s[0:1]
	s_add_i32 s5, s5, 1
	s_cmp_lt_i32 s5, s4
	s_cbranch_scc0 .LBB204_16
.LBB204_14:                             ; =>This Inner Loop Header: Depth=1
	v_add_u32_e32 v4, s5, v8
	v_cmp_gt_i32_e32 vcc, s4, v4
	s_and_saveexec_b64 s[0:1], vcc
	s_cbranch_execz .LBB204_13
; %bb.15:                               ;   in Loop: Header=BB204_14 Depth=1
	v_ashrrev_i32_e32 v5, 31, v4
	v_lshlrev_b64 v[4:5], 2, v[4:5]
	v_mov_b32_e32 v9, s9
	v_add_co_u32_e32 v4, vcc, s8, v4
	v_addc_co_u32_e32 v5, vcc, v9, v5, vcc
	global_load_dword v4, v[4:5], off
	s_waitcnt vmcnt(0)
	v_subrev_u32_e32 v4, s14, v4
	v_mad_u64_u32 v[4:5], s[10:11], v4, 29, v[1:2]
	v_mov_b32_e32 v5, s3
	global_load_sbyte v9, v[2:3], off
	v_ashrrev_i32_e32 v10, 31, v4
	v_add_co_u32_e32 v4, vcc, s2, v4
	v_addc_co_u32_e32 v5, vcc, v5, v10, vcc
	global_load_sbyte v4, v[4:5], off
	v_add_co_u32_e32 v2, vcc, 0x349, v2
	v_addc_co_u32_e32 v3, vcc, 0, v3, vcc
	s_waitcnt vmcnt(0)
	v_mad_i32_i24 v6, v4, v9, v6
	s_branch .LBB204_13
.LBB204_16:
	v_lshlrev_b32_e32 v1, 2, v0
	s_and_b64 vcc, exec, s[16:17]
	ds_write_b32 v1, v6
	s_waitcnt lgkmcnt(0)
	s_barrier
	s_cbranch_vccz .LBB204_28
; %bb.17:
	v_cmp_gt_u16_e32 vcc, 13, v7
	s_and_saveexec_b64 s[0:1], vcc
	s_cbranch_execz .LBB204_19
; %bb.18:
	ds_read2_b32 v[2:3], v1 offset1:16
	s_waitcnt lgkmcnt(0)
	v_add_u32_e32 v2, v2, v3
	ds_write_b32 v1, v2
.LBB204_19:
	s_or_b64 exec, exec, s[0:1]
	v_cmp_gt_u16_e32 vcc, 8, v7
	s_waitcnt lgkmcnt(0)
	s_barrier
	s_and_saveexec_b64 s[0:1], vcc
	s_cbranch_execz .LBB204_21
; %bb.20:
	ds_read2_b32 v[2:3], v1 offset1:8
	s_waitcnt lgkmcnt(0)
	v_add_u32_e32 v2, v2, v3
	ds_write_b32 v1, v2
.LBB204_21:
	s_or_b64 exec, exec, s[0:1]
	v_cmp_gt_u16_e32 vcc, 4, v7
	s_waitcnt lgkmcnt(0)
	s_barrier
	;; [unrolled: 12-line block ×3, first 2 shown]
	s_and_saveexec_b64 s[0:1], vcc
	s_cbranch_execz .LBB204_25
; %bb.24:
	ds_read2_b32 v[2:3], v1 offset1:2
	s_waitcnt lgkmcnt(0)
	v_add_u32_e32 v2, v2, v3
	ds_write_b32 v1, v2
.LBB204_25:
	s_or_b64 exec, exec, s[0:1]
	v_cmp_gt_u32_e32 vcc, 29, v0
	v_mov_b32_e32 v2, v6
	s_waitcnt lgkmcnt(0)
	s_barrier
	s_and_saveexec_b64 s[0:1], vcc
	s_cbranch_execz .LBB204_27
; %bb.26:
	s_movk_i32 s2, 0x70
	v_mad_u32_u24 v2, v0, s2, v1
	ds_read2_b32 v[2:3], v2 offset1:1
	s_waitcnt lgkmcnt(0)
	v_add_u32_e32 v2, v3, v2
.LBB204_27:
	s_or_b64 exec, exec, s[0:1]
	s_branch .LBB204_40
.LBB204_28:
                                        ; implicit-def: $vgpr2
	s_cbranch_execz .LBB204_40
; %bb.29:
	s_movk_i32 s0, 0x179
	v_cmp_gt_u32_e32 vcc, s0, v0
	s_and_saveexec_b64 s[0:1], vcc
	s_cbranch_execz .LBB204_31
; %bb.30:
	ds_read_b32 v2, v1 offset:1856
	ds_read_b32 v3, v1
	s_waitcnt lgkmcnt(0)
	v_add_u32_e32 v2, v3, v2
	ds_write_b32 v1, v2
.LBB204_31:
	s_or_b64 exec, exec, s[0:1]
	s_movk_i32 s0, 0xe8
	v_cmp_gt_u32_e32 vcc, s0, v0
	s_waitcnt lgkmcnt(0)
	s_barrier
	s_and_saveexec_b64 s[0:1], vcc
	s_cbranch_execz .LBB204_33
; %bb.32:
	ds_read2_b32 v[2:3], v1 offset1:232
	s_waitcnt lgkmcnt(0)
	v_add_u32_e32 v2, v2, v3
	ds_write_b32 v1, v2
.LBB204_33:
	s_or_b64 exec, exec, s[0:1]
	s_movk_i32 s0, 0x74
	v_cmp_gt_u32_e32 vcc, s0, v0
	s_waitcnt lgkmcnt(0)
	s_barrier
	s_and_saveexec_b64 s[0:1], vcc
	s_cbranch_execz .LBB204_35
; %bb.34:
	ds_read2_b32 v[2:3], v1 offset1:116
	s_waitcnt lgkmcnt(0)
	v_add_u32_e32 v2, v2, v3
	ds_write_b32 v1, v2
.LBB204_35:
	s_or_b64 exec, exec, s[0:1]
	v_cmp_gt_u32_e32 vcc, 58, v0
	s_waitcnt lgkmcnt(0)
	s_barrier
	s_and_saveexec_b64 s[0:1], vcc
	s_cbranch_execz .LBB204_37
; %bb.36:
	ds_read2_b32 v[2:3], v1 offset1:58
	s_waitcnt lgkmcnt(0)
	v_add_u32_e32 v2, v2, v3
	ds_write_b32 v1, v2
.LBB204_37:
	s_or_b64 exec, exec, s[0:1]
	v_cmp_gt_u32_e32 vcc, 29, v0
	s_waitcnt lgkmcnt(0)
	s_and_saveexec_b64 s[0:1], vcc
	s_cbranch_execz .LBB204_39
; %bb.38:
	ds_read2_b32 v[1:2], v1 offset1:29
	s_waitcnt lgkmcnt(0)
	v_add_u32_e32 v6, v2, v1
.LBB204_39:
	s_or_b64 exec, exec, s[0:1]
	v_mov_b32_e32 v2, v6
.LBB204_40:
	v_cmp_gt_u32_e32 vcc, 29, v0
	s_and_saveexec_b64 s[0:1], vcc
	s_cbranch_execz .LBB204_44
; %bb.41:
	v_mul_lo_u32 v1, v2, s15
	s_cmp_eq_u32 s18, 0
	s_cbranch_scc1 .LBB204_45
; %bb.42:
	v_mad_u64_u32 v[2:3], s[0:1], s6, 29, v[0:1]
	v_mov_b32_e32 v3, 0
	v_mov_b32_e32 v4, s13
	v_lshlrev_b64 v[2:3], 2, v[2:3]
	v_add_co_u32_e32 v2, vcc, s12, v2
	v_addc_co_u32_e32 v3, vcc, v4, v3, vcc
	global_load_dword v4, v[2:3], off
	s_waitcnt vmcnt(0)
	v_mad_u64_u32 v[4:5], s[0:1], v4, s18, v[1:2]
	global_store_dword v[2:3], v4, off
	s_cbranch_execnz .LBB204_44
.LBB204_43:
	v_mad_u64_u32 v[2:3], s[0:1], s6, 29, v[0:1]
	v_mov_b32_e32 v3, 0
	v_mov_b32_e32 v0, s13
	v_lshlrev_b64 v[2:3], 2, v[2:3]
	v_add_co_u32_e32 v2, vcc, s12, v2
	v_addc_co_u32_e32 v3, vcc, v0, v3, vcc
	global_store_dword v[2:3], v1, off
.LBB204_44:
	s_endpgm
.LBB204_45:
	s_branch .LBB204_43
	.section	.rodata,"a",@progbits
	.p2align	6, 0x0
	.amdhsa_kernel _ZN9rocsparseL20bsrxmvn_17_32_kernelILj29EiiiaaiEEvT2_20rocsparse_direction_NS_24const_host_device_scalarIT0_EES1_PKS1_PKT1_SA_S7_PKT3_PKT4_S5_PT5_21rocsparse_index_base_b
		.amdhsa_group_segment_fixed_size 3364
		.amdhsa_private_segment_fixed_size 0
		.amdhsa_kernarg_size 96
		.amdhsa_user_sgpr_count 6
		.amdhsa_user_sgpr_private_segment_buffer 1
		.amdhsa_user_sgpr_dispatch_ptr 0
		.amdhsa_user_sgpr_queue_ptr 0
		.amdhsa_user_sgpr_kernarg_segment_ptr 1
		.amdhsa_user_sgpr_dispatch_id 0
		.amdhsa_user_sgpr_flat_scratch_init 0
		.amdhsa_user_sgpr_private_segment_size 0
		.amdhsa_uses_dynamic_stack 0
		.amdhsa_system_sgpr_private_segment_wavefront_offset 0
		.amdhsa_system_sgpr_workgroup_id_x 1
		.amdhsa_system_sgpr_workgroup_id_y 0
		.amdhsa_system_sgpr_workgroup_id_z 0
		.amdhsa_system_sgpr_workgroup_info 0
		.amdhsa_system_vgpr_workitem_id 0
		.amdhsa_next_free_vgpr 33
		.amdhsa_next_free_sgpr 77
		.amdhsa_reserve_vcc 1
		.amdhsa_reserve_flat_scratch 0
		.amdhsa_float_round_mode_32 0
		.amdhsa_float_round_mode_16_64 0
		.amdhsa_float_denorm_mode_32 3
		.amdhsa_float_denorm_mode_16_64 3
		.amdhsa_dx10_clamp 1
		.amdhsa_ieee_mode 1
		.amdhsa_fp16_overflow 0
		.amdhsa_exception_fp_ieee_invalid_op 0
		.amdhsa_exception_fp_denorm_src 0
		.amdhsa_exception_fp_ieee_div_zero 0
		.amdhsa_exception_fp_ieee_overflow 0
		.amdhsa_exception_fp_ieee_underflow 0
		.amdhsa_exception_fp_ieee_inexact 0
		.amdhsa_exception_int_div_zero 0
	.end_amdhsa_kernel
	.section	.text._ZN9rocsparseL20bsrxmvn_17_32_kernelILj29EiiiaaiEEvT2_20rocsparse_direction_NS_24const_host_device_scalarIT0_EES1_PKS1_PKT1_SA_S7_PKT3_PKT4_S5_PT5_21rocsparse_index_base_b,"axG",@progbits,_ZN9rocsparseL20bsrxmvn_17_32_kernelILj29EiiiaaiEEvT2_20rocsparse_direction_NS_24const_host_device_scalarIT0_EES1_PKS1_PKT1_SA_S7_PKT3_PKT4_S5_PT5_21rocsparse_index_base_b,comdat
.Lfunc_end204:
	.size	_ZN9rocsparseL20bsrxmvn_17_32_kernelILj29EiiiaaiEEvT2_20rocsparse_direction_NS_24const_host_device_scalarIT0_EES1_PKS1_PKT1_SA_S7_PKT3_PKT4_S5_PT5_21rocsparse_index_base_b, .Lfunc_end204-_ZN9rocsparseL20bsrxmvn_17_32_kernelILj29EiiiaaiEEvT2_20rocsparse_direction_NS_24const_host_device_scalarIT0_EES1_PKS1_PKT1_SA_S7_PKT3_PKT4_S5_PT5_21rocsparse_index_base_b
                                        ; -- End function
	.set _ZN9rocsparseL20bsrxmvn_17_32_kernelILj29EiiiaaiEEvT2_20rocsparse_direction_NS_24const_host_device_scalarIT0_EES1_PKS1_PKT1_SA_S7_PKT3_PKT4_S5_PT5_21rocsparse_index_base_b.num_vgpr, 11
	.set _ZN9rocsparseL20bsrxmvn_17_32_kernelILj29EiiiaaiEEvT2_20rocsparse_direction_NS_24const_host_device_scalarIT0_EES1_PKS1_PKT1_SA_S7_PKT3_PKT4_S5_PT5_21rocsparse_index_base_b.num_agpr, 0
	.set _ZN9rocsparseL20bsrxmvn_17_32_kernelILj29EiiiaaiEEvT2_20rocsparse_direction_NS_24const_host_device_scalarIT0_EES1_PKS1_PKT1_SA_S7_PKT3_PKT4_S5_PT5_21rocsparse_index_base_b.numbered_sgpr, 19
	.set _ZN9rocsparseL20bsrxmvn_17_32_kernelILj29EiiiaaiEEvT2_20rocsparse_direction_NS_24const_host_device_scalarIT0_EES1_PKS1_PKT1_SA_S7_PKT3_PKT4_S5_PT5_21rocsparse_index_base_b.num_named_barrier, 0
	.set _ZN9rocsparseL20bsrxmvn_17_32_kernelILj29EiiiaaiEEvT2_20rocsparse_direction_NS_24const_host_device_scalarIT0_EES1_PKS1_PKT1_SA_S7_PKT3_PKT4_S5_PT5_21rocsparse_index_base_b.private_seg_size, 0
	.set _ZN9rocsparseL20bsrxmvn_17_32_kernelILj29EiiiaaiEEvT2_20rocsparse_direction_NS_24const_host_device_scalarIT0_EES1_PKS1_PKT1_SA_S7_PKT3_PKT4_S5_PT5_21rocsparse_index_base_b.uses_vcc, 1
	.set _ZN9rocsparseL20bsrxmvn_17_32_kernelILj29EiiiaaiEEvT2_20rocsparse_direction_NS_24const_host_device_scalarIT0_EES1_PKS1_PKT1_SA_S7_PKT3_PKT4_S5_PT5_21rocsparse_index_base_b.uses_flat_scratch, 0
	.set _ZN9rocsparseL20bsrxmvn_17_32_kernelILj29EiiiaaiEEvT2_20rocsparse_direction_NS_24const_host_device_scalarIT0_EES1_PKS1_PKT1_SA_S7_PKT3_PKT4_S5_PT5_21rocsparse_index_base_b.has_dyn_sized_stack, 0
	.set _ZN9rocsparseL20bsrxmvn_17_32_kernelILj29EiiiaaiEEvT2_20rocsparse_direction_NS_24const_host_device_scalarIT0_EES1_PKS1_PKT1_SA_S7_PKT3_PKT4_S5_PT5_21rocsparse_index_base_b.has_recursion, 0
	.set _ZN9rocsparseL20bsrxmvn_17_32_kernelILj29EiiiaaiEEvT2_20rocsparse_direction_NS_24const_host_device_scalarIT0_EES1_PKS1_PKT1_SA_S7_PKT3_PKT4_S5_PT5_21rocsparse_index_base_b.has_indirect_call, 0
	.section	.AMDGPU.csdata,"",@progbits
; Kernel info:
; codeLenInByte = 1292
; TotalNumSgprs: 23
; NumVgprs: 11
; ScratchSize: 0
; MemoryBound: 0
; FloatMode: 240
; IeeeMode: 1
; LDSByteSize: 3364 bytes/workgroup (compile time only)
; SGPRBlocks: 10
; VGPRBlocks: 8
; NumSGPRsForWavesPerEU: 81
; NumVGPRsForWavesPerEU: 33
; Occupancy: 7
; WaveLimiterHint : 1
; COMPUTE_PGM_RSRC2:SCRATCH_EN: 0
; COMPUTE_PGM_RSRC2:USER_SGPR: 6
; COMPUTE_PGM_RSRC2:TRAP_HANDLER: 0
; COMPUTE_PGM_RSRC2:TGID_X_EN: 1
; COMPUTE_PGM_RSRC2:TGID_Y_EN: 0
; COMPUTE_PGM_RSRC2:TGID_Z_EN: 0
; COMPUTE_PGM_RSRC2:TIDIG_COMP_CNT: 0
	.section	.text._ZN9rocsparseL20bsrxmvn_17_32_kernelILj30EiiiaaiEEvT2_20rocsparse_direction_NS_24const_host_device_scalarIT0_EES1_PKS1_PKT1_SA_S7_PKT3_PKT4_S5_PT5_21rocsparse_index_base_b,"axG",@progbits,_ZN9rocsparseL20bsrxmvn_17_32_kernelILj30EiiiaaiEEvT2_20rocsparse_direction_NS_24const_host_device_scalarIT0_EES1_PKS1_PKT1_SA_S7_PKT3_PKT4_S5_PT5_21rocsparse_index_base_b,comdat
	.globl	_ZN9rocsparseL20bsrxmvn_17_32_kernelILj30EiiiaaiEEvT2_20rocsparse_direction_NS_24const_host_device_scalarIT0_EES1_PKS1_PKT1_SA_S7_PKT3_PKT4_S5_PT5_21rocsparse_index_base_b ; -- Begin function _ZN9rocsparseL20bsrxmvn_17_32_kernelILj30EiiiaaiEEvT2_20rocsparse_direction_NS_24const_host_device_scalarIT0_EES1_PKS1_PKT1_SA_S7_PKT3_PKT4_S5_PT5_21rocsparse_index_base_b
	.p2align	8
	.type	_ZN9rocsparseL20bsrxmvn_17_32_kernelILj30EiiiaaiEEvT2_20rocsparse_direction_NS_24const_host_device_scalarIT0_EES1_PKS1_PKT1_SA_S7_PKT3_PKT4_S5_PT5_21rocsparse_index_base_b,@function
_ZN9rocsparseL20bsrxmvn_17_32_kernelILj30EiiiaaiEEvT2_20rocsparse_direction_NS_24const_host_device_scalarIT0_EES1_PKS1_PKT1_SA_S7_PKT3_PKT4_S5_PT5_21rocsparse_index_base_b: ; @_ZN9rocsparseL20bsrxmvn_17_32_kernelILj30EiiiaaiEEvT2_20rocsparse_direction_NS_24const_host_device_scalarIT0_EES1_PKS1_PKT1_SA_S7_PKT3_PKT4_S5_PT5_21rocsparse_index_base_b
; %bb.0:
	s_load_dwordx2 s[14:15], s[4:5], 0x58
	s_load_dwordx2 s[8:9], s[4:5], 0x8
	s_mov_b64 s[10:11], -1
	s_waitcnt lgkmcnt(0)
	s_bitcmp1_b32 s15, 0
	s_cselect_b64 s[0:1], -1, 0
	s_xor_b64 s[2:3], s[0:1], -1
	s_and_b64 vcc, exec, s[2:3]
                                        ; implicit-def: $sgpr15
	s_cbranch_vccnz .LBB205_4
; %bb.1:
	s_load_dwordx2 s[0:1], s[4:5], 0x48
	s_andn2_b64 vcc, exec, s[10:11]
	s_cbranch_vccz .LBB205_5
.LBB205_2:
	s_and_b64 vcc, exec, s[2:3]
	s_cbranch_vccz .LBB205_6
.LBB205_3:
	s_waitcnt lgkmcnt(0)
	s_load_dword s18, s[0:1], 0x0
	s_cbranch_execz .LBB205_7
	s_branch .LBB205_8
.LBB205_4:
	s_load_dword s15, s[8:9], 0x0
	s_load_dwordx2 s[0:1], s[4:5], 0x48
	s_cbranch_execnz .LBB205_2
.LBB205_5:
	s_waitcnt lgkmcnt(0)
	s_mov_b32 s15, s8
	s_and_b64 vcc, exec, s[2:3]
	s_cbranch_vccnz .LBB205_3
.LBB205_6:
                                        ; implicit-def: $sgpr18
.LBB205_7:
	s_waitcnt lgkmcnt(0)
	s_mov_b32 s18, s0
.LBB205_8:
	s_waitcnt lgkmcnt(0)
	s_cmp_lg_u32 s15, 0
	s_cselect_b64 s[0:1], -1, 0
	s_cmp_lg_u32 s18, 1
	s_cselect_b64 s[2:3], -1, 0
	s_or_b64 s[0:1], s[0:1], s[2:3]
	s_andn2_b64 vcc, exec, s[0:1]
	s_cbranch_vccnz .LBB205_44
; %bb.9:
	s_load_dwordx4 s[0:3], s[4:5], 0x18
	s_load_dwordx2 s[8:9], s[4:5], 0x28
	s_waitcnt lgkmcnt(0)
	s_cmp_eq_u64 s[0:1], 0
	s_cbranch_scc1 .LBB205_11
; %bb.10:
	s_ashr_i32 s7, s6, 31
	s_lshl_b64 s[6:7], s[6:7], 2
	s_add_u32 s0, s0, s6
	s_addc_u32 s1, s1, s7
	s_load_dword s0, s[0:1], 0x0
	s_waitcnt lgkmcnt(0)
	s_sub_i32 s6, s0, s14
.LBB205_11:
	s_load_dword s0, s[4:5], 0x4
	s_load_dwordx2 s[12:13], s[4:5], 0x50
	v_mul_u32_u24_e32 v1, 0x889, v0
	v_mov_b32_e32 v2, 30
	v_mul_lo_u16_sdwa v2, v1, v2 dst_sel:DWORD dst_unused:UNUSED_PAD src0_sel:WORD_1 src1_sel:DWORD
	s_waitcnt lgkmcnt(0)
	s_cmp_eq_u32 s0, 1
	s_cselect_b64 vcc, -1, 0
	s_cmp_lg_u32 s0, 1
	s_cselect_b64 s[16:17], -1, 0
	s_ashr_i32 s7, s6, 31
	s_lshl_b64 s[0:1], s[6:7], 2
	s_add_u32 s2, s2, s0
	s_addc_u32 s3, s3, s1
	s_load_dword s7, s[2:3], 0x0
	s_add_u32 s2, s2, 4
	s_addc_u32 s3, s3, 0
	s_add_u32 s0, s8, s0
	s_addc_u32 s1, s9, s1
	s_cmp_eq_u64 s[8:9], 0
	s_cselect_b32 s1, s3, s1
	s_cselect_b32 s0, s2, s0
	s_load_dword s0, s[0:1], 0x0
	v_sub_u16_e32 v7, v0, v2
	v_mov_b32_e32 v6, 0
	s_waitcnt lgkmcnt(0)
	s_cmp_ge_i32 s7, s0
	s_cbranch_scc1 .LBB205_16
; %bb.12:
	s_load_dwordx4 s[8:11], s[4:5], 0x30
	s_load_dwordx2 s[2:3], s[4:5], 0x40
	s_sub_i32 s4, s0, s14
	s_mov_b32 s0, 0xffff
	s_movk_i32 s1, 0x384
	v_and_b32_sdwa v1, s0, v1 dst_sel:DWORD dst_unused:UNUSED_PAD src0_sel:DWORD src1_sel:WORD_1
	v_subrev_u32_e32 v2, 30, v1
	v_cmp_gt_u32_e64 s[0:1], s1, v0
	s_sub_i32 s5, s7, s14
	v_cndmask_b32_e64 v1, v2, v1, s[0:1]
	s_mul_i32 s1, s5, 0x384
	s_mul_hi_i32 s0, s5, 0x384
	s_waitcnt lgkmcnt(0)
	s_add_u32 s1, s10, s1
	s_addc_u32 s0, s11, s0
	v_cndmask_b32_e32 v1, v7, v1, vcc
	v_mov_b32_e32 v3, s0
	v_add_co_u32_e32 v2, vcc, s1, v0
	v_addc_co_u32_e32 v3, vcc, 0, v3, vcc
	s_movk_i32 s0, 0x383
	v_cmp_lt_u32_e32 vcc, s0, v0
	v_mov_b32_e32 v6, 0
	v_cndmask_b32_e64 v8, 0, 1, vcc
	s_branch .LBB205_14
.LBB205_13:                             ;   in Loop: Header=BB205_14 Depth=1
	s_or_b64 exec, exec, s[0:1]
	s_add_i32 s5, s5, 1
	s_cmp_lt_i32 s5, s4
	s_cbranch_scc0 .LBB205_16
.LBB205_14:                             ; =>This Inner Loop Header: Depth=1
	v_add_u32_e32 v4, s5, v8
	v_cmp_gt_i32_e32 vcc, s4, v4
	s_and_saveexec_b64 s[0:1], vcc
	s_cbranch_execz .LBB205_13
; %bb.15:                               ;   in Loop: Header=BB205_14 Depth=1
	v_ashrrev_i32_e32 v5, 31, v4
	v_lshlrev_b64 v[4:5], 2, v[4:5]
	v_mov_b32_e32 v9, s9
	v_add_co_u32_e32 v4, vcc, s8, v4
	v_addc_co_u32_e32 v5, vcc, v9, v5, vcc
	global_load_dword v4, v[4:5], off
	s_waitcnt vmcnt(0)
	v_subrev_u32_e32 v4, s14, v4
	v_mad_u64_u32 v[4:5], s[10:11], v4, 30, v[1:2]
	v_mov_b32_e32 v5, s3
	global_load_sbyte v9, v[2:3], off
	v_ashrrev_i32_e32 v10, 31, v4
	v_add_co_u32_e32 v4, vcc, s2, v4
	v_addc_co_u32_e32 v5, vcc, v5, v10, vcc
	global_load_sbyte v4, v[4:5], off
	v_add_co_u32_e32 v2, vcc, 0x384, v2
	v_addc_co_u32_e32 v3, vcc, 0, v3, vcc
	s_waitcnt vmcnt(0)
	v_mad_i32_i24 v6, v4, v9, v6
	s_branch .LBB205_13
.LBB205_16:
	v_lshlrev_b32_e32 v1, 2, v0
	s_and_b64 vcc, exec, s[16:17]
	ds_write_b32 v1, v6
	s_waitcnt lgkmcnt(0)
	s_barrier
	s_cbranch_vccz .LBB205_28
; %bb.17:
	v_cmp_gt_u16_e32 vcc, 14, v7
	s_and_saveexec_b64 s[0:1], vcc
	s_cbranch_execz .LBB205_19
; %bb.18:
	ds_read2_b32 v[2:3], v1 offset1:16
	s_waitcnt lgkmcnt(0)
	v_add_u32_e32 v2, v2, v3
	ds_write_b32 v1, v2
.LBB205_19:
	s_or_b64 exec, exec, s[0:1]
	v_cmp_gt_u16_e32 vcc, 8, v7
	s_waitcnt lgkmcnt(0)
	s_barrier
	s_and_saveexec_b64 s[0:1], vcc
	s_cbranch_execz .LBB205_21
; %bb.20:
	ds_read2_b32 v[2:3], v1 offset1:8
	s_waitcnt lgkmcnt(0)
	v_add_u32_e32 v2, v2, v3
	ds_write_b32 v1, v2
.LBB205_21:
	s_or_b64 exec, exec, s[0:1]
	v_cmp_gt_u16_e32 vcc, 4, v7
	s_waitcnt lgkmcnt(0)
	s_barrier
	s_and_saveexec_b64 s[0:1], vcc
	s_cbranch_execz .LBB205_23
; %bb.22:
	ds_read2_b32 v[2:3], v1 offset1:4
	s_waitcnt lgkmcnt(0)
	v_add_u32_e32 v2, v2, v3
	ds_write_b32 v1, v2
.LBB205_23:
	s_or_b64 exec, exec, s[0:1]
	v_cmp_gt_u16_e32 vcc, 2, v7
	s_waitcnt lgkmcnt(0)
	s_barrier
	s_and_saveexec_b64 s[0:1], vcc
	s_cbranch_execz .LBB205_25
; %bb.24:
	ds_read2_b32 v[2:3], v1 offset1:2
	s_waitcnt lgkmcnt(0)
	v_add_u32_e32 v2, v2, v3
	ds_write_b32 v1, v2
.LBB205_25:
	s_or_b64 exec, exec, s[0:1]
	v_cmp_gt_u32_e32 vcc, 30, v0
	v_mov_b32_e32 v2, v6
	s_waitcnt lgkmcnt(0)
	s_barrier
	s_and_saveexec_b64 s[0:1], vcc
	s_cbranch_execz .LBB205_27
; %bb.26:
	s_movk_i32 s2, 0x74
	v_mad_u32_u24 v2, v0, s2, v1
	ds_read_b64 v[2:3], v2
	s_waitcnt lgkmcnt(0)
	v_add_u32_e32 v2, v3, v2
.LBB205_27:
	s_or_b64 exec, exec, s[0:1]
	s_branch .LBB205_40
.LBB205_28:
                                        ; implicit-def: $vgpr2
	s_cbranch_execz .LBB205_40
; %bb.29:
	s_movk_i32 s0, 0x1a4
	v_cmp_gt_u32_e32 vcc, s0, v0
	s_and_saveexec_b64 s[0:1], vcc
	s_cbranch_execz .LBB205_31
; %bb.30:
	ds_read_b32 v2, v1 offset:1920
	ds_read_b32 v3, v1
	s_waitcnt lgkmcnt(0)
	v_add_u32_e32 v2, v3, v2
	ds_write_b32 v1, v2
.LBB205_31:
	s_or_b64 exec, exec, s[0:1]
	s_movk_i32 s0, 0xf0
	v_cmp_gt_u32_e32 vcc, s0, v0
	s_waitcnt lgkmcnt(0)
	s_barrier
	s_and_saveexec_b64 s[0:1], vcc
	s_cbranch_execz .LBB205_33
; %bb.32:
	ds_read2_b32 v[2:3], v1 offset1:240
	s_waitcnt lgkmcnt(0)
	v_add_u32_e32 v2, v2, v3
	ds_write_b32 v1, v2
.LBB205_33:
	s_or_b64 exec, exec, s[0:1]
	s_movk_i32 s0, 0x78
	v_cmp_gt_u32_e32 vcc, s0, v0
	s_waitcnt lgkmcnt(0)
	s_barrier
	s_and_saveexec_b64 s[0:1], vcc
	s_cbranch_execz .LBB205_35
; %bb.34:
	ds_read2_b32 v[2:3], v1 offset1:120
	s_waitcnt lgkmcnt(0)
	v_add_u32_e32 v2, v2, v3
	ds_write_b32 v1, v2
.LBB205_35:
	s_or_b64 exec, exec, s[0:1]
	v_cmp_gt_u32_e32 vcc, 60, v0
	s_waitcnt lgkmcnt(0)
	s_barrier
	s_and_saveexec_b64 s[0:1], vcc
	s_cbranch_execz .LBB205_37
; %bb.36:
	ds_read2_b32 v[2:3], v1 offset1:60
	s_waitcnt lgkmcnt(0)
	v_add_u32_e32 v2, v2, v3
	ds_write_b32 v1, v2
.LBB205_37:
	s_or_b64 exec, exec, s[0:1]
	v_cmp_gt_u32_e32 vcc, 30, v0
	s_waitcnt lgkmcnt(0)
	s_and_saveexec_b64 s[0:1], vcc
	s_cbranch_execz .LBB205_39
; %bb.38:
	ds_read2_b32 v[1:2], v1 offset1:30
	s_waitcnt lgkmcnt(0)
	v_add_u32_e32 v6, v2, v1
.LBB205_39:
	s_or_b64 exec, exec, s[0:1]
	v_mov_b32_e32 v2, v6
.LBB205_40:
	v_cmp_gt_u32_e32 vcc, 30, v0
	s_and_saveexec_b64 s[0:1], vcc
	s_cbranch_execz .LBB205_44
; %bb.41:
	v_mul_lo_u32 v1, v2, s15
	s_cmp_eq_u32 s18, 0
	s_cbranch_scc1 .LBB205_45
; %bb.42:
	v_mad_u64_u32 v[2:3], s[0:1], s6, 30, v[0:1]
	v_mov_b32_e32 v3, 0
	v_mov_b32_e32 v4, s13
	v_lshlrev_b64 v[2:3], 2, v[2:3]
	v_add_co_u32_e32 v2, vcc, s12, v2
	v_addc_co_u32_e32 v3, vcc, v4, v3, vcc
	global_load_dword v4, v[2:3], off
	s_waitcnt vmcnt(0)
	v_mad_u64_u32 v[4:5], s[0:1], v4, s18, v[1:2]
	global_store_dword v[2:3], v4, off
	s_cbranch_execnz .LBB205_44
.LBB205_43:
	v_mad_u64_u32 v[2:3], s[0:1], s6, 30, v[0:1]
	v_mov_b32_e32 v3, 0
	v_mov_b32_e32 v0, s13
	v_lshlrev_b64 v[2:3], 2, v[2:3]
	v_add_co_u32_e32 v2, vcc, s12, v2
	v_addc_co_u32_e32 v3, vcc, v0, v3, vcc
	global_store_dword v[2:3], v1, off
.LBB205_44:
	s_endpgm
.LBB205_45:
	s_branch .LBB205_43
	.section	.rodata,"a",@progbits
	.p2align	6, 0x0
	.amdhsa_kernel _ZN9rocsparseL20bsrxmvn_17_32_kernelILj30EiiiaaiEEvT2_20rocsparse_direction_NS_24const_host_device_scalarIT0_EES1_PKS1_PKT1_SA_S7_PKT3_PKT4_S5_PT5_21rocsparse_index_base_b
		.amdhsa_group_segment_fixed_size 3600
		.amdhsa_private_segment_fixed_size 0
		.amdhsa_kernarg_size 96
		.amdhsa_user_sgpr_count 6
		.amdhsa_user_sgpr_private_segment_buffer 1
		.amdhsa_user_sgpr_dispatch_ptr 0
		.amdhsa_user_sgpr_queue_ptr 0
		.amdhsa_user_sgpr_kernarg_segment_ptr 1
		.amdhsa_user_sgpr_dispatch_id 0
		.amdhsa_user_sgpr_flat_scratch_init 0
		.amdhsa_user_sgpr_private_segment_size 0
		.amdhsa_uses_dynamic_stack 0
		.amdhsa_system_sgpr_private_segment_wavefront_offset 0
		.amdhsa_system_sgpr_workgroup_id_x 1
		.amdhsa_system_sgpr_workgroup_id_y 0
		.amdhsa_system_sgpr_workgroup_id_z 0
		.amdhsa_system_sgpr_workgroup_info 0
		.amdhsa_system_vgpr_workitem_id 0
		.amdhsa_next_free_vgpr 29
		.amdhsa_next_free_sgpr 61
		.amdhsa_reserve_vcc 1
		.amdhsa_reserve_flat_scratch 0
		.amdhsa_float_round_mode_32 0
		.amdhsa_float_round_mode_16_64 0
		.amdhsa_float_denorm_mode_32 3
		.amdhsa_float_denorm_mode_16_64 3
		.amdhsa_dx10_clamp 1
		.amdhsa_ieee_mode 1
		.amdhsa_fp16_overflow 0
		.amdhsa_exception_fp_ieee_invalid_op 0
		.amdhsa_exception_fp_denorm_src 0
		.amdhsa_exception_fp_ieee_div_zero 0
		.amdhsa_exception_fp_ieee_overflow 0
		.amdhsa_exception_fp_ieee_underflow 0
		.amdhsa_exception_fp_ieee_inexact 0
		.amdhsa_exception_int_div_zero 0
	.end_amdhsa_kernel
	.section	.text._ZN9rocsparseL20bsrxmvn_17_32_kernelILj30EiiiaaiEEvT2_20rocsparse_direction_NS_24const_host_device_scalarIT0_EES1_PKS1_PKT1_SA_S7_PKT3_PKT4_S5_PT5_21rocsparse_index_base_b,"axG",@progbits,_ZN9rocsparseL20bsrxmvn_17_32_kernelILj30EiiiaaiEEvT2_20rocsparse_direction_NS_24const_host_device_scalarIT0_EES1_PKS1_PKT1_SA_S7_PKT3_PKT4_S5_PT5_21rocsparse_index_base_b,comdat
.Lfunc_end205:
	.size	_ZN9rocsparseL20bsrxmvn_17_32_kernelILj30EiiiaaiEEvT2_20rocsparse_direction_NS_24const_host_device_scalarIT0_EES1_PKS1_PKT1_SA_S7_PKT3_PKT4_S5_PT5_21rocsparse_index_base_b, .Lfunc_end205-_ZN9rocsparseL20bsrxmvn_17_32_kernelILj30EiiiaaiEEvT2_20rocsparse_direction_NS_24const_host_device_scalarIT0_EES1_PKS1_PKT1_SA_S7_PKT3_PKT4_S5_PT5_21rocsparse_index_base_b
                                        ; -- End function
	.set _ZN9rocsparseL20bsrxmvn_17_32_kernelILj30EiiiaaiEEvT2_20rocsparse_direction_NS_24const_host_device_scalarIT0_EES1_PKS1_PKT1_SA_S7_PKT3_PKT4_S5_PT5_21rocsparse_index_base_b.num_vgpr, 11
	.set _ZN9rocsparseL20bsrxmvn_17_32_kernelILj30EiiiaaiEEvT2_20rocsparse_direction_NS_24const_host_device_scalarIT0_EES1_PKS1_PKT1_SA_S7_PKT3_PKT4_S5_PT5_21rocsparse_index_base_b.num_agpr, 0
	.set _ZN9rocsparseL20bsrxmvn_17_32_kernelILj30EiiiaaiEEvT2_20rocsparse_direction_NS_24const_host_device_scalarIT0_EES1_PKS1_PKT1_SA_S7_PKT3_PKT4_S5_PT5_21rocsparse_index_base_b.numbered_sgpr, 19
	.set _ZN9rocsparseL20bsrxmvn_17_32_kernelILj30EiiiaaiEEvT2_20rocsparse_direction_NS_24const_host_device_scalarIT0_EES1_PKS1_PKT1_SA_S7_PKT3_PKT4_S5_PT5_21rocsparse_index_base_b.num_named_barrier, 0
	.set _ZN9rocsparseL20bsrxmvn_17_32_kernelILj30EiiiaaiEEvT2_20rocsparse_direction_NS_24const_host_device_scalarIT0_EES1_PKS1_PKT1_SA_S7_PKT3_PKT4_S5_PT5_21rocsparse_index_base_b.private_seg_size, 0
	.set _ZN9rocsparseL20bsrxmvn_17_32_kernelILj30EiiiaaiEEvT2_20rocsparse_direction_NS_24const_host_device_scalarIT0_EES1_PKS1_PKT1_SA_S7_PKT3_PKT4_S5_PT5_21rocsparse_index_base_b.uses_vcc, 1
	.set _ZN9rocsparseL20bsrxmvn_17_32_kernelILj30EiiiaaiEEvT2_20rocsparse_direction_NS_24const_host_device_scalarIT0_EES1_PKS1_PKT1_SA_S7_PKT3_PKT4_S5_PT5_21rocsparse_index_base_b.uses_flat_scratch, 0
	.set _ZN9rocsparseL20bsrxmvn_17_32_kernelILj30EiiiaaiEEvT2_20rocsparse_direction_NS_24const_host_device_scalarIT0_EES1_PKS1_PKT1_SA_S7_PKT3_PKT4_S5_PT5_21rocsparse_index_base_b.has_dyn_sized_stack, 0
	.set _ZN9rocsparseL20bsrxmvn_17_32_kernelILj30EiiiaaiEEvT2_20rocsparse_direction_NS_24const_host_device_scalarIT0_EES1_PKS1_PKT1_SA_S7_PKT3_PKT4_S5_PT5_21rocsparse_index_base_b.has_recursion, 0
	.set _ZN9rocsparseL20bsrxmvn_17_32_kernelILj30EiiiaaiEEvT2_20rocsparse_direction_NS_24const_host_device_scalarIT0_EES1_PKS1_PKT1_SA_S7_PKT3_PKT4_S5_PT5_21rocsparse_index_base_b.has_indirect_call, 0
	.section	.AMDGPU.csdata,"",@progbits
; Kernel info:
; codeLenInByte = 1292
; TotalNumSgprs: 23
; NumVgprs: 11
; ScratchSize: 0
; MemoryBound: 0
; FloatMode: 240
; IeeeMode: 1
; LDSByteSize: 3600 bytes/workgroup (compile time only)
; SGPRBlocks: 8
; VGPRBlocks: 7
; NumSGPRsForWavesPerEU: 65
; NumVGPRsForWavesPerEU: 29
; Occupancy: 8
; WaveLimiterHint : 1
; COMPUTE_PGM_RSRC2:SCRATCH_EN: 0
; COMPUTE_PGM_RSRC2:USER_SGPR: 6
; COMPUTE_PGM_RSRC2:TRAP_HANDLER: 0
; COMPUTE_PGM_RSRC2:TGID_X_EN: 1
; COMPUTE_PGM_RSRC2:TGID_Y_EN: 0
; COMPUTE_PGM_RSRC2:TGID_Z_EN: 0
; COMPUTE_PGM_RSRC2:TIDIG_COMP_CNT: 0
	.section	.text._ZN9rocsparseL20bsrxmvn_17_32_kernelILj31EiiiaaiEEvT2_20rocsparse_direction_NS_24const_host_device_scalarIT0_EES1_PKS1_PKT1_SA_S7_PKT3_PKT4_S5_PT5_21rocsparse_index_base_b,"axG",@progbits,_ZN9rocsparseL20bsrxmvn_17_32_kernelILj31EiiiaaiEEvT2_20rocsparse_direction_NS_24const_host_device_scalarIT0_EES1_PKS1_PKT1_SA_S7_PKT3_PKT4_S5_PT5_21rocsparse_index_base_b,comdat
	.globl	_ZN9rocsparseL20bsrxmvn_17_32_kernelILj31EiiiaaiEEvT2_20rocsparse_direction_NS_24const_host_device_scalarIT0_EES1_PKS1_PKT1_SA_S7_PKT3_PKT4_S5_PT5_21rocsparse_index_base_b ; -- Begin function _ZN9rocsparseL20bsrxmvn_17_32_kernelILj31EiiiaaiEEvT2_20rocsparse_direction_NS_24const_host_device_scalarIT0_EES1_PKS1_PKT1_SA_S7_PKT3_PKT4_S5_PT5_21rocsparse_index_base_b
	.p2align	8
	.type	_ZN9rocsparseL20bsrxmvn_17_32_kernelILj31EiiiaaiEEvT2_20rocsparse_direction_NS_24const_host_device_scalarIT0_EES1_PKS1_PKT1_SA_S7_PKT3_PKT4_S5_PT5_21rocsparse_index_base_b,@function
_ZN9rocsparseL20bsrxmvn_17_32_kernelILj31EiiiaaiEEvT2_20rocsparse_direction_NS_24const_host_device_scalarIT0_EES1_PKS1_PKT1_SA_S7_PKT3_PKT4_S5_PT5_21rocsparse_index_base_b: ; @_ZN9rocsparseL20bsrxmvn_17_32_kernelILj31EiiiaaiEEvT2_20rocsparse_direction_NS_24const_host_device_scalarIT0_EES1_PKS1_PKT1_SA_S7_PKT3_PKT4_S5_PT5_21rocsparse_index_base_b
; %bb.0:
	s_load_dwordx2 s[14:15], s[4:5], 0x58
	s_load_dwordx2 s[8:9], s[4:5], 0x8
	s_mov_b64 s[10:11], -1
	s_waitcnt lgkmcnt(0)
	s_bitcmp1_b32 s15, 0
	s_cselect_b64 s[0:1], -1, 0
	s_xor_b64 s[2:3], s[0:1], -1
	s_and_b64 vcc, exec, s[2:3]
                                        ; implicit-def: $sgpr15
	s_cbranch_vccnz .LBB206_4
; %bb.1:
	s_load_dwordx2 s[0:1], s[4:5], 0x48
	s_andn2_b64 vcc, exec, s[10:11]
	s_cbranch_vccz .LBB206_5
.LBB206_2:
	s_and_b64 vcc, exec, s[2:3]
	s_cbranch_vccz .LBB206_6
.LBB206_3:
	s_waitcnt lgkmcnt(0)
	s_load_dword s18, s[0:1], 0x0
	s_cbranch_execz .LBB206_7
	s_branch .LBB206_8
.LBB206_4:
	s_load_dword s15, s[8:9], 0x0
	s_load_dwordx2 s[0:1], s[4:5], 0x48
	s_cbranch_execnz .LBB206_2
.LBB206_5:
	s_waitcnt lgkmcnt(0)
	s_mov_b32 s15, s8
	s_and_b64 vcc, exec, s[2:3]
	s_cbranch_vccnz .LBB206_3
.LBB206_6:
                                        ; implicit-def: $sgpr18
.LBB206_7:
	s_waitcnt lgkmcnt(0)
	s_mov_b32 s18, s0
.LBB206_8:
	s_waitcnt lgkmcnt(0)
	s_cmp_lg_u32 s15, 0
	s_cselect_b64 s[0:1], -1, 0
	s_cmp_lg_u32 s18, 1
	s_cselect_b64 s[2:3], -1, 0
	s_or_b64 s[0:1], s[0:1], s[2:3]
	s_andn2_b64 vcc, exec, s[0:1]
	s_cbranch_vccnz .LBB206_44
; %bb.9:
	s_load_dwordx4 s[0:3], s[4:5], 0x18
	s_load_dwordx2 s[8:9], s[4:5], 0x28
	s_waitcnt lgkmcnt(0)
	s_cmp_eq_u64 s[0:1], 0
	s_cbranch_scc1 .LBB206_11
; %bb.10:
	s_ashr_i32 s7, s6, 31
	s_lshl_b64 s[6:7], s[6:7], 2
	s_add_u32 s0, s0, s6
	s_addc_u32 s1, s1, s7
	s_load_dword s0, s[0:1], 0x0
	s_waitcnt lgkmcnt(0)
	s_sub_i32 s6, s0, s14
.LBB206_11:
	s_load_dword s0, s[4:5], 0x4
	s_load_dwordx2 s[12:13], s[4:5], 0x50
	v_mul_u32_u24_e32 v1, 0x843, v0
	v_mov_b32_e32 v2, 31
	v_mul_lo_u16_sdwa v2, v1, v2 dst_sel:DWORD dst_unused:UNUSED_PAD src0_sel:WORD_1 src1_sel:DWORD
	s_waitcnt lgkmcnt(0)
	s_cmp_eq_u32 s0, 1
	s_cselect_b64 vcc, -1, 0
	s_cmp_lg_u32 s0, 1
	s_cselect_b64 s[16:17], -1, 0
	s_ashr_i32 s7, s6, 31
	s_lshl_b64 s[0:1], s[6:7], 2
	s_add_u32 s2, s2, s0
	s_addc_u32 s3, s3, s1
	s_load_dword s7, s[2:3], 0x0
	s_add_u32 s2, s2, 4
	s_addc_u32 s3, s3, 0
	s_add_u32 s0, s8, s0
	s_addc_u32 s1, s9, s1
	s_cmp_eq_u64 s[8:9], 0
	s_cselect_b32 s1, s3, s1
	s_cselect_b32 s0, s2, s0
	s_load_dword s0, s[0:1], 0x0
	v_sub_u16_e32 v7, v0, v2
	v_mov_b32_e32 v6, 0
	s_waitcnt lgkmcnt(0)
	s_cmp_ge_i32 s7, s0
	s_cbranch_scc1 .LBB206_16
; %bb.12:
	s_load_dwordx4 s[8:11], s[4:5], 0x30
	s_load_dwordx2 s[2:3], s[4:5], 0x40
	s_sub_i32 s4, s0, s14
	s_mov_b32 s0, 0xffff
	s_movk_i32 s1, 0x3c1
	v_and_b32_sdwa v1, s0, v1 dst_sel:DWORD dst_unused:UNUSED_PAD src0_sel:DWORD src1_sel:WORD_1
	v_subrev_u32_e32 v2, 31, v1
	v_cmp_gt_u32_e64 s[0:1], s1, v0
	s_sub_i32 s5, s7, s14
	v_cndmask_b32_e64 v1, v2, v1, s[0:1]
	s_mul_i32 s1, s5, 0x3c1
	s_mul_hi_i32 s0, s5, 0x3c1
	s_waitcnt lgkmcnt(0)
	s_add_u32 s1, s10, s1
	s_addc_u32 s0, s11, s0
	v_cndmask_b32_e32 v1, v7, v1, vcc
	v_mov_b32_e32 v3, s0
	v_add_co_u32_e32 v2, vcc, s1, v0
	v_addc_co_u32_e32 v3, vcc, 0, v3, vcc
	s_movk_i32 s0, 0x3c0
	v_cmp_lt_u32_e32 vcc, s0, v0
	v_mov_b32_e32 v6, 0
	v_cndmask_b32_e64 v8, 0, 1, vcc
	s_branch .LBB206_14
.LBB206_13:                             ;   in Loop: Header=BB206_14 Depth=1
	s_or_b64 exec, exec, s[0:1]
	s_add_i32 s5, s5, 1
	s_cmp_lt_i32 s5, s4
	s_cbranch_scc0 .LBB206_16
.LBB206_14:                             ; =>This Inner Loop Header: Depth=1
	v_add_u32_e32 v4, s5, v8
	v_cmp_gt_i32_e32 vcc, s4, v4
	s_and_saveexec_b64 s[0:1], vcc
	s_cbranch_execz .LBB206_13
; %bb.15:                               ;   in Loop: Header=BB206_14 Depth=1
	v_ashrrev_i32_e32 v5, 31, v4
	v_lshlrev_b64 v[4:5], 2, v[4:5]
	v_mov_b32_e32 v9, s9
	v_add_co_u32_e32 v4, vcc, s8, v4
	v_addc_co_u32_e32 v5, vcc, v9, v5, vcc
	global_load_dword v4, v[4:5], off
	s_waitcnt vmcnt(0)
	v_subrev_u32_e32 v4, s14, v4
	v_mad_u64_u32 v[4:5], s[10:11], v4, 31, v[1:2]
	v_mov_b32_e32 v5, s3
	global_load_sbyte v9, v[2:3], off
	v_ashrrev_i32_e32 v10, 31, v4
	v_add_co_u32_e32 v4, vcc, s2, v4
	v_addc_co_u32_e32 v5, vcc, v5, v10, vcc
	global_load_sbyte v4, v[4:5], off
	v_add_co_u32_e32 v2, vcc, 0x3c1, v2
	v_addc_co_u32_e32 v3, vcc, 0, v3, vcc
	s_waitcnt vmcnt(0)
	v_mad_i32_i24 v6, v4, v9, v6
	s_branch .LBB206_13
.LBB206_16:
	v_lshlrev_b32_e32 v1, 2, v0
	s_and_b64 vcc, exec, s[16:17]
	ds_write_b32 v1, v6
	s_waitcnt lgkmcnt(0)
	s_barrier
	s_cbranch_vccz .LBB206_28
; %bb.17:
	v_cmp_gt_u16_e32 vcc, 15, v7
	s_and_saveexec_b64 s[0:1], vcc
	s_cbranch_execz .LBB206_19
; %bb.18:
	ds_read2_b32 v[2:3], v1 offset1:16
	s_waitcnt lgkmcnt(0)
	v_add_u32_e32 v2, v2, v3
	ds_write_b32 v1, v2
.LBB206_19:
	s_or_b64 exec, exec, s[0:1]
	v_cmp_gt_u16_e32 vcc, 8, v7
	s_waitcnt lgkmcnt(0)
	s_barrier
	s_and_saveexec_b64 s[0:1], vcc
	s_cbranch_execz .LBB206_21
; %bb.20:
	ds_read2_b32 v[2:3], v1 offset1:8
	s_waitcnt lgkmcnt(0)
	v_add_u32_e32 v2, v2, v3
	ds_write_b32 v1, v2
.LBB206_21:
	s_or_b64 exec, exec, s[0:1]
	v_cmp_gt_u16_e32 vcc, 4, v7
	s_waitcnt lgkmcnt(0)
	s_barrier
	;; [unrolled: 12-line block ×3, first 2 shown]
	s_and_saveexec_b64 s[0:1], vcc
	s_cbranch_execz .LBB206_25
; %bb.24:
	ds_read2_b32 v[2:3], v1 offset1:2
	s_waitcnt lgkmcnt(0)
	v_add_u32_e32 v2, v2, v3
	ds_write_b32 v1, v2
.LBB206_25:
	s_or_b64 exec, exec, s[0:1]
	v_cmp_gt_u32_e32 vcc, 31, v0
	v_mov_b32_e32 v2, v6
	s_waitcnt lgkmcnt(0)
	s_barrier
	s_and_saveexec_b64 s[0:1], vcc
	s_cbranch_execz .LBB206_27
; %bb.26:
	s_movk_i32 s2, 0x78
	v_mad_u32_u24 v2, v0, s2, v1
	ds_read2_b32 v[2:3], v2 offset1:1
	s_waitcnt lgkmcnt(0)
	v_add_u32_e32 v2, v3, v2
.LBB206_27:
	s_or_b64 exec, exec, s[0:1]
	s_branch .LBB206_40
.LBB206_28:
                                        ; implicit-def: $vgpr2
	s_cbranch_execz .LBB206_40
; %bb.29:
	s_movk_i32 s0, 0x1d1
	v_cmp_gt_u32_e32 vcc, s0, v0
	s_and_saveexec_b64 s[0:1], vcc
	s_cbranch_execz .LBB206_31
; %bb.30:
	ds_read_b32 v2, v1 offset:1984
	ds_read_b32 v3, v1
	s_waitcnt lgkmcnt(0)
	v_add_u32_e32 v2, v3, v2
	ds_write_b32 v1, v2
.LBB206_31:
	s_or_b64 exec, exec, s[0:1]
	s_movk_i32 s0, 0xf8
	v_cmp_gt_u32_e32 vcc, s0, v0
	s_waitcnt lgkmcnt(0)
	s_barrier
	s_and_saveexec_b64 s[0:1], vcc
	s_cbranch_execz .LBB206_33
; %bb.32:
	ds_read2_b32 v[2:3], v1 offset1:248
	s_waitcnt lgkmcnt(0)
	v_add_u32_e32 v2, v2, v3
	ds_write_b32 v1, v2
.LBB206_33:
	s_or_b64 exec, exec, s[0:1]
	s_movk_i32 s0, 0x7c
	v_cmp_gt_u32_e32 vcc, s0, v0
	s_waitcnt lgkmcnt(0)
	s_barrier
	s_and_saveexec_b64 s[0:1], vcc
	s_cbranch_execz .LBB206_35
; %bb.34:
	ds_read2_b32 v[2:3], v1 offset1:124
	s_waitcnt lgkmcnt(0)
	v_add_u32_e32 v2, v2, v3
	ds_write_b32 v1, v2
.LBB206_35:
	s_or_b64 exec, exec, s[0:1]
	v_cmp_gt_u32_e32 vcc, 62, v0
	s_waitcnt lgkmcnt(0)
	s_barrier
	s_and_saveexec_b64 s[0:1], vcc
	s_cbranch_execz .LBB206_37
; %bb.36:
	ds_read2_b32 v[2:3], v1 offset1:62
	s_waitcnt lgkmcnt(0)
	v_add_u32_e32 v2, v2, v3
	ds_write_b32 v1, v2
.LBB206_37:
	s_or_b64 exec, exec, s[0:1]
	v_cmp_gt_u32_e32 vcc, 31, v0
	s_waitcnt lgkmcnt(0)
	s_and_saveexec_b64 s[0:1], vcc
	s_cbranch_execz .LBB206_39
; %bb.38:
	ds_read2_b32 v[1:2], v1 offset1:31
	s_waitcnt lgkmcnt(0)
	v_add_u32_e32 v6, v2, v1
.LBB206_39:
	s_or_b64 exec, exec, s[0:1]
	v_mov_b32_e32 v2, v6
.LBB206_40:
	v_cmp_gt_u32_e32 vcc, 31, v0
	s_and_saveexec_b64 s[0:1], vcc
	s_cbranch_execz .LBB206_44
; %bb.41:
	v_mul_lo_u32 v1, v2, s15
	s_cmp_eq_u32 s18, 0
	s_cbranch_scc1 .LBB206_45
; %bb.42:
	v_mad_u64_u32 v[2:3], s[0:1], s6, 31, v[0:1]
	v_mov_b32_e32 v3, 0
	v_mov_b32_e32 v4, s13
	v_lshlrev_b64 v[2:3], 2, v[2:3]
	v_add_co_u32_e32 v2, vcc, s12, v2
	v_addc_co_u32_e32 v3, vcc, v4, v3, vcc
	global_load_dword v4, v[2:3], off
	s_waitcnt vmcnt(0)
	v_mad_u64_u32 v[4:5], s[0:1], v4, s18, v[1:2]
	global_store_dword v[2:3], v4, off
	s_cbranch_execnz .LBB206_44
.LBB206_43:
	v_mad_u64_u32 v[2:3], s[0:1], s6, 31, v[0:1]
	v_mov_b32_e32 v3, 0
	v_mov_b32_e32 v0, s13
	v_lshlrev_b64 v[2:3], 2, v[2:3]
	v_add_co_u32_e32 v2, vcc, s12, v2
	v_addc_co_u32_e32 v3, vcc, v0, v3, vcc
	global_store_dword v[2:3], v1, off
.LBB206_44:
	s_endpgm
.LBB206_45:
	s_branch .LBB206_43
	.section	.rodata,"a",@progbits
	.p2align	6, 0x0
	.amdhsa_kernel _ZN9rocsparseL20bsrxmvn_17_32_kernelILj31EiiiaaiEEvT2_20rocsparse_direction_NS_24const_host_device_scalarIT0_EES1_PKS1_PKT1_SA_S7_PKT3_PKT4_S5_PT5_21rocsparse_index_base_b
		.amdhsa_group_segment_fixed_size 3844
		.amdhsa_private_segment_fixed_size 0
		.amdhsa_kernarg_size 96
		.amdhsa_user_sgpr_count 6
		.amdhsa_user_sgpr_private_segment_buffer 1
		.amdhsa_user_sgpr_dispatch_ptr 0
		.amdhsa_user_sgpr_queue_ptr 0
		.amdhsa_user_sgpr_kernarg_segment_ptr 1
		.amdhsa_user_sgpr_dispatch_id 0
		.amdhsa_user_sgpr_flat_scratch_init 0
		.amdhsa_user_sgpr_private_segment_size 0
		.amdhsa_uses_dynamic_stack 0
		.amdhsa_system_sgpr_private_segment_wavefront_offset 0
		.amdhsa_system_sgpr_workgroup_id_x 1
		.amdhsa_system_sgpr_workgroup_id_y 0
		.amdhsa_system_sgpr_workgroup_id_z 0
		.amdhsa_system_sgpr_workgroup_info 0
		.amdhsa_system_vgpr_workitem_id 0
		.amdhsa_next_free_vgpr 29
		.amdhsa_next_free_sgpr 61
		.amdhsa_reserve_vcc 1
		.amdhsa_reserve_flat_scratch 0
		.amdhsa_float_round_mode_32 0
		.amdhsa_float_round_mode_16_64 0
		.amdhsa_float_denorm_mode_32 3
		.amdhsa_float_denorm_mode_16_64 3
		.amdhsa_dx10_clamp 1
		.amdhsa_ieee_mode 1
		.amdhsa_fp16_overflow 0
		.amdhsa_exception_fp_ieee_invalid_op 0
		.amdhsa_exception_fp_denorm_src 0
		.amdhsa_exception_fp_ieee_div_zero 0
		.amdhsa_exception_fp_ieee_overflow 0
		.amdhsa_exception_fp_ieee_underflow 0
		.amdhsa_exception_fp_ieee_inexact 0
		.amdhsa_exception_int_div_zero 0
	.end_amdhsa_kernel
	.section	.text._ZN9rocsparseL20bsrxmvn_17_32_kernelILj31EiiiaaiEEvT2_20rocsparse_direction_NS_24const_host_device_scalarIT0_EES1_PKS1_PKT1_SA_S7_PKT3_PKT4_S5_PT5_21rocsparse_index_base_b,"axG",@progbits,_ZN9rocsparseL20bsrxmvn_17_32_kernelILj31EiiiaaiEEvT2_20rocsparse_direction_NS_24const_host_device_scalarIT0_EES1_PKS1_PKT1_SA_S7_PKT3_PKT4_S5_PT5_21rocsparse_index_base_b,comdat
.Lfunc_end206:
	.size	_ZN9rocsparseL20bsrxmvn_17_32_kernelILj31EiiiaaiEEvT2_20rocsparse_direction_NS_24const_host_device_scalarIT0_EES1_PKS1_PKT1_SA_S7_PKT3_PKT4_S5_PT5_21rocsparse_index_base_b, .Lfunc_end206-_ZN9rocsparseL20bsrxmvn_17_32_kernelILj31EiiiaaiEEvT2_20rocsparse_direction_NS_24const_host_device_scalarIT0_EES1_PKS1_PKT1_SA_S7_PKT3_PKT4_S5_PT5_21rocsparse_index_base_b
                                        ; -- End function
	.set _ZN9rocsparseL20bsrxmvn_17_32_kernelILj31EiiiaaiEEvT2_20rocsparse_direction_NS_24const_host_device_scalarIT0_EES1_PKS1_PKT1_SA_S7_PKT3_PKT4_S5_PT5_21rocsparse_index_base_b.num_vgpr, 11
	.set _ZN9rocsparseL20bsrxmvn_17_32_kernelILj31EiiiaaiEEvT2_20rocsparse_direction_NS_24const_host_device_scalarIT0_EES1_PKS1_PKT1_SA_S7_PKT3_PKT4_S5_PT5_21rocsparse_index_base_b.num_agpr, 0
	.set _ZN9rocsparseL20bsrxmvn_17_32_kernelILj31EiiiaaiEEvT2_20rocsparse_direction_NS_24const_host_device_scalarIT0_EES1_PKS1_PKT1_SA_S7_PKT3_PKT4_S5_PT5_21rocsparse_index_base_b.numbered_sgpr, 19
	.set _ZN9rocsparseL20bsrxmvn_17_32_kernelILj31EiiiaaiEEvT2_20rocsparse_direction_NS_24const_host_device_scalarIT0_EES1_PKS1_PKT1_SA_S7_PKT3_PKT4_S5_PT5_21rocsparse_index_base_b.num_named_barrier, 0
	.set _ZN9rocsparseL20bsrxmvn_17_32_kernelILj31EiiiaaiEEvT2_20rocsparse_direction_NS_24const_host_device_scalarIT0_EES1_PKS1_PKT1_SA_S7_PKT3_PKT4_S5_PT5_21rocsparse_index_base_b.private_seg_size, 0
	.set _ZN9rocsparseL20bsrxmvn_17_32_kernelILj31EiiiaaiEEvT2_20rocsparse_direction_NS_24const_host_device_scalarIT0_EES1_PKS1_PKT1_SA_S7_PKT3_PKT4_S5_PT5_21rocsparse_index_base_b.uses_vcc, 1
	.set _ZN9rocsparseL20bsrxmvn_17_32_kernelILj31EiiiaaiEEvT2_20rocsparse_direction_NS_24const_host_device_scalarIT0_EES1_PKS1_PKT1_SA_S7_PKT3_PKT4_S5_PT5_21rocsparse_index_base_b.uses_flat_scratch, 0
	.set _ZN9rocsparseL20bsrxmvn_17_32_kernelILj31EiiiaaiEEvT2_20rocsparse_direction_NS_24const_host_device_scalarIT0_EES1_PKS1_PKT1_SA_S7_PKT3_PKT4_S5_PT5_21rocsparse_index_base_b.has_dyn_sized_stack, 0
	.set _ZN9rocsparseL20bsrxmvn_17_32_kernelILj31EiiiaaiEEvT2_20rocsparse_direction_NS_24const_host_device_scalarIT0_EES1_PKS1_PKT1_SA_S7_PKT3_PKT4_S5_PT5_21rocsparse_index_base_b.has_recursion, 0
	.set _ZN9rocsparseL20bsrxmvn_17_32_kernelILj31EiiiaaiEEvT2_20rocsparse_direction_NS_24const_host_device_scalarIT0_EES1_PKS1_PKT1_SA_S7_PKT3_PKT4_S5_PT5_21rocsparse_index_base_b.has_indirect_call, 0
	.section	.AMDGPU.csdata,"",@progbits
; Kernel info:
; codeLenInByte = 1292
; TotalNumSgprs: 23
; NumVgprs: 11
; ScratchSize: 0
; MemoryBound: 0
; FloatMode: 240
; IeeeMode: 1
; LDSByteSize: 3844 bytes/workgroup (compile time only)
; SGPRBlocks: 8
; VGPRBlocks: 7
; NumSGPRsForWavesPerEU: 65
; NumVGPRsForWavesPerEU: 29
; Occupancy: 8
; WaveLimiterHint : 1
; COMPUTE_PGM_RSRC2:SCRATCH_EN: 0
; COMPUTE_PGM_RSRC2:USER_SGPR: 6
; COMPUTE_PGM_RSRC2:TRAP_HANDLER: 0
; COMPUTE_PGM_RSRC2:TGID_X_EN: 1
; COMPUTE_PGM_RSRC2:TGID_Y_EN: 0
; COMPUTE_PGM_RSRC2:TGID_Z_EN: 0
; COMPUTE_PGM_RSRC2:TIDIG_COMP_CNT: 0
	.section	.text._ZN9rocsparseL20bsrxmvn_17_32_kernelILj32EiiiaaiEEvT2_20rocsparse_direction_NS_24const_host_device_scalarIT0_EES1_PKS1_PKT1_SA_S7_PKT3_PKT4_S5_PT5_21rocsparse_index_base_b,"axG",@progbits,_ZN9rocsparseL20bsrxmvn_17_32_kernelILj32EiiiaaiEEvT2_20rocsparse_direction_NS_24const_host_device_scalarIT0_EES1_PKS1_PKT1_SA_S7_PKT3_PKT4_S5_PT5_21rocsparse_index_base_b,comdat
	.globl	_ZN9rocsparseL20bsrxmvn_17_32_kernelILj32EiiiaaiEEvT2_20rocsparse_direction_NS_24const_host_device_scalarIT0_EES1_PKS1_PKT1_SA_S7_PKT3_PKT4_S5_PT5_21rocsparse_index_base_b ; -- Begin function _ZN9rocsparseL20bsrxmvn_17_32_kernelILj32EiiiaaiEEvT2_20rocsparse_direction_NS_24const_host_device_scalarIT0_EES1_PKS1_PKT1_SA_S7_PKT3_PKT4_S5_PT5_21rocsparse_index_base_b
	.p2align	8
	.type	_ZN9rocsparseL20bsrxmvn_17_32_kernelILj32EiiiaaiEEvT2_20rocsparse_direction_NS_24const_host_device_scalarIT0_EES1_PKS1_PKT1_SA_S7_PKT3_PKT4_S5_PT5_21rocsparse_index_base_b,@function
_ZN9rocsparseL20bsrxmvn_17_32_kernelILj32EiiiaaiEEvT2_20rocsparse_direction_NS_24const_host_device_scalarIT0_EES1_PKS1_PKT1_SA_S7_PKT3_PKT4_S5_PT5_21rocsparse_index_base_b: ; @_ZN9rocsparseL20bsrxmvn_17_32_kernelILj32EiiiaaiEEvT2_20rocsparse_direction_NS_24const_host_device_scalarIT0_EES1_PKS1_PKT1_SA_S7_PKT3_PKT4_S5_PT5_21rocsparse_index_base_b
; %bb.0:
	s_load_dwordx2 s[8:9], s[4:5], 0x58
	s_load_dwordx2 s[10:11], s[4:5], 0x8
	s_mov_b64 s[12:13], -1
	s_waitcnt lgkmcnt(0)
	s_bitcmp1_b32 s9, 0
	s_cselect_b64 s[0:1], -1, 0
	s_xor_b64 s[2:3], s[0:1], -1
	s_and_b64 vcc, exec, s[2:3]
                                        ; implicit-def: $sgpr9
	s_cbranch_vccnz .LBB207_4
; %bb.1:
	s_load_dwordx2 s[0:1], s[4:5], 0x48
	s_andn2_b64 vcc, exec, s[12:13]
	s_cbranch_vccz .LBB207_5
.LBB207_2:
	s_and_b64 vcc, exec, s[2:3]
	s_cbranch_vccz .LBB207_6
.LBB207_3:
	s_waitcnt lgkmcnt(0)
	s_load_dword s14, s[0:1], 0x0
	s_cbranch_execz .LBB207_7
	s_branch .LBB207_8
.LBB207_4:
	s_load_dword s9, s[10:11], 0x0
	s_load_dwordx2 s[0:1], s[4:5], 0x48
	s_cbranch_execnz .LBB207_2
.LBB207_5:
	s_waitcnt lgkmcnt(0)
	s_mov_b32 s9, s10
	s_and_b64 vcc, exec, s[2:3]
	s_cbranch_vccnz .LBB207_3
.LBB207_6:
                                        ; implicit-def: $sgpr14
.LBB207_7:
	s_waitcnt lgkmcnt(0)
	s_mov_b32 s14, s0
.LBB207_8:
	s_waitcnt lgkmcnt(0)
	s_cmp_lg_u32 s9, 0
	s_cselect_b64 s[0:1], -1, 0
	s_cmp_lg_u32 s14, 1
	s_cselect_b64 s[2:3], -1, 0
	s_or_b64 s[0:1], s[0:1], s[2:3]
	s_andn2_b64 vcc, exec, s[0:1]
	s_cbranch_vccnz .LBB207_42
; %bb.9:
	s_load_dwordx4 s[0:3], s[4:5], 0x18
	s_load_dwordx2 s[12:13], s[4:5], 0x28
	s_waitcnt lgkmcnt(0)
	s_cmp_eq_u64 s[0:1], 0
	s_cbranch_scc1 .LBB207_11
; %bb.10:
	s_ashr_i32 s7, s6, 31
	s_lshl_b64 s[6:7], s[6:7], 2
	s_add_u32 s0, s0, s6
	s_addc_u32 s1, s1, s7
	s_load_dword s0, s[0:1], 0x0
	s_waitcnt lgkmcnt(0)
	s_sub_i32 s6, s0, s8
.LBB207_11:
	s_load_dword s0, s[4:5], 0x4
	v_and_b32_e32 v4, 31, v0
	v_mov_b32_e32 v3, 0
	s_waitcnt lgkmcnt(0)
	s_cmp_eq_u32 s0, 1
	s_cselect_b64 vcc, -1, 0
	s_cmp_lg_u32 s0, 1
	s_cselect_b64 s[10:11], -1, 0
	s_ashr_i32 s7, s6, 31
	s_lshl_b64 s[0:1], s[6:7], 2
	s_add_u32 s2, s2, s0
	s_addc_u32 s3, s3, s1
	s_load_dword s15, s[2:3], 0x0
	s_add_u32 s2, s2, 4
	s_addc_u32 s3, s3, 0
	s_add_u32 s0, s12, s0
	s_addc_u32 s1, s13, s1
	s_cmp_eq_u64 s[12:13], 0
	s_cselect_b32 s3, s3, s1
	s_cselect_b32 s2, s2, s0
	s_load_dword s7, s[2:3], 0x0
	s_load_dwordx2 s[0:1], s[4:5], 0x50
	s_waitcnt lgkmcnt(0)
	s_cmp_ge_i32 s15, s7
	s_cbranch_scc1 .LBB207_14
; %bb.12:
	s_load_dwordx4 s[16:19], s[4:5], 0x30
	s_load_dwordx2 s[2:3], s[4:5], 0x40
	s_sub_i32 s4, s15, s8
	s_ashr_i32 s5, s4, 31
	s_sub_i32 s7, s7, s8
	s_lshl_b64 s[12:13], s[4:5], 10
	s_waitcnt lgkmcnt(0)
	s_add_u32 s12, s18, s12
	v_lshrrev_b32_e32 v1, 5, v0
	s_addc_u32 s13, s19, s13
	v_cndmask_b32_e32 v5, v4, v1, vcc
	v_mov_b32_e32 v2, s13
	v_add_co_u32_e32 v1, vcc, s12, v0
	s_lshl_b64 s[12:13], s[4:5], 2
	s_add_u32 s12, s16, s12
	v_mov_b32_e32 v3, 0
	v_addc_co_u32_e32 v2, vcc, 0, v2, vcc
	s_addc_u32 s13, s17, s13
	v_mov_b32_e32 v6, s3
.LBB207_13:                             ; =>This Inner Loop Header: Depth=1
	s_load_dword s3, s[12:13], 0x0
	global_load_sbyte v9, v[1:2], off
	s_add_i32 s4, s4, 1
	s_waitcnt lgkmcnt(0)
	s_sub_i32 s3, s3, s8
	v_lshl_or_b32 v7, s3, 5, v5
	v_ashrrev_i32_e32 v8, 31, v7
	v_add_co_u32_e32 v7, vcc, s2, v7
	v_addc_co_u32_e32 v8, vcc, v6, v8, vcc
	global_load_sbyte v7, v[7:8], off
	s_add_u32 s12, s12, 4
	v_add_co_u32_e32 v1, vcc, 0x400, v1
	s_addc_u32 s13, s13, 0
	v_addc_co_u32_e32 v2, vcc, 0, v2, vcc
	s_cmp_lt_i32 s4, s7
	s_waitcnt vmcnt(0)
	v_mad_i32_i24 v3, v7, v9, v3
	s_cbranch_scc1 .LBB207_13
.LBB207_14:
	v_lshlrev_b32_e32 v1, 2, v0
	s_and_b64 vcc, exec, s[10:11]
	ds_write_b32 v1, v3
	s_waitcnt lgkmcnt(0)
	s_barrier
	s_cbranch_vccz .LBB207_26
; %bb.15:
	v_cmp_gt_u32_e32 vcc, 16, v4
	s_and_saveexec_b64 s[2:3], vcc
	s_cbranch_execz .LBB207_17
; %bb.16:
	ds_read2_b32 v[5:6], v1 offset1:16
	s_waitcnt lgkmcnt(0)
	v_add_u32_e32 v2, v5, v6
	ds_write_b32 v1, v2
.LBB207_17:
	s_or_b64 exec, exec, s[2:3]
	v_cmp_gt_u32_e32 vcc, 8, v4
	s_waitcnt lgkmcnt(0)
	s_barrier
	s_and_saveexec_b64 s[2:3], vcc
	s_cbranch_execz .LBB207_19
; %bb.18:
	ds_read2_b32 v[5:6], v1 offset1:8
	s_waitcnt lgkmcnt(0)
	v_add_u32_e32 v2, v5, v6
	ds_write_b32 v1, v2
.LBB207_19:
	s_or_b64 exec, exec, s[2:3]
	v_cmp_gt_u32_e32 vcc, 4, v4
	s_waitcnt lgkmcnt(0)
	s_barrier
	;; [unrolled: 12-line block ×3, first 2 shown]
	s_and_saveexec_b64 s[2:3], vcc
	s_cbranch_execz .LBB207_23
; %bb.22:
	ds_read2_b32 v[4:5], v1 offset1:2
	s_waitcnt lgkmcnt(0)
	v_add_u32_e32 v2, v4, v5
	ds_write_b32 v1, v2
.LBB207_23:
	s_or_b64 exec, exec, s[2:3]
	v_cmp_gt_u32_e32 vcc, 32, v0
	v_mov_b32_e32 v2, v3
	s_waitcnt lgkmcnt(0)
	s_barrier
	s_and_saveexec_b64 s[2:3], vcc
	s_cbranch_execz .LBB207_25
; %bb.24:
	s_movk_i32 s4, 0x7c
	v_mad_u32_u24 v2, v0, s4, v1
	ds_read_b64 v[4:5], v2
	s_waitcnt lgkmcnt(0)
	v_add_u32_e32 v2, v5, v4
.LBB207_25:
	s_or_b64 exec, exec, s[2:3]
	s_branch .LBB207_38
.LBB207_26:
                                        ; implicit-def: $vgpr2
	s_cbranch_execz .LBB207_38
; %bb.27:
	s_movk_i32 s2, 0x200
	v_cmp_gt_u32_e32 vcc, s2, v0
	s_and_saveexec_b64 s[2:3], vcc
	s_cbranch_execz .LBB207_29
; %bb.28:
	ds_read2st64_b32 v[4:5], v1 offset1:8
	s_waitcnt lgkmcnt(0)
	v_add_u32_e32 v2, v4, v5
	ds_write_b32 v1, v2
.LBB207_29:
	s_or_b64 exec, exec, s[2:3]
	s_movk_i32 s2, 0x100
	v_cmp_gt_u32_e32 vcc, s2, v0
	s_waitcnt lgkmcnt(0)
	s_barrier
	s_and_saveexec_b64 s[2:3], vcc
	s_cbranch_execz .LBB207_31
; %bb.30:
	ds_read2st64_b32 v[4:5], v1 offset1:4
	s_waitcnt lgkmcnt(0)
	v_add_u32_e32 v2, v4, v5
	ds_write_b32 v1, v2
.LBB207_31:
	s_or_b64 exec, exec, s[2:3]
	s_movk_i32 s2, 0x80
	v_cmp_gt_u32_e32 vcc, s2, v0
	s_waitcnt lgkmcnt(0)
	s_barrier
	s_and_saveexec_b64 s[2:3], vcc
	s_cbranch_execz .LBB207_33
; %bb.32:
	ds_read2st64_b32 v[4:5], v1 offset1:2
	s_waitcnt lgkmcnt(0)
	v_add_u32_e32 v2, v4, v5
	ds_write_b32 v1, v2
.LBB207_33:
	s_or_b64 exec, exec, s[2:3]
	v_cmp_gt_u32_e32 vcc, 64, v0
	s_waitcnt lgkmcnt(0)
	s_barrier
	s_and_saveexec_b64 s[2:3], vcc
	s_cbranch_execz .LBB207_35
; %bb.34:
	ds_read2st64_b32 v[4:5], v1 offset1:1
	s_waitcnt lgkmcnt(0)
	v_add_u32_e32 v2, v4, v5
	ds_write_b32 v1, v2
.LBB207_35:
	s_or_b64 exec, exec, s[2:3]
	v_cmp_gt_u32_e32 vcc, 32, v0
	s_waitcnt lgkmcnt(0)
	s_and_saveexec_b64 s[2:3], vcc
	s_cbranch_execz .LBB207_37
; %bb.36:
	ds_read2_b32 v[1:2], v1 offset1:32
	s_waitcnt lgkmcnt(0)
	v_add_u32_e32 v3, v2, v1
.LBB207_37:
	s_or_b64 exec, exec, s[2:3]
	v_mov_b32_e32 v2, v3
.LBB207_38:
	v_cmp_gt_u32_e32 vcc, 32, v0
	s_and_saveexec_b64 s[2:3], vcc
	s_cbranch_execz .LBB207_42
; %bb.39:
	v_mul_lo_u32 v1, v2, s9
	s_cmp_eq_u32 s14, 0
	v_lshl_or_b32 v2, s6, 5, v0
	s_cbranch_scc1 .LBB207_43
; %bb.40:
	v_mov_b32_e32 v3, 0
	v_lshlrev_b64 v[3:4], 2, v[2:3]
	v_mov_b32_e32 v0, s1
	v_add_co_u32_e32 v3, vcc, s0, v3
	v_addc_co_u32_e32 v4, vcc, v0, v4, vcc
	global_load_dword v0, v[3:4], off
	s_waitcnt vmcnt(0)
	v_mad_u64_u32 v[5:6], s[2:3], v0, s14, v[1:2]
	global_store_dword v[3:4], v5, off
	s_cbranch_execnz .LBB207_42
.LBB207_41:
	v_mov_b32_e32 v3, 0
	v_lshlrev_b64 v[2:3], 2, v[2:3]
	v_mov_b32_e32 v0, s1
	v_add_co_u32_e32 v2, vcc, s0, v2
	v_addc_co_u32_e32 v3, vcc, v0, v3, vcc
	global_store_dword v[2:3], v1, off
.LBB207_42:
	s_endpgm
.LBB207_43:
	s_branch .LBB207_41
	.section	.rodata,"a",@progbits
	.p2align	6, 0x0
	.amdhsa_kernel _ZN9rocsparseL20bsrxmvn_17_32_kernelILj32EiiiaaiEEvT2_20rocsparse_direction_NS_24const_host_device_scalarIT0_EES1_PKS1_PKT1_SA_S7_PKT3_PKT4_S5_PT5_21rocsparse_index_base_b
		.amdhsa_group_segment_fixed_size 4096
		.amdhsa_private_segment_fixed_size 0
		.amdhsa_kernarg_size 96
		.amdhsa_user_sgpr_count 6
		.amdhsa_user_sgpr_private_segment_buffer 1
		.amdhsa_user_sgpr_dispatch_ptr 0
		.amdhsa_user_sgpr_queue_ptr 0
		.amdhsa_user_sgpr_kernarg_segment_ptr 1
		.amdhsa_user_sgpr_dispatch_id 0
		.amdhsa_user_sgpr_flat_scratch_init 0
		.amdhsa_user_sgpr_private_segment_size 0
		.amdhsa_uses_dynamic_stack 0
		.amdhsa_system_sgpr_private_segment_wavefront_offset 0
		.amdhsa_system_sgpr_workgroup_id_x 1
		.amdhsa_system_sgpr_workgroup_id_y 0
		.amdhsa_system_sgpr_workgroup_id_z 0
		.amdhsa_system_sgpr_workgroup_info 0
		.amdhsa_system_vgpr_workitem_id 0
		.amdhsa_next_free_vgpr 29
		.amdhsa_next_free_sgpr 61
		.amdhsa_reserve_vcc 1
		.amdhsa_reserve_flat_scratch 0
		.amdhsa_float_round_mode_32 0
		.amdhsa_float_round_mode_16_64 0
		.amdhsa_float_denorm_mode_32 3
		.amdhsa_float_denorm_mode_16_64 3
		.amdhsa_dx10_clamp 1
		.amdhsa_ieee_mode 1
		.amdhsa_fp16_overflow 0
		.amdhsa_exception_fp_ieee_invalid_op 0
		.amdhsa_exception_fp_denorm_src 0
		.amdhsa_exception_fp_ieee_div_zero 0
		.amdhsa_exception_fp_ieee_overflow 0
		.amdhsa_exception_fp_ieee_underflow 0
		.amdhsa_exception_fp_ieee_inexact 0
		.amdhsa_exception_int_div_zero 0
	.end_amdhsa_kernel
	.section	.text._ZN9rocsparseL20bsrxmvn_17_32_kernelILj32EiiiaaiEEvT2_20rocsparse_direction_NS_24const_host_device_scalarIT0_EES1_PKS1_PKT1_SA_S7_PKT3_PKT4_S5_PT5_21rocsparse_index_base_b,"axG",@progbits,_ZN9rocsparseL20bsrxmvn_17_32_kernelILj32EiiiaaiEEvT2_20rocsparse_direction_NS_24const_host_device_scalarIT0_EES1_PKS1_PKT1_SA_S7_PKT3_PKT4_S5_PT5_21rocsparse_index_base_b,comdat
.Lfunc_end207:
	.size	_ZN9rocsparseL20bsrxmvn_17_32_kernelILj32EiiiaaiEEvT2_20rocsparse_direction_NS_24const_host_device_scalarIT0_EES1_PKS1_PKT1_SA_S7_PKT3_PKT4_S5_PT5_21rocsparse_index_base_b, .Lfunc_end207-_ZN9rocsparseL20bsrxmvn_17_32_kernelILj32EiiiaaiEEvT2_20rocsparse_direction_NS_24const_host_device_scalarIT0_EES1_PKS1_PKT1_SA_S7_PKT3_PKT4_S5_PT5_21rocsparse_index_base_b
                                        ; -- End function
	.set _ZN9rocsparseL20bsrxmvn_17_32_kernelILj32EiiiaaiEEvT2_20rocsparse_direction_NS_24const_host_device_scalarIT0_EES1_PKS1_PKT1_SA_S7_PKT3_PKT4_S5_PT5_21rocsparse_index_base_b.num_vgpr, 10
	.set _ZN9rocsparseL20bsrxmvn_17_32_kernelILj32EiiiaaiEEvT2_20rocsparse_direction_NS_24const_host_device_scalarIT0_EES1_PKS1_PKT1_SA_S7_PKT3_PKT4_S5_PT5_21rocsparse_index_base_b.num_agpr, 0
	.set _ZN9rocsparseL20bsrxmvn_17_32_kernelILj32EiiiaaiEEvT2_20rocsparse_direction_NS_24const_host_device_scalarIT0_EES1_PKS1_PKT1_SA_S7_PKT3_PKT4_S5_PT5_21rocsparse_index_base_b.numbered_sgpr, 20
	.set _ZN9rocsparseL20bsrxmvn_17_32_kernelILj32EiiiaaiEEvT2_20rocsparse_direction_NS_24const_host_device_scalarIT0_EES1_PKS1_PKT1_SA_S7_PKT3_PKT4_S5_PT5_21rocsparse_index_base_b.num_named_barrier, 0
	.set _ZN9rocsparseL20bsrxmvn_17_32_kernelILj32EiiiaaiEEvT2_20rocsparse_direction_NS_24const_host_device_scalarIT0_EES1_PKS1_PKT1_SA_S7_PKT3_PKT4_S5_PT5_21rocsparse_index_base_b.private_seg_size, 0
	.set _ZN9rocsparseL20bsrxmvn_17_32_kernelILj32EiiiaaiEEvT2_20rocsparse_direction_NS_24const_host_device_scalarIT0_EES1_PKS1_PKT1_SA_S7_PKT3_PKT4_S5_PT5_21rocsparse_index_base_b.uses_vcc, 1
	.set _ZN9rocsparseL20bsrxmvn_17_32_kernelILj32EiiiaaiEEvT2_20rocsparse_direction_NS_24const_host_device_scalarIT0_EES1_PKS1_PKT1_SA_S7_PKT3_PKT4_S5_PT5_21rocsparse_index_base_b.uses_flat_scratch, 0
	.set _ZN9rocsparseL20bsrxmvn_17_32_kernelILj32EiiiaaiEEvT2_20rocsparse_direction_NS_24const_host_device_scalarIT0_EES1_PKS1_PKT1_SA_S7_PKT3_PKT4_S5_PT5_21rocsparse_index_base_b.has_dyn_sized_stack, 0
	.set _ZN9rocsparseL20bsrxmvn_17_32_kernelILj32EiiiaaiEEvT2_20rocsparse_direction_NS_24const_host_device_scalarIT0_EES1_PKS1_PKT1_SA_S7_PKT3_PKT4_S5_PT5_21rocsparse_index_base_b.has_recursion, 0
	.set _ZN9rocsparseL20bsrxmvn_17_32_kernelILj32EiiiaaiEEvT2_20rocsparse_direction_NS_24const_host_device_scalarIT0_EES1_PKS1_PKT1_SA_S7_PKT3_PKT4_S5_PT5_21rocsparse_index_base_b.has_indirect_call, 0
	.section	.AMDGPU.csdata,"",@progbits
; Kernel info:
; codeLenInByte = 1164
; TotalNumSgprs: 24
; NumVgprs: 10
; ScratchSize: 0
; MemoryBound: 0
; FloatMode: 240
; IeeeMode: 1
; LDSByteSize: 4096 bytes/workgroup (compile time only)
; SGPRBlocks: 8
; VGPRBlocks: 7
; NumSGPRsForWavesPerEU: 65
; NumVGPRsForWavesPerEU: 29
; Occupancy: 8
; WaveLimiterHint : 1
; COMPUTE_PGM_RSRC2:SCRATCH_EN: 0
; COMPUTE_PGM_RSRC2:USER_SGPR: 6
; COMPUTE_PGM_RSRC2:TRAP_HANDLER: 0
; COMPUTE_PGM_RSRC2:TGID_X_EN: 1
; COMPUTE_PGM_RSRC2:TGID_Y_EN: 0
; COMPUTE_PGM_RSRC2:TGID_Z_EN: 0
; COMPUTE_PGM_RSRC2:TIDIG_COMP_CNT: 0
	.section	.text._ZN9rocsparseL20bsrxmvn_17_32_kernelILj17EiliaaiEEvT2_20rocsparse_direction_NS_24const_host_device_scalarIT0_EES1_PKS1_PKT1_SA_S7_PKT3_PKT4_S5_PT5_21rocsparse_index_base_b,"axG",@progbits,_ZN9rocsparseL20bsrxmvn_17_32_kernelILj17EiliaaiEEvT2_20rocsparse_direction_NS_24const_host_device_scalarIT0_EES1_PKS1_PKT1_SA_S7_PKT3_PKT4_S5_PT5_21rocsparse_index_base_b,comdat
	.globl	_ZN9rocsparseL20bsrxmvn_17_32_kernelILj17EiliaaiEEvT2_20rocsparse_direction_NS_24const_host_device_scalarIT0_EES1_PKS1_PKT1_SA_S7_PKT3_PKT4_S5_PT5_21rocsparse_index_base_b ; -- Begin function _ZN9rocsparseL20bsrxmvn_17_32_kernelILj17EiliaaiEEvT2_20rocsparse_direction_NS_24const_host_device_scalarIT0_EES1_PKS1_PKT1_SA_S7_PKT3_PKT4_S5_PT5_21rocsparse_index_base_b
	.p2align	8
	.type	_ZN9rocsparseL20bsrxmvn_17_32_kernelILj17EiliaaiEEvT2_20rocsparse_direction_NS_24const_host_device_scalarIT0_EES1_PKS1_PKT1_SA_S7_PKT3_PKT4_S5_PT5_21rocsparse_index_base_b,@function
_ZN9rocsparseL20bsrxmvn_17_32_kernelILj17EiliaaiEEvT2_20rocsparse_direction_NS_24const_host_device_scalarIT0_EES1_PKS1_PKT1_SA_S7_PKT3_PKT4_S5_PT5_21rocsparse_index_base_b: ; @_ZN9rocsparseL20bsrxmvn_17_32_kernelILj17EiliaaiEEvT2_20rocsparse_direction_NS_24const_host_device_scalarIT0_EES1_PKS1_PKT1_SA_S7_PKT3_PKT4_S5_PT5_21rocsparse_index_base_b
; %bb.0:
	s_load_dwordx2 s[14:15], s[4:5], 0x58
	s_load_dwordx2 s[8:9], s[4:5], 0x8
	s_mov_b64 s[10:11], -1
	s_waitcnt lgkmcnt(0)
	s_bitcmp1_b32 s15, 0
	s_cselect_b64 s[0:1], -1, 0
	s_xor_b64 s[2:3], s[0:1], -1
	s_and_b64 vcc, exec, s[2:3]
                                        ; implicit-def: $sgpr15
	s_cbranch_vccnz .LBB208_4
; %bb.1:
	s_load_dwordx2 s[0:1], s[4:5], 0x48
	s_andn2_b64 vcc, exec, s[10:11]
	s_cbranch_vccz .LBB208_5
.LBB208_2:
	s_and_b64 vcc, exec, s[2:3]
	s_cbranch_vccz .LBB208_6
.LBB208_3:
	s_waitcnt lgkmcnt(0)
	s_load_dword s22, s[0:1], 0x0
	s_cbranch_execz .LBB208_7
	s_branch .LBB208_8
.LBB208_4:
	s_load_dword s15, s[8:9], 0x0
	s_load_dwordx2 s[0:1], s[4:5], 0x48
	s_cbranch_execnz .LBB208_2
.LBB208_5:
	s_waitcnt lgkmcnt(0)
	s_mov_b32 s15, s8
	s_and_b64 vcc, exec, s[2:3]
	s_cbranch_vccnz .LBB208_3
.LBB208_6:
                                        ; implicit-def: $sgpr22
.LBB208_7:
	s_waitcnt lgkmcnt(0)
	s_mov_b32 s22, s0
.LBB208_8:
	s_waitcnt lgkmcnt(0)
	s_cmp_lg_u32 s15, 0
	s_cselect_b64 s[0:1], -1, 0
	s_cmp_lg_u32 s22, 1
	s_cselect_b64 s[2:3], -1, 0
	s_or_b64 s[0:1], s[0:1], s[2:3]
	s_andn2_b64 vcc, exec, s[0:1]
	s_cbranch_vccnz .LBB208_44
; %bb.9:
	s_load_dwordx4 s[0:3], s[4:5], 0x18
	s_load_dwordx2 s[8:9], s[4:5], 0x28
	s_waitcnt lgkmcnt(0)
	s_cmp_eq_u64 s[0:1], 0
	s_cbranch_scc1 .LBB208_11
; %bb.10:
	s_ashr_i32 s7, s6, 31
	s_lshl_b64 s[6:7], s[6:7], 2
	s_add_u32 s0, s0, s6
	s_addc_u32 s1, s1, s7
	s_load_dword s0, s[0:1], 0x0
	s_waitcnt lgkmcnt(0)
	s_sub_i32 s6, s0, s14
.LBB208_11:
	s_load_dword s7, s[4:5], 0x4
	s_load_dwordx2 s[12:13], s[4:5], 0x50
	v_mul_u32_u24_e32 v1, 0xf10, v0
	v_mov_b32_e32 v2, 17
	v_mul_lo_u16_sdwa v2, v1, v2 dst_sel:DWORD dst_unused:UNUSED_PAD src0_sel:WORD_1 src1_sel:DWORD
	s_waitcnt lgkmcnt(0)
	s_cmp_eq_u32 s7, 1
	s_cselect_b64 s[0:1], -1, 0
	s_cmp_lg_u32 s7, 1
	s_cselect_b64 s[16:17], -1, 0
	s_ashr_i32 s7, s6, 31
	s_lshl_b64 s[10:11], s[6:7], 3
	s_add_u32 s2, s2, s10
	s_addc_u32 s3, s3, s11
	s_add_u32 s7, s2, 8
	s_addc_u32 s18, s3, 0
	;; [unrolled: 2-line block ×3, first 2 shown]
	s_cmp_eq_u64 s[8:9], 0
	s_cselect_b32 s9, s18, s11
	s_cselect_b32 s8, s7, s10
	s_load_dwordx2 s[18:19], s[8:9], 0x0
	s_load_dwordx2 s[20:21], s[2:3], 0x0
	v_sub_u16_e32 v7, v0, v2
	v_mov_b32_e32 v6, 0
	s_waitcnt lgkmcnt(0)
	v_mov_b32_e32 v2, s18
	v_mov_b32_e32 v3, s19
	v_cmp_ge_i64_e32 vcc, s[20:21], v[2:3]
	s_cbranch_vccnz .LBB208_16
; %bb.12:
	v_mov_b32_e32 v2, 31
	v_mul_lo_u16_sdwa v2, v1, v2 dst_sel:DWORD dst_unused:UNUSED_PAD src0_sel:WORD_1 src1_sel:DWORD
	s_load_dwordx4 s[8:11], s[4:5], 0x30
	s_load_dwordx2 s[2:3], s[4:5], 0x40
	s_sub_u32 s4, s18, s14
	v_lshrrev_b16_e32 v2, 9, v2
	s_subb_u32 s5, s19, 0
	v_mul_lo_u16_e32 v2, 17, v2
	v_sub_u16_sdwa v1, v1, v2 dst_sel:DWORD dst_unused:UNUSED_PAD src0_sel:WORD_1 src1_sel:DWORD
	s_sub_u32 s18, s20, s14
	v_and_b32_e32 v1, 0xff, v1
	s_subb_u32 s19, s21, 0
	v_cndmask_b32_e64 v1, v7, v1, s[0:1]
	s_mul_i32 s0, s19, 0x121
	s_mul_hi_u32 s1, s18, 0x121
	s_add_i32 s1, s1, s0
	s_mul_i32 s0, s18, 0x121
	s_waitcnt lgkmcnt(0)
	s_add_u32 s0, s10, s0
	s_addc_u32 s1, s11, s1
	v_add_co_u32_e32 v2, vcc, s0, v0
	s_movk_i32 s0, 0xe3
	v_mov_b32_e32 v3, s1
	v_mul_u32_u24_sdwa v4, v0, s0 dst_sel:DWORD dst_unused:UNUSED_PAD src0_sel:WORD_0 src1_sel:DWORD
	v_addc_co_u32_e32 v3, vcc, 0, v3, vcc
	v_lshrrev_b32_e32 v8, 16, v4
	v_mov_b32_e32 v4, s21
	v_add_co_u32_e32 v5, vcc, s20, v8
	v_addc_co_u32_e32 v9, vcc, 0, v4, vcc
	v_subrev_co_u32_e32 v4, vcc, s14, v5
	v_subbrev_co_u32_e32 v5, vcc, 0, v9, vcc
	v_lshlrev_b64 v[4:5], 2, v[4:5]
	v_mov_b32_e32 v9, s9
	v_add_co_u32_e32 v4, vcc, s8, v4
	v_mov_b32_e32 v6, 0
	v_addc_co_u32_e32 v5, vcc, v9, v5, vcc
	s_branch .LBB208_14
.LBB208_13:                             ;   in Loop: Header=BB208_14 Depth=1
	s_or_b64 exec, exec, s[0:1]
	s_add_u32 s18, s18, 1
	v_mov_b32_e32 v10, s5
	s_addc_u32 s19, s19, 0
	v_mov_b32_e32 v9, s4
	v_cmp_lt_i64_e32 vcc, s[18:19], v[9:10]
	v_add_co_u32_e64 v4, s[0:1], 4, v4
	v_addc_co_u32_e64 v5, s[0:1], 0, v5, s[0:1]
	s_cbranch_vccz .LBB208_16
.LBB208_14:                             ; =>This Inner Loop Header: Depth=1
	v_mov_b32_e32 v10, s19
	v_add_co_u32_e32 v9, vcc, s18, v8
	v_addc_co_u32_e32 v10, vcc, 0, v10, vcc
	v_cmp_gt_i64_e32 vcc, s[4:5], v[9:10]
	s_and_saveexec_b64 s[0:1], vcc
	s_cbranch_execz .LBB208_13
; %bb.15:                               ;   in Loop: Header=BB208_14 Depth=1
	global_load_dword v9, v[4:5], off
	global_load_sbyte v11, v[2:3], off
	s_waitcnt vmcnt(1)
	v_subrev_u32_e32 v9, s14, v9
	v_mad_u64_u32 v[9:10], s[8:9], v9, 17, v[1:2]
	v_mov_b32_e32 v10, s3
	v_ashrrev_i32_e32 v12, 31, v9
	v_add_co_u32_e32 v9, vcc, s2, v9
	v_addc_co_u32_e32 v10, vcc, v10, v12, vcc
	global_load_sbyte v9, v[9:10], off
	v_add_co_u32_e32 v2, vcc, 0x121, v2
	v_addc_co_u32_e32 v3, vcc, 0, v3, vcc
	s_waitcnt vmcnt(0)
	v_mad_i32_i24 v6, v9, v11, v6
	s_branch .LBB208_13
.LBB208_16:
	v_lshlrev_b32_e32 v1, 2, v0
	s_and_b64 vcc, exec, s[16:17]
	ds_write_b32 v1, v6
	s_waitcnt lgkmcnt(0)
	s_barrier
	s_cbranch_vccz .LBB208_28
; %bb.17:
	v_cmp_eq_u16_e32 vcc, 0, v7
	s_and_saveexec_b64 s[0:1], vcc
	s_cbranch_execz .LBB208_19
; %bb.18:
	ds_read2_b32 v[2:3], v1 offset1:16
	s_waitcnt lgkmcnt(0)
	v_add_u32_e32 v2, v2, v3
	ds_write_b32 v1, v2
.LBB208_19:
	s_or_b64 exec, exec, s[0:1]
	v_cmp_gt_u16_e32 vcc, 8, v7
	s_waitcnt lgkmcnt(0)
	s_barrier
	s_and_saveexec_b64 s[0:1], vcc
	s_cbranch_execz .LBB208_21
; %bb.20:
	ds_read2_b32 v[2:3], v1 offset1:8
	s_waitcnt lgkmcnt(0)
	v_add_u32_e32 v2, v2, v3
	ds_write_b32 v1, v2
.LBB208_21:
	s_or_b64 exec, exec, s[0:1]
	v_cmp_gt_u16_e32 vcc, 4, v7
	s_waitcnt lgkmcnt(0)
	s_barrier
	;; [unrolled: 12-line block ×3, first 2 shown]
	s_and_saveexec_b64 s[0:1], vcc
	s_cbranch_execz .LBB208_25
; %bb.24:
	ds_read2_b32 v[2:3], v1 offset1:2
	s_waitcnt lgkmcnt(0)
	v_add_u32_e32 v2, v2, v3
	ds_write_b32 v1, v2
.LBB208_25:
	s_or_b64 exec, exec, s[0:1]
	v_cmp_gt_u32_e32 vcc, 17, v0
	v_mov_b32_e32 v2, v6
	s_waitcnt lgkmcnt(0)
	s_barrier
	s_and_saveexec_b64 s[0:1], vcc
	s_cbranch_execz .LBB208_27
; %bb.26:
	v_lshl_add_u32 v2, v0, 6, v1
	ds_read2_b32 v[2:3], v2 offset1:1
	s_waitcnt lgkmcnt(0)
	v_add_u32_e32 v2, v3, v2
.LBB208_27:
	s_or_b64 exec, exec, s[0:1]
	v_cmp_gt_u32_e64 s[0:1], 17, v0
	s_branch .LBB208_40
.LBB208_28:
                                        ; implicit-def: $vgpr2
	v_cmp_gt_u32_e64 s[0:1], 17, v0
	s_cbranch_execz .LBB208_40
; %bb.29:
	s_and_saveexec_b64 s[2:3], s[0:1]
	s_cbranch_execz .LBB208_31
; %bb.30:
	ds_read_b32 v2, v1 offset:1088
	ds_read_b32 v3, v1
	s_waitcnt lgkmcnt(0)
	v_add_u32_e32 v2, v3, v2
	ds_write_b32 v1, v2
.LBB208_31:
	s_or_b64 exec, exec, s[2:3]
	s_movk_i32 s2, 0x88
	v_cmp_gt_u32_e32 vcc, s2, v0
	s_waitcnt lgkmcnt(0)
	s_barrier
	s_and_saveexec_b64 s[2:3], vcc
	s_cbranch_execz .LBB208_33
; %bb.32:
	ds_read2_b32 v[2:3], v1 offset1:136
	s_waitcnt lgkmcnt(0)
	v_add_u32_e32 v2, v2, v3
	ds_write_b32 v1, v2
.LBB208_33:
	s_or_b64 exec, exec, s[2:3]
	s_movk_i32 s2, 0x44
	v_cmp_gt_u32_e32 vcc, s2, v0
	s_waitcnt lgkmcnt(0)
	s_barrier
	s_and_saveexec_b64 s[2:3], vcc
	s_cbranch_execz .LBB208_35
; %bb.34:
	ds_read2_b32 v[2:3], v1 offset1:68
	s_waitcnt lgkmcnt(0)
	v_add_u32_e32 v2, v2, v3
	ds_write_b32 v1, v2
.LBB208_35:
	s_or_b64 exec, exec, s[2:3]
	v_cmp_gt_u32_e32 vcc, 34, v0
	s_waitcnt lgkmcnt(0)
	s_barrier
	s_and_saveexec_b64 s[2:3], vcc
	s_cbranch_execz .LBB208_37
; %bb.36:
	ds_read2_b32 v[2:3], v1 offset1:34
	s_waitcnt lgkmcnt(0)
	v_add_u32_e32 v2, v2, v3
	ds_write_b32 v1, v2
.LBB208_37:
	s_or_b64 exec, exec, s[2:3]
	s_waitcnt lgkmcnt(0)
	s_and_saveexec_b64 s[2:3], s[0:1]
	s_cbranch_execz .LBB208_39
; %bb.38:
	ds_read2_b32 v[1:2], v1 offset1:17
	s_waitcnt lgkmcnt(0)
	v_add_u32_e32 v6, v2, v1
.LBB208_39:
	s_or_b64 exec, exec, s[2:3]
	v_mov_b32_e32 v2, v6
.LBB208_40:
	v_cmp_gt_u32_e32 vcc, 17, v0
	s_and_saveexec_b64 s[0:1], vcc
	s_cbranch_execz .LBB208_44
; %bb.41:
	v_mul_lo_u32 v1, v2, s15
	s_cmp_eq_u32 s22, 0
	s_cbranch_scc1 .LBB208_45
; %bb.42:
	v_mad_u64_u32 v[2:3], s[0:1], s6, 17, v[0:1]
	v_mov_b32_e32 v3, 0
	v_mov_b32_e32 v4, s13
	v_lshlrev_b64 v[2:3], 2, v[2:3]
	v_add_co_u32_e32 v2, vcc, s12, v2
	v_addc_co_u32_e32 v3, vcc, v4, v3, vcc
	global_load_dword v4, v[2:3], off
	s_waitcnt vmcnt(0)
	v_mad_u64_u32 v[4:5], s[0:1], v4, s22, v[1:2]
	global_store_dword v[2:3], v4, off
	s_cbranch_execnz .LBB208_44
.LBB208_43:
	v_mad_u64_u32 v[2:3], s[0:1], s6, 17, v[0:1]
	v_mov_b32_e32 v3, 0
	v_mov_b32_e32 v0, s13
	v_lshlrev_b64 v[2:3], 2, v[2:3]
	v_add_co_u32_e32 v2, vcc, s12, v2
	v_addc_co_u32_e32 v3, vcc, v0, v3, vcc
	global_store_dword v[2:3], v1, off
.LBB208_44:
	s_endpgm
.LBB208_45:
	s_branch .LBB208_43
	.section	.rodata,"a",@progbits
	.p2align	6, 0x0
	.amdhsa_kernel _ZN9rocsparseL20bsrxmvn_17_32_kernelILj17EiliaaiEEvT2_20rocsparse_direction_NS_24const_host_device_scalarIT0_EES1_PKS1_PKT1_SA_S7_PKT3_PKT4_S5_PT5_21rocsparse_index_base_b
		.amdhsa_group_segment_fixed_size 1156
		.amdhsa_private_segment_fixed_size 0
		.amdhsa_kernarg_size 96
		.amdhsa_user_sgpr_count 6
		.amdhsa_user_sgpr_private_segment_buffer 1
		.amdhsa_user_sgpr_dispatch_ptr 0
		.amdhsa_user_sgpr_queue_ptr 0
		.amdhsa_user_sgpr_kernarg_segment_ptr 1
		.amdhsa_user_sgpr_dispatch_id 0
		.amdhsa_user_sgpr_flat_scratch_init 0
		.amdhsa_user_sgpr_private_segment_size 0
		.amdhsa_uses_dynamic_stack 0
		.amdhsa_system_sgpr_private_segment_wavefront_offset 0
		.amdhsa_system_sgpr_workgroup_id_x 1
		.amdhsa_system_sgpr_workgroup_id_y 0
		.amdhsa_system_sgpr_workgroup_id_z 0
		.amdhsa_system_sgpr_workgroup_info 0
		.amdhsa_system_vgpr_workitem_id 0
		.amdhsa_next_free_vgpr 13
		.amdhsa_next_free_sgpr 23
		.amdhsa_reserve_vcc 1
		.amdhsa_reserve_flat_scratch 0
		.amdhsa_float_round_mode_32 0
		.amdhsa_float_round_mode_16_64 0
		.amdhsa_float_denorm_mode_32 3
		.amdhsa_float_denorm_mode_16_64 3
		.amdhsa_dx10_clamp 1
		.amdhsa_ieee_mode 1
		.amdhsa_fp16_overflow 0
		.amdhsa_exception_fp_ieee_invalid_op 0
		.amdhsa_exception_fp_denorm_src 0
		.amdhsa_exception_fp_ieee_div_zero 0
		.amdhsa_exception_fp_ieee_overflow 0
		.amdhsa_exception_fp_ieee_underflow 0
		.amdhsa_exception_fp_ieee_inexact 0
		.amdhsa_exception_int_div_zero 0
	.end_amdhsa_kernel
	.section	.text._ZN9rocsparseL20bsrxmvn_17_32_kernelILj17EiliaaiEEvT2_20rocsparse_direction_NS_24const_host_device_scalarIT0_EES1_PKS1_PKT1_SA_S7_PKT3_PKT4_S5_PT5_21rocsparse_index_base_b,"axG",@progbits,_ZN9rocsparseL20bsrxmvn_17_32_kernelILj17EiliaaiEEvT2_20rocsparse_direction_NS_24const_host_device_scalarIT0_EES1_PKS1_PKT1_SA_S7_PKT3_PKT4_S5_PT5_21rocsparse_index_base_b,comdat
.Lfunc_end208:
	.size	_ZN9rocsparseL20bsrxmvn_17_32_kernelILj17EiliaaiEEvT2_20rocsparse_direction_NS_24const_host_device_scalarIT0_EES1_PKS1_PKT1_SA_S7_PKT3_PKT4_S5_PT5_21rocsparse_index_base_b, .Lfunc_end208-_ZN9rocsparseL20bsrxmvn_17_32_kernelILj17EiliaaiEEvT2_20rocsparse_direction_NS_24const_host_device_scalarIT0_EES1_PKS1_PKT1_SA_S7_PKT3_PKT4_S5_PT5_21rocsparse_index_base_b
                                        ; -- End function
	.set _ZN9rocsparseL20bsrxmvn_17_32_kernelILj17EiliaaiEEvT2_20rocsparse_direction_NS_24const_host_device_scalarIT0_EES1_PKS1_PKT1_SA_S7_PKT3_PKT4_S5_PT5_21rocsparse_index_base_b.num_vgpr, 13
	.set _ZN9rocsparseL20bsrxmvn_17_32_kernelILj17EiliaaiEEvT2_20rocsparse_direction_NS_24const_host_device_scalarIT0_EES1_PKS1_PKT1_SA_S7_PKT3_PKT4_S5_PT5_21rocsparse_index_base_b.num_agpr, 0
	.set _ZN9rocsparseL20bsrxmvn_17_32_kernelILj17EiliaaiEEvT2_20rocsparse_direction_NS_24const_host_device_scalarIT0_EES1_PKS1_PKT1_SA_S7_PKT3_PKT4_S5_PT5_21rocsparse_index_base_b.numbered_sgpr, 23
	.set _ZN9rocsparseL20bsrxmvn_17_32_kernelILj17EiliaaiEEvT2_20rocsparse_direction_NS_24const_host_device_scalarIT0_EES1_PKS1_PKT1_SA_S7_PKT3_PKT4_S5_PT5_21rocsparse_index_base_b.num_named_barrier, 0
	.set _ZN9rocsparseL20bsrxmvn_17_32_kernelILj17EiliaaiEEvT2_20rocsparse_direction_NS_24const_host_device_scalarIT0_EES1_PKS1_PKT1_SA_S7_PKT3_PKT4_S5_PT5_21rocsparse_index_base_b.private_seg_size, 0
	.set _ZN9rocsparseL20bsrxmvn_17_32_kernelILj17EiliaaiEEvT2_20rocsparse_direction_NS_24const_host_device_scalarIT0_EES1_PKS1_PKT1_SA_S7_PKT3_PKT4_S5_PT5_21rocsparse_index_base_b.uses_vcc, 1
	.set _ZN9rocsparseL20bsrxmvn_17_32_kernelILj17EiliaaiEEvT2_20rocsparse_direction_NS_24const_host_device_scalarIT0_EES1_PKS1_PKT1_SA_S7_PKT3_PKT4_S5_PT5_21rocsparse_index_base_b.uses_flat_scratch, 0
	.set _ZN9rocsparseL20bsrxmvn_17_32_kernelILj17EiliaaiEEvT2_20rocsparse_direction_NS_24const_host_device_scalarIT0_EES1_PKS1_PKT1_SA_S7_PKT3_PKT4_S5_PT5_21rocsparse_index_base_b.has_dyn_sized_stack, 0
	.set _ZN9rocsparseL20bsrxmvn_17_32_kernelILj17EiliaaiEEvT2_20rocsparse_direction_NS_24const_host_device_scalarIT0_EES1_PKS1_PKT1_SA_S7_PKT3_PKT4_S5_PT5_21rocsparse_index_base_b.has_recursion, 0
	.set _ZN9rocsparseL20bsrxmvn_17_32_kernelILj17EiliaaiEEvT2_20rocsparse_direction_NS_24const_host_device_scalarIT0_EES1_PKS1_PKT1_SA_S7_PKT3_PKT4_S5_PT5_21rocsparse_index_base_b.has_indirect_call, 0
	.section	.AMDGPU.csdata,"",@progbits
; Kernel info:
; codeLenInByte = 1372
; TotalNumSgprs: 27
; NumVgprs: 13
; ScratchSize: 0
; MemoryBound: 0
; FloatMode: 240
; IeeeMode: 1
; LDSByteSize: 1156 bytes/workgroup (compile time only)
; SGPRBlocks: 3
; VGPRBlocks: 3
; NumSGPRsForWavesPerEU: 27
; NumVGPRsForWavesPerEU: 13
; Occupancy: 10
; WaveLimiterHint : 1
; COMPUTE_PGM_RSRC2:SCRATCH_EN: 0
; COMPUTE_PGM_RSRC2:USER_SGPR: 6
; COMPUTE_PGM_RSRC2:TRAP_HANDLER: 0
; COMPUTE_PGM_RSRC2:TGID_X_EN: 1
; COMPUTE_PGM_RSRC2:TGID_Y_EN: 0
; COMPUTE_PGM_RSRC2:TGID_Z_EN: 0
; COMPUTE_PGM_RSRC2:TIDIG_COMP_CNT: 0
	.section	.text._ZN9rocsparseL20bsrxmvn_17_32_kernelILj18EiliaaiEEvT2_20rocsparse_direction_NS_24const_host_device_scalarIT0_EES1_PKS1_PKT1_SA_S7_PKT3_PKT4_S5_PT5_21rocsparse_index_base_b,"axG",@progbits,_ZN9rocsparseL20bsrxmvn_17_32_kernelILj18EiliaaiEEvT2_20rocsparse_direction_NS_24const_host_device_scalarIT0_EES1_PKS1_PKT1_SA_S7_PKT3_PKT4_S5_PT5_21rocsparse_index_base_b,comdat
	.globl	_ZN9rocsparseL20bsrxmvn_17_32_kernelILj18EiliaaiEEvT2_20rocsparse_direction_NS_24const_host_device_scalarIT0_EES1_PKS1_PKT1_SA_S7_PKT3_PKT4_S5_PT5_21rocsparse_index_base_b ; -- Begin function _ZN9rocsparseL20bsrxmvn_17_32_kernelILj18EiliaaiEEvT2_20rocsparse_direction_NS_24const_host_device_scalarIT0_EES1_PKS1_PKT1_SA_S7_PKT3_PKT4_S5_PT5_21rocsparse_index_base_b
	.p2align	8
	.type	_ZN9rocsparseL20bsrxmvn_17_32_kernelILj18EiliaaiEEvT2_20rocsparse_direction_NS_24const_host_device_scalarIT0_EES1_PKS1_PKT1_SA_S7_PKT3_PKT4_S5_PT5_21rocsparse_index_base_b,@function
_ZN9rocsparseL20bsrxmvn_17_32_kernelILj18EiliaaiEEvT2_20rocsparse_direction_NS_24const_host_device_scalarIT0_EES1_PKS1_PKT1_SA_S7_PKT3_PKT4_S5_PT5_21rocsparse_index_base_b: ; @_ZN9rocsparseL20bsrxmvn_17_32_kernelILj18EiliaaiEEvT2_20rocsparse_direction_NS_24const_host_device_scalarIT0_EES1_PKS1_PKT1_SA_S7_PKT3_PKT4_S5_PT5_21rocsparse_index_base_b
; %bb.0:
	s_load_dwordx2 s[14:15], s[4:5], 0x58
	s_load_dwordx2 s[8:9], s[4:5], 0x8
	s_mov_b64 s[10:11], -1
	s_waitcnt lgkmcnt(0)
	s_bitcmp1_b32 s15, 0
	s_cselect_b64 s[0:1], -1, 0
	s_xor_b64 s[2:3], s[0:1], -1
	s_and_b64 vcc, exec, s[2:3]
                                        ; implicit-def: $sgpr15
	s_cbranch_vccnz .LBB209_4
; %bb.1:
	s_load_dwordx2 s[0:1], s[4:5], 0x48
	s_andn2_b64 vcc, exec, s[10:11]
	s_cbranch_vccz .LBB209_5
.LBB209_2:
	s_and_b64 vcc, exec, s[2:3]
	s_cbranch_vccz .LBB209_6
.LBB209_3:
	s_waitcnt lgkmcnt(0)
	s_load_dword s22, s[0:1], 0x0
	s_cbranch_execz .LBB209_7
	s_branch .LBB209_8
.LBB209_4:
	s_load_dword s15, s[8:9], 0x0
	s_load_dwordx2 s[0:1], s[4:5], 0x48
	s_cbranch_execnz .LBB209_2
.LBB209_5:
	s_waitcnt lgkmcnt(0)
	s_mov_b32 s15, s8
	s_and_b64 vcc, exec, s[2:3]
	s_cbranch_vccnz .LBB209_3
.LBB209_6:
                                        ; implicit-def: $sgpr22
.LBB209_7:
	s_waitcnt lgkmcnt(0)
	s_mov_b32 s22, s0
.LBB209_8:
	s_waitcnt lgkmcnt(0)
	s_cmp_lg_u32 s15, 0
	s_cselect_b64 s[0:1], -1, 0
	s_cmp_lg_u32 s22, 1
	s_cselect_b64 s[2:3], -1, 0
	s_or_b64 s[0:1], s[0:1], s[2:3]
	s_andn2_b64 vcc, exec, s[0:1]
	s_cbranch_vccnz .LBB209_44
; %bb.9:
	s_load_dwordx4 s[0:3], s[4:5], 0x18
	s_load_dwordx2 s[8:9], s[4:5], 0x28
	s_waitcnt lgkmcnt(0)
	s_cmp_eq_u64 s[0:1], 0
	s_cbranch_scc1 .LBB209_11
; %bb.10:
	s_ashr_i32 s7, s6, 31
	s_lshl_b64 s[6:7], s[6:7], 2
	s_add_u32 s0, s0, s6
	s_addc_u32 s1, s1, s7
	s_load_dword s0, s[0:1], 0x0
	s_waitcnt lgkmcnt(0)
	s_sub_i32 s6, s0, s14
.LBB209_11:
	s_load_dword s7, s[4:5], 0x4
	s_load_dwordx2 s[12:13], s[4:5], 0x50
	v_mul_u32_u24_e32 v1, 0xe39, v0
	v_mov_b32_e32 v2, 18
	v_mul_lo_u16_sdwa v3, v1, v2 dst_sel:DWORD dst_unused:UNUSED_PAD src0_sel:WORD_1 src1_sel:DWORD
	s_waitcnt lgkmcnt(0)
	s_cmp_eq_u32 s7, 1
	s_cselect_b64 s[0:1], -1, 0
	s_cmp_lg_u32 s7, 1
	s_cselect_b64 s[16:17], -1, 0
	s_ashr_i32 s7, s6, 31
	s_lshl_b64 s[10:11], s[6:7], 3
	s_add_u32 s2, s2, s10
	s_addc_u32 s3, s3, s11
	s_add_u32 s7, s2, 8
	s_addc_u32 s18, s3, 0
	s_add_u32 s10, s8, s10
	s_addc_u32 s11, s9, s11
	s_cmp_eq_u64 s[8:9], 0
	s_cselect_b32 s9, s18, s11
	s_cselect_b32 s8, s7, s10
	s_load_dwordx2 s[18:19], s[8:9], 0x0
	s_load_dwordx2 s[20:21], s[2:3], 0x0
	v_sub_u16_e32 v7, v0, v3
	v_mov_b32_e32 v6, 0
	s_waitcnt lgkmcnt(0)
	v_mov_b32_e32 v3, s18
	v_mov_b32_e32 v4, s19
	v_cmp_ge_i64_e32 vcc, s[20:21], v[3:4]
	s_cbranch_vccnz .LBB209_16
; %bb.12:
	v_mov_b32_e32 v3, 15
	s_load_dwordx4 s[8:11], s[4:5], 0x30
	s_load_dwordx2 s[2:3], s[4:5], 0x40
	s_sub_u32 s4, s18, s14
	v_mul_lo_u16_sdwa v3, v1, v3 dst_sel:DWORD dst_unused:UNUSED_PAD src0_sel:WORD_1 src1_sel:DWORD
	s_subb_u32 s5, s19, 0
	v_mul_lo_u16_sdwa v2, v3, v2 dst_sel:DWORD dst_unused:UNUSED_PAD src0_sel:BYTE_1 src1_sel:DWORD
	v_sub_u16_sdwa v1, v1, v2 dst_sel:DWORD dst_unused:UNUSED_PAD src0_sel:WORD_1 src1_sel:DWORD
	s_sub_u32 s18, s20, s14
	v_and_b32_e32 v1, 0xff, v1
	s_subb_u32 s19, s21, 0
	v_cndmask_b32_e64 v1, v7, v1, s[0:1]
	s_mul_i32 s0, s19, 0x144
	s_mul_hi_u32 s1, s18, 0x144
	s_add_i32 s1, s1, s0
	s_mul_i32 s0, s18, 0x144
	s_waitcnt lgkmcnt(0)
	s_add_u32 s0, s10, s0
	s_addc_u32 s1, s11, s1
	v_add_co_u32_e32 v2, vcc, s0, v0
	s_movk_i32 s0, 0x195
	v_mov_b32_e32 v3, s1
	v_mul_u32_u24_sdwa v4, v0, s0 dst_sel:DWORD dst_unused:UNUSED_PAD src0_sel:WORD_0 src1_sel:DWORD
	v_addc_co_u32_e32 v3, vcc, 0, v3, vcc
	v_lshrrev_b32_e32 v8, 17, v4
	v_mov_b32_e32 v4, s21
	v_add_co_u32_e32 v5, vcc, s20, v8
	v_addc_co_u32_e32 v9, vcc, 0, v4, vcc
	v_subrev_co_u32_e32 v4, vcc, s14, v5
	v_subbrev_co_u32_e32 v5, vcc, 0, v9, vcc
	v_lshlrev_b64 v[4:5], 2, v[4:5]
	v_mov_b32_e32 v9, s9
	v_add_co_u32_e32 v4, vcc, s8, v4
	v_mov_b32_e32 v6, 0
	v_addc_co_u32_e32 v5, vcc, v9, v5, vcc
	s_branch .LBB209_14
.LBB209_13:                             ;   in Loop: Header=BB209_14 Depth=1
	s_or_b64 exec, exec, s[0:1]
	s_add_u32 s18, s18, 1
	v_mov_b32_e32 v10, s5
	s_addc_u32 s19, s19, 0
	v_mov_b32_e32 v9, s4
	v_cmp_lt_i64_e32 vcc, s[18:19], v[9:10]
	v_add_co_u32_e64 v4, s[0:1], 4, v4
	v_addc_co_u32_e64 v5, s[0:1], 0, v5, s[0:1]
	s_cbranch_vccz .LBB209_16
.LBB209_14:                             ; =>This Inner Loop Header: Depth=1
	v_mov_b32_e32 v10, s19
	v_add_co_u32_e32 v9, vcc, s18, v8
	v_addc_co_u32_e32 v10, vcc, 0, v10, vcc
	v_cmp_gt_i64_e32 vcc, s[4:5], v[9:10]
	s_and_saveexec_b64 s[0:1], vcc
	s_cbranch_execz .LBB209_13
; %bb.15:                               ;   in Loop: Header=BB209_14 Depth=1
	global_load_dword v9, v[4:5], off
	global_load_sbyte v11, v[2:3], off
	s_waitcnt vmcnt(1)
	v_subrev_u32_e32 v9, s14, v9
	v_mad_u64_u32 v[9:10], s[8:9], v9, 18, v[1:2]
	v_mov_b32_e32 v10, s3
	v_ashrrev_i32_e32 v12, 31, v9
	v_add_co_u32_e32 v9, vcc, s2, v9
	v_addc_co_u32_e32 v10, vcc, v10, v12, vcc
	global_load_sbyte v9, v[9:10], off
	v_add_co_u32_e32 v2, vcc, 0x144, v2
	v_addc_co_u32_e32 v3, vcc, 0, v3, vcc
	s_waitcnt vmcnt(0)
	v_mad_i32_i24 v6, v9, v11, v6
	s_branch .LBB209_13
.LBB209_16:
	v_lshlrev_b32_e32 v1, 2, v0
	s_and_b64 vcc, exec, s[16:17]
	ds_write_b32 v1, v6
	s_waitcnt lgkmcnt(0)
	s_barrier
	s_cbranch_vccz .LBB209_28
; %bb.17:
	v_cmp_gt_u16_e32 vcc, 2, v7
	s_and_saveexec_b64 s[0:1], vcc
	s_cbranch_execz .LBB209_19
; %bb.18:
	ds_read2_b32 v[2:3], v1 offset1:16
	s_waitcnt lgkmcnt(0)
	v_add_u32_e32 v2, v2, v3
	ds_write_b32 v1, v2
.LBB209_19:
	s_or_b64 exec, exec, s[0:1]
	v_cmp_gt_u16_e64 s[0:1], 8, v7
	s_waitcnt lgkmcnt(0)
	s_barrier
	s_and_saveexec_b64 s[2:3], s[0:1]
	s_cbranch_execz .LBB209_21
; %bb.20:
	ds_read2_b32 v[2:3], v1 offset1:8
	s_waitcnt lgkmcnt(0)
	v_add_u32_e32 v2, v2, v3
	ds_write_b32 v1, v2
.LBB209_21:
	s_or_b64 exec, exec, s[2:3]
	v_cmp_gt_u16_e64 s[0:1], 4, v7
	s_waitcnt lgkmcnt(0)
	s_barrier
	s_and_saveexec_b64 s[2:3], s[0:1]
	s_cbranch_execz .LBB209_23
; %bb.22:
	ds_read2_b32 v[2:3], v1 offset1:4
	s_waitcnt lgkmcnt(0)
	v_add_u32_e32 v2, v2, v3
	ds_write_b32 v1, v2
.LBB209_23:
	s_or_b64 exec, exec, s[2:3]
	s_waitcnt lgkmcnt(0)
	s_barrier
	s_and_saveexec_b64 s[0:1], vcc
	s_cbranch_execz .LBB209_25
; %bb.24:
	ds_read2_b32 v[2:3], v1 offset1:2
	s_waitcnt lgkmcnt(0)
	v_add_u32_e32 v2, v2, v3
	ds_write_b32 v1, v2
.LBB209_25:
	s_or_b64 exec, exec, s[0:1]
	v_cmp_gt_u32_e32 vcc, 18, v0
	v_mov_b32_e32 v2, v6
	s_waitcnt lgkmcnt(0)
	s_barrier
	s_and_saveexec_b64 s[0:1], vcc
	s_cbranch_execz .LBB209_27
; %bb.26:
	s_movk_i32 s2, 0x44
	v_mad_u32_u24 v2, v0, s2, v1
	ds_read_b64 v[2:3], v2
	s_waitcnt lgkmcnt(0)
	v_add_u32_e32 v2, v3, v2
.LBB209_27:
	s_or_b64 exec, exec, s[0:1]
	s_branch .LBB209_40
.LBB209_28:
                                        ; implicit-def: $vgpr2
	s_cbranch_execz .LBB209_40
; %bb.29:
	v_cmp_gt_u32_e32 vcc, 36, v0
	s_and_saveexec_b64 s[0:1], vcc
	s_cbranch_execz .LBB209_31
; %bb.30:
	ds_read_b32 v2, v1 offset:1152
	ds_read_b32 v3, v1
	s_waitcnt lgkmcnt(0)
	v_add_u32_e32 v2, v3, v2
	ds_write_b32 v1, v2
.LBB209_31:
	s_or_b64 exec, exec, s[0:1]
	s_movk_i32 s0, 0x90
	v_cmp_gt_u32_e64 s[0:1], s0, v0
	s_waitcnt lgkmcnt(0)
	s_barrier
	s_and_saveexec_b64 s[2:3], s[0:1]
	s_cbranch_execz .LBB209_33
; %bb.32:
	ds_read2_b32 v[2:3], v1 offset1:144
	s_waitcnt lgkmcnt(0)
	v_add_u32_e32 v2, v2, v3
	ds_write_b32 v1, v2
.LBB209_33:
	s_or_b64 exec, exec, s[2:3]
	s_movk_i32 s0, 0x48
	v_cmp_gt_u32_e64 s[0:1], s0, v0
	s_waitcnt lgkmcnt(0)
	s_barrier
	s_and_saveexec_b64 s[2:3], s[0:1]
	s_cbranch_execz .LBB209_35
; %bb.34:
	ds_read2_b32 v[2:3], v1 offset1:72
	s_waitcnt lgkmcnt(0)
	v_add_u32_e32 v2, v2, v3
	ds_write_b32 v1, v2
.LBB209_35:
	s_or_b64 exec, exec, s[2:3]
	s_waitcnt lgkmcnt(0)
	s_barrier
	s_and_saveexec_b64 s[0:1], vcc
	s_cbranch_execz .LBB209_37
; %bb.36:
	ds_read2_b32 v[2:3], v1 offset1:36
	s_waitcnt lgkmcnt(0)
	v_add_u32_e32 v2, v2, v3
	ds_write_b32 v1, v2
.LBB209_37:
	s_or_b64 exec, exec, s[0:1]
	v_cmp_gt_u32_e32 vcc, 18, v0
	s_waitcnt lgkmcnt(0)
	s_and_saveexec_b64 s[0:1], vcc
	s_cbranch_execz .LBB209_39
; %bb.38:
	ds_read2_b32 v[1:2], v1 offset1:18
	s_waitcnt lgkmcnt(0)
	v_add_u32_e32 v6, v2, v1
.LBB209_39:
	s_or_b64 exec, exec, s[0:1]
	v_mov_b32_e32 v2, v6
.LBB209_40:
	v_cmp_gt_u32_e32 vcc, 18, v0
	s_and_saveexec_b64 s[0:1], vcc
	s_cbranch_execz .LBB209_44
; %bb.41:
	v_mul_lo_u32 v1, v2, s15
	s_cmp_eq_u32 s22, 0
	s_cbranch_scc1 .LBB209_45
; %bb.42:
	v_mad_u64_u32 v[2:3], s[0:1], s6, 18, v[0:1]
	v_mov_b32_e32 v3, 0
	v_mov_b32_e32 v4, s13
	v_lshlrev_b64 v[2:3], 2, v[2:3]
	v_add_co_u32_e32 v2, vcc, s12, v2
	v_addc_co_u32_e32 v3, vcc, v4, v3, vcc
	global_load_dword v4, v[2:3], off
	s_waitcnt vmcnt(0)
	v_mad_u64_u32 v[4:5], s[0:1], v4, s22, v[1:2]
	global_store_dword v[2:3], v4, off
	s_cbranch_execnz .LBB209_44
.LBB209_43:
	v_mad_u64_u32 v[2:3], s[0:1], s6, 18, v[0:1]
	v_mov_b32_e32 v3, 0
	v_mov_b32_e32 v0, s13
	v_lshlrev_b64 v[2:3], 2, v[2:3]
	v_add_co_u32_e32 v2, vcc, s12, v2
	v_addc_co_u32_e32 v3, vcc, v0, v3, vcc
	global_store_dword v[2:3], v1, off
.LBB209_44:
	s_endpgm
.LBB209_45:
	s_branch .LBB209_43
	.section	.rodata,"a",@progbits
	.p2align	6, 0x0
	.amdhsa_kernel _ZN9rocsparseL20bsrxmvn_17_32_kernelILj18EiliaaiEEvT2_20rocsparse_direction_NS_24const_host_device_scalarIT0_EES1_PKS1_PKT1_SA_S7_PKT3_PKT4_S5_PT5_21rocsparse_index_base_b
		.amdhsa_group_segment_fixed_size 1296
		.amdhsa_private_segment_fixed_size 0
		.amdhsa_kernarg_size 96
		.amdhsa_user_sgpr_count 6
		.amdhsa_user_sgpr_private_segment_buffer 1
		.amdhsa_user_sgpr_dispatch_ptr 0
		.amdhsa_user_sgpr_queue_ptr 0
		.amdhsa_user_sgpr_kernarg_segment_ptr 1
		.amdhsa_user_sgpr_dispatch_id 0
		.amdhsa_user_sgpr_flat_scratch_init 0
		.amdhsa_user_sgpr_private_segment_size 0
		.amdhsa_uses_dynamic_stack 0
		.amdhsa_system_sgpr_private_segment_wavefront_offset 0
		.amdhsa_system_sgpr_workgroup_id_x 1
		.amdhsa_system_sgpr_workgroup_id_y 0
		.amdhsa_system_sgpr_workgroup_id_z 0
		.amdhsa_system_sgpr_workgroup_info 0
		.amdhsa_system_vgpr_workitem_id 0
		.amdhsa_next_free_vgpr 13
		.amdhsa_next_free_sgpr 23
		.amdhsa_reserve_vcc 1
		.amdhsa_reserve_flat_scratch 0
		.amdhsa_float_round_mode_32 0
		.amdhsa_float_round_mode_16_64 0
		.amdhsa_float_denorm_mode_32 3
		.amdhsa_float_denorm_mode_16_64 3
		.amdhsa_dx10_clamp 1
		.amdhsa_ieee_mode 1
		.amdhsa_fp16_overflow 0
		.amdhsa_exception_fp_ieee_invalid_op 0
		.amdhsa_exception_fp_denorm_src 0
		.amdhsa_exception_fp_ieee_div_zero 0
		.amdhsa_exception_fp_ieee_overflow 0
		.amdhsa_exception_fp_ieee_underflow 0
		.amdhsa_exception_fp_ieee_inexact 0
		.amdhsa_exception_int_div_zero 0
	.end_amdhsa_kernel
	.section	.text._ZN9rocsparseL20bsrxmvn_17_32_kernelILj18EiliaaiEEvT2_20rocsparse_direction_NS_24const_host_device_scalarIT0_EES1_PKS1_PKT1_SA_S7_PKT3_PKT4_S5_PT5_21rocsparse_index_base_b,"axG",@progbits,_ZN9rocsparseL20bsrxmvn_17_32_kernelILj18EiliaaiEEvT2_20rocsparse_direction_NS_24const_host_device_scalarIT0_EES1_PKS1_PKT1_SA_S7_PKT3_PKT4_S5_PT5_21rocsparse_index_base_b,comdat
.Lfunc_end209:
	.size	_ZN9rocsparseL20bsrxmvn_17_32_kernelILj18EiliaaiEEvT2_20rocsparse_direction_NS_24const_host_device_scalarIT0_EES1_PKS1_PKT1_SA_S7_PKT3_PKT4_S5_PT5_21rocsparse_index_base_b, .Lfunc_end209-_ZN9rocsparseL20bsrxmvn_17_32_kernelILj18EiliaaiEEvT2_20rocsparse_direction_NS_24const_host_device_scalarIT0_EES1_PKS1_PKT1_SA_S7_PKT3_PKT4_S5_PT5_21rocsparse_index_base_b
                                        ; -- End function
	.set _ZN9rocsparseL20bsrxmvn_17_32_kernelILj18EiliaaiEEvT2_20rocsparse_direction_NS_24const_host_device_scalarIT0_EES1_PKS1_PKT1_SA_S7_PKT3_PKT4_S5_PT5_21rocsparse_index_base_b.num_vgpr, 13
	.set _ZN9rocsparseL20bsrxmvn_17_32_kernelILj18EiliaaiEEvT2_20rocsparse_direction_NS_24const_host_device_scalarIT0_EES1_PKS1_PKT1_SA_S7_PKT3_PKT4_S5_PT5_21rocsparse_index_base_b.num_agpr, 0
	.set _ZN9rocsparseL20bsrxmvn_17_32_kernelILj18EiliaaiEEvT2_20rocsparse_direction_NS_24const_host_device_scalarIT0_EES1_PKS1_PKT1_SA_S7_PKT3_PKT4_S5_PT5_21rocsparse_index_base_b.numbered_sgpr, 23
	.set _ZN9rocsparseL20bsrxmvn_17_32_kernelILj18EiliaaiEEvT2_20rocsparse_direction_NS_24const_host_device_scalarIT0_EES1_PKS1_PKT1_SA_S7_PKT3_PKT4_S5_PT5_21rocsparse_index_base_b.num_named_barrier, 0
	.set _ZN9rocsparseL20bsrxmvn_17_32_kernelILj18EiliaaiEEvT2_20rocsparse_direction_NS_24const_host_device_scalarIT0_EES1_PKS1_PKT1_SA_S7_PKT3_PKT4_S5_PT5_21rocsparse_index_base_b.private_seg_size, 0
	.set _ZN9rocsparseL20bsrxmvn_17_32_kernelILj18EiliaaiEEvT2_20rocsparse_direction_NS_24const_host_device_scalarIT0_EES1_PKS1_PKT1_SA_S7_PKT3_PKT4_S5_PT5_21rocsparse_index_base_b.uses_vcc, 1
	.set _ZN9rocsparseL20bsrxmvn_17_32_kernelILj18EiliaaiEEvT2_20rocsparse_direction_NS_24const_host_device_scalarIT0_EES1_PKS1_PKT1_SA_S7_PKT3_PKT4_S5_PT5_21rocsparse_index_base_b.uses_flat_scratch, 0
	.set _ZN9rocsparseL20bsrxmvn_17_32_kernelILj18EiliaaiEEvT2_20rocsparse_direction_NS_24const_host_device_scalarIT0_EES1_PKS1_PKT1_SA_S7_PKT3_PKT4_S5_PT5_21rocsparse_index_base_b.has_dyn_sized_stack, 0
	.set _ZN9rocsparseL20bsrxmvn_17_32_kernelILj18EiliaaiEEvT2_20rocsparse_direction_NS_24const_host_device_scalarIT0_EES1_PKS1_PKT1_SA_S7_PKT3_PKT4_S5_PT5_21rocsparse_index_base_b.has_recursion, 0
	.set _ZN9rocsparseL20bsrxmvn_17_32_kernelILj18EiliaaiEEvT2_20rocsparse_direction_NS_24const_host_device_scalarIT0_EES1_PKS1_PKT1_SA_S7_PKT3_PKT4_S5_PT5_21rocsparse_index_base_b.has_indirect_call, 0
	.section	.AMDGPU.csdata,"",@progbits
; Kernel info:
; codeLenInByte = 1376
; TotalNumSgprs: 27
; NumVgprs: 13
; ScratchSize: 0
; MemoryBound: 0
; FloatMode: 240
; IeeeMode: 1
; LDSByteSize: 1296 bytes/workgroup (compile time only)
; SGPRBlocks: 3
; VGPRBlocks: 3
; NumSGPRsForWavesPerEU: 27
; NumVGPRsForWavesPerEU: 13
; Occupancy: 10
; WaveLimiterHint : 1
; COMPUTE_PGM_RSRC2:SCRATCH_EN: 0
; COMPUTE_PGM_RSRC2:USER_SGPR: 6
; COMPUTE_PGM_RSRC2:TRAP_HANDLER: 0
; COMPUTE_PGM_RSRC2:TGID_X_EN: 1
; COMPUTE_PGM_RSRC2:TGID_Y_EN: 0
; COMPUTE_PGM_RSRC2:TGID_Z_EN: 0
; COMPUTE_PGM_RSRC2:TIDIG_COMP_CNT: 0
	.section	.text._ZN9rocsparseL20bsrxmvn_17_32_kernelILj19EiliaaiEEvT2_20rocsparse_direction_NS_24const_host_device_scalarIT0_EES1_PKS1_PKT1_SA_S7_PKT3_PKT4_S5_PT5_21rocsparse_index_base_b,"axG",@progbits,_ZN9rocsparseL20bsrxmvn_17_32_kernelILj19EiliaaiEEvT2_20rocsparse_direction_NS_24const_host_device_scalarIT0_EES1_PKS1_PKT1_SA_S7_PKT3_PKT4_S5_PT5_21rocsparse_index_base_b,comdat
	.globl	_ZN9rocsparseL20bsrxmvn_17_32_kernelILj19EiliaaiEEvT2_20rocsparse_direction_NS_24const_host_device_scalarIT0_EES1_PKS1_PKT1_SA_S7_PKT3_PKT4_S5_PT5_21rocsparse_index_base_b ; -- Begin function _ZN9rocsparseL20bsrxmvn_17_32_kernelILj19EiliaaiEEvT2_20rocsparse_direction_NS_24const_host_device_scalarIT0_EES1_PKS1_PKT1_SA_S7_PKT3_PKT4_S5_PT5_21rocsparse_index_base_b
	.p2align	8
	.type	_ZN9rocsparseL20bsrxmvn_17_32_kernelILj19EiliaaiEEvT2_20rocsparse_direction_NS_24const_host_device_scalarIT0_EES1_PKS1_PKT1_SA_S7_PKT3_PKT4_S5_PT5_21rocsparse_index_base_b,@function
_ZN9rocsparseL20bsrxmvn_17_32_kernelILj19EiliaaiEEvT2_20rocsparse_direction_NS_24const_host_device_scalarIT0_EES1_PKS1_PKT1_SA_S7_PKT3_PKT4_S5_PT5_21rocsparse_index_base_b: ; @_ZN9rocsparseL20bsrxmvn_17_32_kernelILj19EiliaaiEEvT2_20rocsparse_direction_NS_24const_host_device_scalarIT0_EES1_PKS1_PKT1_SA_S7_PKT3_PKT4_S5_PT5_21rocsparse_index_base_b
; %bb.0:
	s_load_dwordx2 s[14:15], s[4:5], 0x58
	s_load_dwordx2 s[8:9], s[4:5], 0x8
	s_mov_b64 s[10:11], -1
	s_waitcnt lgkmcnt(0)
	s_bitcmp1_b32 s15, 0
	s_cselect_b64 s[0:1], -1, 0
	s_xor_b64 s[2:3], s[0:1], -1
	s_and_b64 vcc, exec, s[2:3]
                                        ; implicit-def: $sgpr15
	s_cbranch_vccnz .LBB210_4
; %bb.1:
	s_load_dwordx2 s[0:1], s[4:5], 0x48
	s_andn2_b64 vcc, exec, s[10:11]
	s_cbranch_vccz .LBB210_5
.LBB210_2:
	s_and_b64 vcc, exec, s[2:3]
	s_cbranch_vccz .LBB210_6
.LBB210_3:
	s_waitcnt lgkmcnt(0)
	s_load_dword s22, s[0:1], 0x0
	s_cbranch_execz .LBB210_7
	s_branch .LBB210_8
.LBB210_4:
	s_load_dword s15, s[8:9], 0x0
	s_load_dwordx2 s[0:1], s[4:5], 0x48
	s_cbranch_execnz .LBB210_2
.LBB210_5:
	s_waitcnt lgkmcnt(0)
	s_mov_b32 s15, s8
	s_and_b64 vcc, exec, s[2:3]
	s_cbranch_vccnz .LBB210_3
.LBB210_6:
                                        ; implicit-def: $sgpr22
.LBB210_7:
	s_waitcnt lgkmcnt(0)
	s_mov_b32 s22, s0
.LBB210_8:
	s_waitcnt lgkmcnt(0)
	s_cmp_lg_u32 s15, 0
	s_cselect_b64 s[0:1], -1, 0
	s_cmp_lg_u32 s22, 1
	s_cselect_b64 s[2:3], -1, 0
	s_or_b64 s[0:1], s[0:1], s[2:3]
	s_andn2_b64 vcc, exec, s[0:1]
	s_cbranch_vccnz .LBB210_44
; %bb.9:
	s_load_dwordx4 s[0:3], s[4:5], 0x18
	s_load_dwordx2 s[8:9], s[4:5], 0x28
	s_waitcnt lgkmcnt(0)
	s_cmp_eq_u64 s[0:1], 0
	s_cbranch_scc1 .LBB210_11
; %bb.10:
	s_ashr_i32 s7, s6, 31
	s_lshl_b64 s[6:7], s[6:7], 2
	s_add_u32 s0, s0, s6
	s_addc_u32 s1, s1, s7
	s_load_dword s0, s[0:1], 0x0
	s_waitcnt lgkmcnt(0)
	s_sub_i32 s6, s0, s14
.LBB210_11:
	s_load_dword s7, s[4:5], 0x4
	s_load_dwordx2 s[12:13], s[4:5], 0x50
	v_mul_u32_u24_e32 v1, 0xd7a, v0
	v_mov_b32_e32 v2, 19
	v_mul_lo_u16_sdwa v3, v1, v2 dst_sel:DWORD dst_unused:UNUSED_PAD src0_sel:WORD_1 src1_sel:DWORD
	s_waitcnt lgkmcnt(0)
	s_cmp_eq_u32 s7, 1
	s_cselect_b64 s[0:1], -1, 0
	s_cmp_lg_u32 s7, 1
	s_cselect_b64 s[16:17], -1, 0
	s_ashr_i32 s7, s6, 31
	s_lshl_b64 s[10:11], s[6:7], 3
	s_add_u32 s2, s2, s10
	s_addc_u32 s3, s3, s11
	s_add_u32 s7, s2, 8
	s_addc_u32 s18, s3, 0
	;; [unrolled: 2-line block ×3, first 2 shown]
	s_cmp_eq_u64 s[8:9], 0
	s_cselect_b32 s9, s18, s11
	s_cselect_b32 s8, s7, s10
	s_load_dwordx2 s[18:19], s[8:9], 0x0
	s_load_dwordx2 s[20:21], s[2:3], 0x0
	v_sub_u16_e32 v7, v0, v3
	v_mov_b32_e32 v6, 0
	s_waitcnt lgkmcnt(0)
	v_mov_b32_e32 v3, s18
	v_mov_b32_e32 v4, s19
	v_cmp_ge_i64_e32 vcc, s[20:21], v[3:4]
	s_cbranch_vccnz .LBB210_16
; %bb.12:
	v_mov_b32_e32 v3, 14
	s_load_dwordx4 s[8:11], s[4:5], 0x30
	s_load_dwordx2 s[2:3], s[4:5], 0x40
	s_sub_u32 s4, s18, s14
	v_mul_lo_u16_sdwa v3, v1, v3 dst_sel:DWORD dst_unused:UNUSED_PAD src0_sel:WORD_1 src1_sel:DWORD
	s_subb_u32 s5, s19, 0
	v_mul_lo_u16_sdwa v2, v3, v2 dst_sel:DWORD dst_unused:UNUSED_PAD src0_sel:BYTE_1 src1_sel:DWORD
	v_sub_u16_sdwa v1, v1, v2 dst_sel:DWORD dst_unused:UNUSED_PAD src0_sel:WORD_1 src1_sel:DWORD
	s_sub_u32 s18, s20, s14
	v_and_b32_e32 v1, 0xff, v1
	s_subb_u32 s19, s21, 0
	v_cndmask_b32_e64 v1, v7, v1, s[0:1]
	s_mul_i32 s0, s19, 0x169
	s_mul_hi_u32 s1, s18, 0x169
	s_add_i32 s1, s1, s0
	s_mul_i32 s0, s18, 0x169
	s_waitcnt lgkmcnt(0)
	s_add_u32 s0, s10, s0
	s_addc_u32 s1, s11, s1
	v_add_co_u32_e32 v2, vcc, s0, v0
	s_movk_i32 s0, 0xb6
	v_mov_b32_e32 v3, s1
	v_mul_u32_u24_sdwa v4, v0, s0 dst_sel:DWORD dst_unused:UNUSED_PAD src0_sel:WORD_0 src1_sel:DWORD
	v_addc_co_u32_e32 v3, vcc, 0, v3, vcc
	v_lshrrev_b32_e32 v8, 16, v4
	v_mov_b32_e32 v4, s21
	v_add_co_u32_e32 v5, vcc, s20, v8
	v_addc_co_u32_e32 v9, vcc, 0, v4, vcc
	v_subrev_co_u32_e32 v4, vcc, s14, v5
	v_subbrev_co_u32_e32 v5, vcc, 0, v9, vcc
	v_lshlrev_b64 v[4:5], 2, v[4:5]
	v_mov_b32_e32 v9, s9
	v_add_co_u32_e32 v4, vcc, s8, v4
	v_mov_b32_e32 v6, 0
	v_addc_co_u32_e32 v5, vcc, v9, v5, vcc
	s_branch .LBB210_14
.LBB210_13:                             ;   in Loop: Header=BB210_14 Depth=1
	s_or_b64 exec, exec, s[0:1]
	s_add_u32 s18, s18, 1
	v_mov_b32_e32 v10, s5
	s_addc_u32 s19, s19, 0
	v_mov_b32_e32 v9, s4
	v_cmp_lt_i64_e32 vcc, s[18:19], v[9:10]
	v_add_co_u32_e64 v4, s[0:1], 4, v4
	v_addc_co_u32_e64 v5, s[0:1], 0, v5, s[0:1]
	s_cbranch_vccz .LBB210_16
.LBB210_14:                             ; =>This Inner Loop Header: Depth=1
	v_mov_b32_e32 v10, s19
	v_add_co_u32_e32 v9, vcc, s18, v8
	v_addc_co_u32_e32 v10, vcc, 0, v10, vcc
	v_cmp_gt_i64_e32 vcc, s[4:5], v[9:10]
	s_and_saveexec_b64 s[0:1], vcc
	s_cbranch_execz .LBB210_13
; %bb.15:                               ;   in Loop: Header=BB210_14 Depth=1
	global_load_dword v9, v[4:5], off
	global_load_sbyte v11, v[2:3], off
	s_waitcnt vmcnt(1)
	v_subrev_u32_e32 v9, s14, v9
	v_mad_u64_u32 v[9:10], s[8:9], v9, 19, v[1:2]
	v_mov_b32_e32 v10, s3
	v_ashrrev_i32_e32 v12, 31, v9
	v_add_co_u32_e32 v9, vcc, s2, v9
	v_addc_co_u32_e32 v10, vcc, v10, v12, vcc
	global_load_sbyte v9, v[9:10], off
	v_add_co_u32_e32 v2, vcc, 0x169, v2
	v_addc_co_u32_e32 v3, vcc, 0, v3, vcc
	s_waitcnt vmcnt(0)
	v_mad_i32_i24 v6, v9, v11, v6
	s_branch .LBB210_13
.LBB210_16:
	v_lshlrev_b32_e32 v1, 2, v0
	s_and_b64 vcc, exec, s[16:17]
	ds_write_b32 v1, v6
	s_waitcnt lgkmcnt(0)
	s_barrier
	s_cbranch_vccz .LBB210_28
; %bb.17:
	v_cmp_gt_u16_e32 vcc, 3, v7
	s_and_saveexec_b64 s[0:1], vcc
	s_cbranch_execz .LBB210_19
; %bb.18:
	ds_read2_b32 v[2:3], v1 offset1:16
	s_waitcnt lgkmcnt(0)
	v_add_u32_e32 v2, v2, v3
	ds_write_b32 v1, v2
.LBB210_19:
	s_or_b64 exec, exec, s[0:1]
	v_cmp_gt_u16_e32 vcc, 8, v7
	s_waitcnt lgkmcnt(0)
	s_barrier
	s_and_saveexec_b64 s[0:1], vcc
	s_cbranch_execz .LBB210_21
; %bb.20:
	ds_read2_b32 v[2:3], v1 offset1:8
	s_waitcnt lgkmcnt(0)
	v_add_u32_e32 v2, v2, v3
	ds_write_b32 v1, v2
.LBB210_21:
	s_or_b64 exec, exec, s[0:1]
	v_cmp_gt_u16_e32 vcc, 4, v7
	s_waitcnt lgkmcnt(0)
	s_barrier
	;; [unrolled: 12-line block ×3, first 2 shown]
	s_and_saveexec_b64 s[0:1], vcc
	s_cbranch_execz .LBB210_25
; %bb.24:
	ds_read2_b32 v[2:3], v1 offset1:2
	s_waitcnt lgkmcnt(0)
	v_add_u32_e32 v2, v2, v3
	ds_write_b32 v1, v2
.LBB210_25:
	s_or_b64 exec, exec, s[0:1]
	v_cmp_gt_u32_e32 vcc, 19, v0
	v_mov_b32_e32 v2, v6
	s_waitcnt lgkmcnt(0)
	s_barrier
	s_and_saveexec_b64 s[0:1], vcc
	s_cbranch_execz .LBB210_27
; %bb.26:
	s_movk_i32 s2, 0x48
	v_mad_u32_u24 v2, v0, s2, v1
	ds_read2_b32 v[2:3], v2 offset1:1
	s_waitcnt lgkmcnt(0)
	v_add_u32_e32 v2, v3, v2
.LBB210_27:
	s_or_b64 exec, exec, s[0:1]
	s_branch .LBB210_40
.LBB210_28:
                                        ; implicit-def: $vgpr2
	s_cbranch_execz .LBB210_40
; %bb.29:
	v_cmp_gt_u32_e32 vcc, 57, v0
	s_and_saveexec_b64 s[0:1], vcc
	s_cbranch_execz .LBB210_31
; %bb.30:
	ds_read_b32 v2, v1 offset:1216
	ds_read_b32 v3, v1
	s_waitcnt lgkmcnt(0)
	v_add_u32_e32 v2, v3, v2
	ds_write_b32 v1, v2
.LBB210_31:
	s_or_b64 exec, exec, s[0:1]
	s_movk_i32 s0, 0x98
	v_cmp_gt_u32_e32 vcc, s0, v0
	s_waitcnt lgkmcnt(0)
	s_barrier
	s_and_saveexec_b64 s[0:1], vcc
	s_cbranch_execz .LBB210_33
; %bb.32:
	ds_read2_b32 v[2:3], v1 offset1:152
	s_waitcnt lgkmcnt(0)
	v_add_u32_e32 v2, v2, v3
	ds_write_b32 v1, v2
.LBB210_33:
	s_or_b64 exec, exec, s[0:1]
	s_movk_i32 s0, 0x4c
	v_cmp_gt_u32_e32 vcc, s0, v0
	s_waitcnt lgkmcnt(0)
	s_barrier
	s_and_saveexec_b64 s[0:1], vcc
	s_cbranch_execz .LBB210_35
; %bb.34:
	ds_read2_b32 v[2:3], v1 offset1:76
	s_waitcnt lgkmcnt(0)
	v_add_u32_e32 v2, v2, v3
	ds_write_b32 v1, v2
.LBB210_35:
	s_or_b64 exec, exec, s[0:1]
	v_cmp_gt_u32_e32 vcc, 38, v0
	s_waitcnt lgkmcnt(0)
	s_barrier
	s_and_saveexec_b64 s[0:1], vcc
	s_cbranch_execz .LBB210_37
; %bb.36:
	ds_read2_b32 v[2:3], v1 offset1:38
	s_waitcnt lgkmcnt(0)
	v_add_u32_e32 v2, v2, v3
	ds_write_b32 v1, v2
.LBB210_37:
	s_or_b64 exec, exec, s[0:1]
	v_cmp_gt_u32_e32 vcc, 19, v0
	s_waitcnt lgkmcnt(0)
	s_and_saveexec_b64 s[0:1], vcc
	s_cbranch_execz .LBB210_39
; %bb.38:
	ds_read2_b32 v[1:2], v1 offset1:19
	s_waitcnt lgkmcnt(0)
	v_add_u32_e32 v6, v2, v1
.LBB210_39:
	s_or_b64 exec, exec, s[0:1]
	v_mov_b32_e32 v2, v6
.LBB210_40:
	v_cmp_gt_u32_e32 vcc, 19, v0
	s_and_saveexec_b64 s[0:1], vcc
	s_cbranch_execz .LBB210_44
; %bb.41:
	v_mul_lo_u32 v1, v2, s15
	s_cmp_eq_u32 s22, 0
	s_cbranch_scc1 .LBB210_45
; %bb.42:
	v_mad_u64_u32 v[2:3], s[0:1], s6, 19, v[0:1]
	v_mov_b32_e32 v3, 0
	v_mov_b32_e32 v4, s13
	v_lshlrev_b64 v[2:3], 2, v[2:3]
	v_add_co_u32_e32 v2, vcc, s12, v2
	v_addc_co_u32_e32 v3, vcc, v4, v3, vcc
	global_load_dword v4, v[2:3], off
	s_waitcnt vmcnt(0)
	v_mad_u64_u32 v[4:5], s[0:1], v4, s22, v[1:2]
	global_store_dword v[2:3], v4, off
	s_cbranch_execnz .LBB210_44
.LBB210_43:
	v_mad_u64_u32 v[2:3], s[0:1], s6, 19, v[0:1]
	v_mov_b32_e32 v3, 0
	v_mov_b32_e32 v0, s13
	v_lshlrev_b64 v[2:3], 2, v[2:3]
	v_add_co_u32_e32 v2, vcc, s12, v2
	v_addc_co_u32_e32 v3, vcc, v0, v3, vcc
	global_store_dword v[2:3], v1, off
.LBB210_44:
	s_endpgm
.LBB210_45:
	s_branch .LBB210_43
	.section	.rodata,"a",@progbits
	.p2align	6, 0x0
	.amdhsa_kernel _ZN9rocsparseL20bsrxmvn_17_32_kernelILj19EiliaaiEEvT2_20rocsparse_direction_NS_24const_host_device_scalarIT0_EES1_PKS1_PKT1_SA_S7_PKT3_PKT4_S5_PT5_21rocsparse_index_base_b
		.amdhsa_group_segment_fixed_size 1444
		.amdhsa_private_segment_fixed_size 0
		.amdhsa_kernarg_size 96
		.amdhsa_user_sgpr_count 6
		.amdhsa_user_sgpr_private_segment_buffer 1
		.amdhsa_user_sgpr_dispatch_ptr 0
		.amdhsa_user_sgpr_queue_ptr 0
		.amdhsa_user_sgpr_kernarg_segment_ptr 1
		.amdhsa_user_sgpr_dispatch_id 0
		.amdhsa_user_sgpr_flat_scratch_init 0
		.amdhsa_user_sgpr_private_segment_size 0
		.amdhsa_uses_dynamic_stack 0
		.amdhsa_system_sgpr_private_segment_wavefront_offset 0
		.amdhsa_system_sgpr_workgroup_id_x 1
		.amdhsa_system_sgpr_workgroup_id_y 0
		.amdhsa_system_sgpr_workgroup_id_z 0
		.amdhsa_system_sgpr_workgroup_info 0
		.amdhsa_system_vgpr_workitem_id 0
		.amdhsa_next_free_vgpr 13
		.amdhsa_next_free_sgpr 23
		.amdhsa_reserve_vcc 1
		.amdhsa_reserve_flat_scratch 0
		.amdhsa_float_round_mode_32 0
		.amdhsa_float_round_mode_16_64 0
		.amdhsa_float_denorm_mode_32 3
		.amdhsa_float_denorm_mode_16_64 3
		.amdhsa_dx10_clamp 1
		.amdhsa_ieee_mode 1
		.amdhsa_fp16_overflow 0
		.amdhsa_exception_fp_ieee_invalid_op 0
		.amdhsa_exception_fp_denorm_src 0
		.amdhsa_exception_fp_ieee_div_zero 0
		.amdhsa_exception_fp_ieee_overflow 0
		.amdhsa_exception_fp_ieee_underflow 0
		.amdhsa_exception_fp_ieee_inexact 0
		.amdhsa_exception_int_div_zero 0
	.end_amdhsa_kernel
	.section	.text._ZN9rocsparseL20bsrxmvn_17_32_kernelILj19EiliaaiEEvT2_20rocsparse_direction_NS_24const_host_device_scalarIT0_EES1_PKS1_PKT1_SA_S7_PKT3_PKT4_S5_PT5_21rocsparse_index_base_b,"axG",@progbits,_ZN9rocsparseL20bsrxmvn_17_32_kernelILj19EiliaaiEEvT2_20rocsparse_direction_NS_24const_host_device_scalarIT0_EES1_PKS1_PKT1_SA_S7_PKT3_PKT4_S5_PT5_21rocsparse_index_base_b,comdat
.Lfunc_end210:
	.size	_ZN9rocsparseL20bsrxmvn_17_32_kernelILj19EiliaaiEEvT2_20rocsparse_direction_NS_24const_host_device_scalarIT0_EES1_PKS1_PKT1_SA_S7_PKT3_PKT4_S5_PT5_21rocsparse_index_base_b, .Lfunc_end210-_ZN9rocsparseL20bsrxmvn_17_32_kernelILj19EiliaaiEEvT2_20rocsparse_direction_NS_24const_host_device_scalarIT0_EES1_PKS1_PKT1_SA_S7_PKT3_PKT4_S5_PT5_21rocsparse_index_base_b
                                        ; -- End function
	.set _ZN9rocsparseL20bsrxmvn_17_32_kernelILj19EiliaaiEEvT2_20rocsparse_direction_NS_24const_host_device_scalarIT0_EES1_PKS1_PKT1_SA_S7_PKT3_PKT4_S5_PT5_21rocsparse_index_base_b.num_vgpr, 13
	.set _ZN9rocsparseL20bsrxmvn_17_32_kernelILj19EiliaaiEEvT2_20rocsparse_direction_NS_24const_host_device_scalarIT0_EES1_PKS1_PKT1_SA_S7_PKT3_PKT4_S5_PT5_21rocsparse_index_base_b.num_agpr, 0
	.set _ZN9rocsparseL20bsrxmvn_17_32_kernelILj19EiliaaiEEvT2_20rocsparse_direction_NS_24const_host_device_scalarIT0_EES1_PKS1_PKT1_SA_S7_PKT3_PKT4_S5_PT5_21rocsparse_index_base_b.numbered_sgpr, 23
	.set _ZN9rocsparseL20bsrxmvn_17_32_kernelILj19EiliaaiEEvT2_20rocsparse_direction_NS_24const_host_device_scalarIT0_EES1_PKS1_PKT1_SA_S7_PKT3_PKT4_S5_PT5_21rocsparse_index_base_b.num_named_barrier, 0
	.set _ZN9rocsparseL20bsrxmvn_17_32_kernelILj19EiliaaiEEvT2_20rocsparse_direction_NS_24const_host_device_scalarIT0_EES1_PKS1_PKT1_SA_S7_PKT3_PKT4_S5_PT5_21rocsparse_index_base_b.private_seg_size, 0
	.set _ZN9rocsparseL20bsrxmvn_17_32_kernelILj19EiliaaiEEvT2_20rocsparse_direction_NS_24const_host_device_scalarIT0_EES1_PKS1_PKT1_SA_S7_PKT3_PKT4_S5_PT5_21rocsparse_index_base_b.uses_vcc, 1
	.set _ZN9rocsparseL20bsrxmvn_17_32_kernelILj19EiliaaiEEvT2_20rocsparse_direction_NS_24const_host_device_scalarIT0_EES1_PKS1_PKT1_SA_S7_PKT3_PKT4_S5_PT5_21rocsparse_index_base_b.uses_flat_scratch, 0
	.set _ZN9rocsparseL20bsrxmvn_17_32_kernelILj19EiliaaiEEvT2_20rocsparse_direction_NS_24const_host_device_scalarIT0_EES1_PKS1_PKT1_SA_S7_PKT3_PKT4_S5_PT5_21rocsparse_index_base_b.has_dyn_sized_stack, 0
	.set _ZN9rocsparseL20bsrxmvn_17_32_kernelILj19EiliaaiEEvT2_20rocsparse_direction_NS_24const_host_device_scalarIT0_EES1_PKS1_PKT1_SA_S7_PKT3_PKT4_S5_PT5_21rocsparse_index_base_b.has_recursion, 0
	.set _ZN9rocsparseL20bsrxmvn_17_32_kernelILj19EiliaaiEEvT2_20rocsparse_direction_NS_24const_host_device_scalarIT0_EES1_PKS1_PKT1_SA_S7_PKT3_PKT4_S5_PT5_21rocsparse_index_base_b.has_indirect_call, 0
	.section	.AMDGPU.csdata,"",@progbits
; Kernel info:
; codeLenInByte = 1368
; TotalNumSgprs: 27
; NumVgprs: 13
; ScratchSize: 0
; MemoryBound: 0
; FloatMode: 240
; IeeeMode: 1
; LDSByteSize: 1444 bytes/workgroup (compile time only)
; SGPRBlocks: 3
; VGPRBlocks: 3
; NumSGPRsForWavesPerEU: 27
; NumVGPRsForWavesPerEU: 13
; Occupancy: 10
; WaveLimiterHint : 1
; COMPUTE_PGM_RSRC2:SCRATCH_EN: 0
; COMPUTE_PGM_RSRC2:USER_SGPR: 6
; COMPUTE_PGM_RSRC2:TRAP_HANDLER: 0
; COMPUTE_PGM_RSRC2:TGID_X_EN: 1
; COMPUTE_PGM_RSRC2:TGID_Y_EN: 0
; COMPUTE_PGM_RSRC2:TGID_Z_EN: 0
; COMPUTE_PGM_RSRC2:TIDIG_COMP_CNT: 0
	.section	.text._ZN9rocsparseL20bsrxmvn_17_32_kernelILj20EiliaaiEEvT2_20rocsparse_direction_NS_24const_host_device_scalarIT0_EES1_PKS1_PKT1_SA_S7_PKT3_PKT4_S5_PT5_21rocsparse_index_base_b,"axG",@progbits,_ZN9rocsparseL20bsrxmvn_17_32_kernelILj20EiliaaiEEvT2_20rocsparse_direction_NS_24const_host_device_scalarIT0_EES1_PKS1_PKT1_SA_S7_PKT3_PKT4_S5_PT5_21rocsparse_index_base_b,comdat
	.globl	_ZN9rocsparseL20bsrxmvn_17_32_kernelILj20EiliaaiEEvT2_20rocsparse_direction_NS_24const_host_device_scalarIT0_EES1_PKS1_PKT1_SA_S7_PKT3_PKT4_S5_PT5_21rocsparse_index_base_b ; -- Begin function _ZN9rocsparseL20bsrxmvn_17_32_kernelILj20EiliaaiEEvT2_20rocsparse_direction_NS_24const_host_device_scalarIT0_EES1_PKS1_PKT1_SA_S7_PKT3_PKT4_S5_PT5_21rocsparse_index_base_b
	.p2align	8
	.type	_ZN9rocsparseL20bsrxmvn_17_32_kernelILj20EiliaaiEEvT2_20rocsparse_direction_NS_24const_host_device_scalarIT0_EES1_PKS1_PKT1_SA_S7_PKT3_PKT4_S5_PT5_21rocsparse_index_base_b,@function
_ZN9rocsparseL20bsrxmvn_17_32_kernelILj20EiliaaiEEvT2_20rocsparse_direction_NS_24const_host_device_scalarIT0_EES1_PKS1_PKT1_SA_S7_PKT3_PKT4_S5_PT5_21rocsparse_index_base_b: ; @_ZN9rocsparseL20bsrxmvn_17_32_kernelILj20EiliaaiEEvT2_20rocsparse_direction_NS_24const_host_device_scalarIT0_EES1_PKS1_PKT1_SA_S7_PKT3_PKT4_S5_PT5_21rocsparse_index_base_b
; %bb.0:
	s_load_dwordx2 s[14:15], s[4:5], 0x58
	s_load_dwordx2 s[8:9], s[4:5], 0x8
	s_mov_b64 s[10:11], -1
	s_waitcnt lgkmcnt(0)
	s_bitcmp1_b32 s15, 0
	s_cselect_b64 s[0:1], -1, 0
	s_xor_b64 s[2:3], s[0:1], -1
	s_and_b64 vcc, exec, s[2:3]
                                        ; implicit-def: $sgpr15
	s_cbranch_vccnz .LBB211_4
; %bb.1:
	s_load_dwordx2 s[0:1], s[4:5], 0x48
	s_andn2_b64 vcc, exec, s[10:11]
	s_cbranch_vccz .LBB211_5
.LBB211_2:
	s_and_b64 vcc, exec, s[2:3]
	s_cbranch_vccz .LBB211_6
.LBB211_3:
	s_waitcnt lgkmcnt(0)
	s_load_dword s22, s[0:1], 0x0
	s_cbranch_execz .LBB211_7
	s_branch .LBB211_8
.LBB211_4:
	s_load_dword s15, s[8:9], 0x0
	s_load_dwordx2 s[0:1], s[4:5], 0x48
	s_cbranch_execnz .LBB211_2
.LBB211_5:
	s_waitcnt lgkmcnt(0)
	s_mov_b32 s15, s8
	s_and_b64 vcc, exec, s[2:3]
	s_cbranch_vccnz .LBB211_3
.LBB211_6:
                                        ; implicit-def: $sgpr22
.LBB211_7:
	s_waitcnt lgkmcnt(0)
	s_mov_b32 s22, s0
.LBB211_8:
	s_waitcnt lgkmcnt(0)
	s_cmp_lg_u32 s15, 0
	s_cselect_b64 s[0:1], -1, 0
	s_cmp_lg_u32 s22, 1
	s_cselect_b64 s[2:3], -1, 0
	s_or_b64 s[0:1], s[0:1], s[2:3]
	s_andn2_b64 vcc, exec, s[0:1]
	s_cbranch_vccnz .LBB211_44
; %bb.9:
	s_load_dwordx4 s[0:3], s[4:5], 0x18
	s_load_dwordx2 s[8:9], s[4:5], 0x28
	s_waitcnt lgkmcnt(0)
	s_cmp_eq_u64 s[0:1], 0
	s_cbranch_scc1 .LBB211_11
; %bb.10:
	s_ashr_i32 s7, s6, 31
	s_lshl_b64 s[6:7], s[6:7], 2
	s_add_u32 s0, s0, s6
	s_addc_u32 s1, s1, s7
	s_load_dword s0, s[0:1], 0x0
	s_waitcnt lgkmcnt(0)
	s_sub_i32 s6, s0, s14
.LBB211_11:
	s_load_dword s7, s[4:5], 0x4
	s_load_dwordx2 s[12:13], s[4:5], 0x50
	v_mul_u32_u24_e32 v1, 0xccd, v0
	v_mov_b32_e32 v2, 20
	v_mul_lo_u16_sdwa v3, v1, v2 dst_sel:DWORD dst_unused:UNUSED_PAD src0_sel:WORD_1 src1_sel:DWORD
	s_waitcnt lgkmcnt(0)
	s_cmp_eq_u32 s7, 1
	s_cselect_b64 s[0:1], -1, 0
	s_cmp_lg_u32 s7, 1
	s_cselect_b64 s[16:17], -1, 0
	s_ashr_i32 s7, s6, 31
	s_lshl_b64 s[10:11], s[6:7], 3
	s_add_u32 s2, s2, s10
	s_addc_u32 s3, s3, s11
	s_add_u32 s7, s2, 8
	s_addc_u32 s18, s3, 0
	;; [unrolled: 2-line block ×3, first 2 shown]
	s_cmp_eq_u64 s[8:9], 0
	s_cselect_b32 s9, s18, s11
	s_cselect_b32 s8, s7, s10
	s_load_dwordx2 s[18:19], s[8:9], 0x0
	s_load_dwordx2 s[20:21], s[2:3], 0x0
	v_sub_u16_e32 v7, v0, v3
	v_mov_b32_e32 v6, 0
	s_waitcnt lgkmcnt(0)
	v_mov_b32_e32 v3, s18
	v_mov_b32_e32 v4, s19
	v_cmp_ge_i64_e32 vcc, s[20:21], v[3:4]
	s_cbranch_vccnz .LBB211_16
; %bb.12:
	v_mov_b32_e32 v3, 13
	s_load_dwordx4 s[8:11], s[4:5], 0x30
	s_load_dwordx2 s[2:3], s[4:5], 0x40
	s_sub_u32 s4, s18, s14
	v_mul_lo_u16_sdwa v3, v1, v3 dst_sel:DWORD dst_unused:UNUSED_PAD src0_sel:WORD_1 src1_sel:DWORD
	s_subb_u32 s5, s19, 0
	v_mul_lo_u16_sdwa v2, v3, v2 dst_sel:DWORD dst_unused:UNUSED_PAD src0_sel:BYTE_1 src1_sel:DWORD
	v_sub_u16_sdwa v1, v1, v2 dst_sel:DWORD dst_unused:UNUSED_PAD src0_sel:WORD_1 src1_sel:DWORD
	s_sub_u32 s18, s20, s14
	v_and_b32_e32 v1, 0xff, v1
	s_subb_u32 s19, s21, 0
	v_cndmask_b32_e64 v1, v7, v1, s[0:1]
	s_mul_i32 s0, s19, 0x190
	s_mul_hi_u32 s1, s18, 0x190
	s_add_i32 s1, s1, s0
	s_mul_i32 s0, s18, 0x190
	s_waitcnt lgkmcnt(0)
	s_add_u32 s0, s10, s0
	s_addc_u32 s1, s11, s1
	v_add_co_u32_e32 v2, vcc, s0, v0
	s_movk_i32 s0, 0xa4
	v_mov_b32_e32 v3, s1
	v_mul_u32_u24_sdwa v4, v0, s0 dst_sel:DWORD dst_unused:UNUSED_PAD src0_sel:WORD_0 src1_sel:DWORD
	v_addc_co_u32_e32 v3, vcc, 0, v3, vcc
	v_lshrrev_b32_e32 v8, 16, v4
	v_mov_b32_e32 v4, s21
	v_add_co_u32_e32 v5, vcc, s20, v8
	v_addc_co_u32_e32 v9, vcc, 0, v4, vcc
	v_subrev_co_u32_e32 v4, vcc, s14, v5
	v_subbrev_co_u32_e32 v5, vcc, 0, v9, vcc
	v_lshlrev_b64 v[4:5], 2, v[4:5]
	v_mov_b32_e32 v9, s9
	v_add_co_u32_e32 v4, vcc, s8, v4
	v_mov_b32_e32 v6, 0
	v_addc_co_u32_e32 v5, vcc, v9, v5, vcc
	s_branch .LBB211_14
.LBB211_13:                             ;   in Loop: Header=BB211_14 Depth=1
	s_or_b64 exec, exec, s[0:1]
	s_add_u32 s18, s18, 1
	v_mov_b32_e32 v10, s5
	s_addc_u32 s19, s19, 0
	v_mov_b32_e32 v9, s4
	v_cmp_lt_i64_e32 vcc, s[18:19], v[9:10]
	v_add_co_u32_e64 v4, s[0:1], 4, v4
	v_addc_co_u32_e64 v5, s[0:1], 0, v5, s[0:1]
	s_cbranch_vccz .LBB211_16
.LBB211_14:                             ; =>This Inner Loop Header: Depth=1
	v_mov_b32_e32 v10, s19
	v_add_co_u32_e32 v9, vcc, s18, v8
	v_addc_co_u32_e32 v10, vcc, 0, v10, vcc
	v_cmp_gt_i64_e32 vcc, s[4:5], v[9:10]
	s_and_saveexec_b64 s[0:1], vcc
	s_cbranch_execz .LBB211_13
; %bb.15:                               ;   in Loop: Header=BB211_14 Depth=1
	global_load_dword v9, v[4:5], off
	global_load_sbyte v11, v[2:3], off
	s_waitcnt vmcnt(1)
	v_subrev_u32_e32 v9, s14, v9
	v_mad_u64_u32 v[9:10], s[8:9], v9, 20, v[1:2]
	v_mov_b32_e32 v10, s3
	v_ashrrev_i32_e32 v12, 31, v9
	v_add_co_u32_e32 v9, vcc, s2, v9
	v_addc_co_u32_e32 v10, vcc, v10, v12, vcc
	global_load_sbyte v9, v[9:10], off
	v_add_co_u32_e32 v2, vcc, 0x190, v2
	v_addc_co_u32_e32 v3, vcc, 0, v3, vcc
	s_waitcnt vmcnt(0)
	v_mad_i32_i24 v6, v9, v11, v6
	s_branch .LBB211_13
.LBB211_16:
	v_lshlrev_b32_e32 v1, 2, v0
	s_and_b64 vcc, exec, s[16:17]
	ds_write_b32 v1, v6
	s_waitcnt lgkmcnt(0)
	s_barrier
	s_cbranch_vccz .LBB211_28
; %bb.17:
	v_cmp_gt_u16_e32 vcc, 4, v7
	s_and_saveexec_b64 s[0:1], vcc
	s_cbranch_execz .LBB211_19
; %bb.18:
	ds_read2_b32 v[2:3], v1 offset1:16
	s_waitcnt lgkmcnt(0)
	v_add_u32_e32 v2, v2, v3
	ds_write_b32 v1, v2
.LBB211_19:
	s_or_b64 exec, exec, s[0:1]
	v_cmp_gt_u16_e64 s[0:1], 8, v7
	s_waitcnt lgkmcnt(0)
	s_barrier
	s_and_saveexec_b64 s[2:3], s[0:1]
	s_cbranch_execz .LBB211_21
; %bb.20:
	ds_read2_b32 v[2:3], v1 offset1:8
	s_waitcnt lgkmcnt(0)
	v_add_u32_e32 v2, v2, v3
	ds_write_b32 v1, v2
.LBB211_21:
	s_or_b64 exec, exec, s[2:3]
	s_waitcnt lgkmcnt(0)
	s_barrier
	s_and_saveexec_b64 s[0:1], vcc
	s_cbranch_execz .LBB211_23
; %bb.22:
	ds_read2_b32 v[2:3], v1 offset1:4
	s_waitcnt lgkmcnt(0)
	v_add_u32_e32 v2, v2, v3
	ds_write_b32 v1, v2
.LBB211_23:
	s_or_b64 exec, exec, s[0:1]
	v_cmp_gt_u16_e32 vcc, 2, v7
	s_waitcnt lgkmcnt(0)
	s_barrier
	s_and_saveexec_b64 s[0:1], vcc
	s_cbranch_execz .LBB211_25
; %bb.24:
	ds_read2_b32 v[2:3], v1 offset1:2
	s_waitcnt lgkmcnt(0)
	v_add_u32_e32 v2, v2, v3
	ds_write_b32 v1, v2
.LBB211_25:
	s_or_b64 exec, exec, s[0:1]
	v_cmp_gt_u32_e32 vcc, 20, v0
	v_mov_b32_e32 v2, v6
	s_waitcnt lgkmcnt(0)
	s_barrier
	s_and_saveexec_b64 s[0:1], vcc
	s_cbranch_execz .LBB211_27
; %bb.26:
	s_movk_i32 s2, 0x4c
	v_mad_u32_u24 v2, v0, s2, v1
	ds_read_b64 v[2:3], v2
	s_waitcnt lgkmcnt(0)
	v_add_u32_e32 v2, v3, v2
.LBB211_27:
	s_or_b64 exec, exec, s[0:1]
	s_branch .LBB211_40
.LBB211_28:
                                        ; implicit-def: $vgpr2
	s_cbranch_execz .LBB211_40
; %bb.29:
	s_movk_i32 s0, 0x50
	v_cmp_gt_u32_e32 vcc, s0, v0
	s_and_saveexec_b64 s[0:1], vcc
	s_cbranch_execz .LBB211_31
; %bb.30:
	ds_read2st64_b32 v[2:3], v1 offset1:5
	s_waitcnt lgkmcnt(0)
	v_add_u32_e32 v2, v2, v3
	ds_write_b32 v1, v2
.LBB211_31:
	s_or_b64 exec, exec, s[0:1]
	s_movk_i32 s0, 0xa0
	v_cmp_gt_u32_e64 s[0:1], s0, v0
	s_waitcnt lgkmcnt(0)
	s_barrier
	s_and_saveexec_b64 s[2:3], s[0:1]
	s_cbranch_execz .LBB211_33
; %bb.32:
	ds_read2_b32 v[2:3], v1 offset1:160
	s_waitcnt lgkmcnt(0)
	v_add_u32_e32 v2, v2, v3
	ds_write_b32 v1, v2
.LBB211_33:
	s_or_b64 exec, exec, s[2:3]
	s_waitcnt lgkmcnt(0)
	s_barrier
	s_and_saveexec_b64 s[0:1], vcc
	s_cbranch_execz .LBB211_35
; %bb.34:
	ds_read2_b32 v[2:3], v1 offset1:80
	s_waitcnt lgkmcnt(0)
	v_add_u32_e32 v2, v2, v3
	ds_write_b32 v1, v2
.LBB211_35:
	s_or_b64 exec, exec, s[0:1]
	v_cmp_gt_u32_e32 vcc, 40, v0
	s_waitcnt lgkmcnt(0)
	s_barrier
	s_and_saveexec_b64 s[0:1], vcc
	s_cbranch_execz .LBB211_37
; %bb.36:
	ds_read2_b32 v[2:3], v1 offset1:40
	s_waitcnt lgkmcnt(0)
	v_add_u32_e32 v2, v2, v3
	ds_write_b32 v1, v2
.LBB211_37:
	s_or_b64 exec, exec, s[0:1]
	v_cmp_gt_u32_e32 vcc, 20, v0
	s_waitcnt lgkmcnt(0)
	s_and_saveexec_b64 s[0:1], vcc
	s_cbranch_execz .LBB211_39
; %bb.38:
	ds_read2_b32 v[1:2], v1 offset1:20
	s_waitcnt lgkmcnt(0)
	v_add_u32_e32 v6, v2, v1
.LBB211_39:
	s_or_b64 exec, exec, s[0:1]
	v_mov_b32_e32 v2, v6
.LBB211_40:
	v_cmp_gt_u32_e32 vcc, 20, v0
	s_and_saveexec_b64 s[0:1], vcc
	s_cbranch_execz .LBB211_44
; %bb.41:
	v_mul_lo_u32 v1, v2, s15
	s_cmp_eq_u32 s22, 0
	s_cbranch_scc1 .LBB211_45
; %bb.42:
	v_mad_u64_u32 v[2:3], s[0:1], s6, 20, v[0:1]
	v_mov_b32_e32 v3, 0
	v_mov_b32_e32 v4, s13
	v_lshlrev_b64 v[2:3], 2, v[2:3]
	v_add_co_u32_e32 v2, vcc, s12, v2
	v_addc_co_u32_e32 v3, vcc, v4, v3, vcc
	global_load_dword v4, v[2:3], off
	s_waitcnt vmcnt(0)
	v_mad_u64_u32 v[4:5], s[0:1], v4, s22, v[1:2]
	global_store_dword v[2:3], v4, off
	s_cbranch_execnz .LBB211_44
.LBB211_43:
	v_mad_u64_u32 v[2:3], s[0:1], s6, 20, v[0:1]
	v_mov_b32_e32 v3, 0
	v_mov_b32_e32 v0, s13
	v_lshlrev_b64 v[2:3], 2, v[2:3]
	v_add_co_u32_e32 v2, vcc, s12, v2
	v_addc_co_u32_e32 v3, vcc, v0, v3, vcc
	global_store_dword v[2:3], v1, off
.LBB211_44:
	s_endpgm
.LBB211_45:
	s_branch .LBB211_43
	.section	.rodata,"a",@progbits
	.p2align	6, 0x0
	.amdhsa_kernel _ZN9rocsparseL20bsrxmvn_17_32_kernelILj20EiliaaiEEvT2_20rocsparse_direction_NS_24const_host_device_scalarIT0_EES1_PKS1_PKT1_SA_S7_PKT3_PKT4_S5_PT5_21rocsparse_index_base_b
		.amdhsa_group_segment_fixed_size 1600
		.amdhsa_private_segment_fixed_size 0
		.amdhsa_kernarg_size 96
		.amdhsa_user_sgpr_count 6
		.amdhsa_user_sgpr_private_segment_buffer 1
		.amdhsa_user_sgpr_dispatch_ptr 0
		.amdhsa_user_sgpr_queue_ptr 0
		.amdhsa_user_sgpr_kernarg_segment_ptr 1
		.amdhsa_user_sgpr_dispatch_id 0
		.amdhsa_user_sgpr_flat_scratch_init 0
		.amdhsa_user_sgpr_private_segment_size 0
		.amdhsa_uses_dynamic_stack 0
		.amdhsa_system_sgpr_private_segment_wavefront_offset 0
		.amdhsa_system_sgpr_workgroup_id_x 1
		.amdhsa_system_sgpr_workgroup_id_y 0
		.amdhsa_system_sgpr_workgroup_id_z 0
		.amdhsa_system_sgpr_workgroup_info 0
		.amdhsa_system_vgpr_workitem_id 0
		.amdhsa_next_free_vgpr 13
		.amdhsa_next_free_sgpr 23
		.amdhsa_reserve_vcc 1
		.amdhsa_reserve_flat_scratch 0
		.amdhsa_float_round_mode_32 0
		.amdhsa_float_round_mode_16_64 0
		.amdhsa_float_denorm_mode_32 3
		.amdhsa_float_denorm_mode_16_64 3
		.amdhsa_dx10_clamp 1
		.amdhsa_ieee_mode 1
		.amdhsa_fp16_overflow 0
		.amdhsa_exception_fp_ieee_invalid_op 0
		.amdhsa_exception_fp_denorm_src 0
		.amdhsa_exception_fp_ieee_div_zero 0
		.amdhsa_exception_fp_ieee_overflow 0
		.amdhsa_exception_fp_ieee_underflow 0
		.amdhsa_exception_fp_ieee_inexact 0
		.amdhsa_exception_int_div_zero 0
	.end_amdhsa_kernel
	.section	.text._ZN9rocsparseL20bsrxmvn_17_32_kernelILj20EiliaaiEEvT2_20rocsparse_direction_NS_24const_host_device_scalarIT0_EES1_PKS1_PKT1_SA_S7_PKT3_PKT4_S5_PT5_21rocsparse_index_base_b,"axG",@progbits,_ZN9rocsparseL20bsrxmvn_17_32_kernelILj20EiliaaiEEvT2_20rocsparse_direction_NS_24const_host_device_scalarIT0_EES1_PKS1_PKT1_SA_S7_PKT3_PKT4_S5_PT5_21rocsparse_index_base_b,comdat
.Lfunc_end211:
	.size	_ZN9rocsparseL20bsrxmvn_17_32_kernelILj20EiliaaiEEvT2_20rocsparse_direction_NS_24const_host_device_scalarIT0_EES1_PKS1_PKT1_SA_S7_PKT3_PKT4_S5_PT5_21rocsparse_index_base_b, .Lfunc_end211-_ZN9rocsparseL20bsrxmvn_17_32_kernelILj20EiliaaiEEvT2_20rocsparse_direction_NS_24const_host_device_scalarIT0_EES1_PKS1_PKT1_SA_S7_PKT3_PKT4_S5_PT5_21rocsparse_index_base_b
                                        ; -- End function
	.set _ZN9rocsparseL20bsrxmvn_17_32_kernelILj20EiliaaiEEvT2_20rocsparse_direction_NS_24const_host_device_scalarIT0_EES1_PKS1_PKT1_SA_S7_PKT3_PKT4_S5_PT5_21rocsparse_index_base_b.num_vgpr, 13
	.set _ZN9rocsparseL20bsrxmvn_17_32_kernelILj20EiliaaiEEvT2_20rocsparse_direction_NS_24const_host_device_scalarIT0_EES1_PKS1_PKT1_SA_S7_PKT3_PKT4_S5_PT5_21rocsparse_index_base_b.num_agpr, 0
	.set _ZN9rocsparseL20bsrxmvn_17_32_kernelILj20EiliaaiEEvT2_20rocsparse_direction_NS_24const_host_device_scalarIT0_EES1_PKS1_PKT1_SA_S7_PKT3_PKT4_S5_PT5_21rocsparse_index_base_b.numbered_sgpr, 23
	.set _ZN9rocsparseL20bsrxmvn_17_32_kernelILj20EiliaaiEEvT2_20rocsparse_direction_NS_24const_host_device_scalarIT0_EES1_PKS1_PKT1_SA_S7_PKT3_PKT4_S5_PT5_21rocsparse_index_base_b.num_named_barrier, 0
	.set _ZN9rocsparseL20bsrxmvn_17_32_kernelILj20EiliaaiEEvT2_20rocsparse_direction_NS_24const_host_device_scalarIT0_EES1_PKS1_PKT1_SA_S7_PKT3_PKT4_S5_PT5_21rocsparse_index_base_b.private_seg_size, 0
	.set _ZN9rocsparseL20bsrxmvn_17_32_kernelILj20EiliaaiEEvT2_20rocsparse_direction_NS_24const_host_device_scalarIT0_EES1_PKS1_PKT1_SA_S7_PKT3_PKT4_S5_PT5_21rocsparse_index_base_b.uses_vcc, 1
	.set _ZN9rocsparseL20bsrxmvn_17_32_kernelILj20EiliaaiEEvT2_20rocsparse_direction_NS_24const_host_device_scalarIT0_EES1_PKS1_PKT1_SA_S7_PKT3_PKT4_S5_PT5_21rocsparse_index_base_b.uses_flat_scratch, 0
	.set _ZN9rocsparseL20bsrxmvn_17_32_kernelILj20EiliaaiEEvT2_20rocsparse_direction_NS_24const_host_device_scalarIT0_EES1_PKS1_PKT1_SA_S7_PKT3_PKT4_S5_PT5_21rocsparse_index_base_b.has_dyn_sized_stack, 0
	.set _ZN9rocsparseL20bsrxmvn_17_32_kernelILj20EiliaaiEEvT2_20rocsparse_direction_NS_24const_host_device_scalarIT0_EES1_PKS1_PKT1_SA_S7_PKT3_PKT4_S5_PT5_21rocsparse_index_base_b.has_recursion, 0
	.set _ZN9rocsparseL20bsrxmvn_17_32_kernelILj20EiliaaiEEvT2_20rocsparse_direction_NS_24const_host_device_scalarIT0_EES1_PKS1_PKT1_SA_S7_PKT3_PKT4_S5_PT5_21rocsparse_index_base_b.has_indirect_call, 0
	.section	.AMDGPU.csdata,"",@progbits
; Kernel info:
; codeLenInByte = 1360
; TotalNumSgprs: 27
; NumVgprs: 13
; ScratchSize: 0
; MemoryBound: 0
; FloatMode: 240
; IeeeMode: 1
; LDSByteSize: 1600 bytes/workgroup (compile time only)
; SGPRBlocks: 3
; VGPRBlocks: 3
; NumSGPRsForWavesPerEU: 27
; NumVGPRsForWavesPerEU: 13
; Occupancy: 10
; WaveLimiterHint : 1
; COMPUTE_PGM_RSRC2:SCRATCH_EN: 0
; COMPUTE_PGM_RSRC2:USER_SGPR: 6
; COMPUTE_PGM_RSRC2:TRAP_HANDLER: 0
; COMPUTE_PGM_RSRC2:TGID_X_EN: 1
; COMPUTE_PGM_RSRC2:TGID_Y_EN: 0
; COMPUTE_PGM_RSRC2:TGID_Z_EN: 0
; COMPUTE_PGM_RSRC2:TIDIG_COMP_CNT: 0
	.section	.text._ZN9rocsparseL20bsrxmvn_17_32_kernelILj21EiliaaiEEvT2_20rocsparse_direction_NS_24const_host_device_scalarIT0_EES1_PKS1_PKT1_SA_S7_PKT3_PKT4_S5_PT5_21rocsparse_index_base_b,"axG",@progbits,_ZN9rocsparseL20bsrxmvn_17_32_kernelILj21EiliaaiEEvT2_20rocsparse_direction_NS_24const_host_device_scalarIT0_EES1_PKS1_PKT1_SA_S7_PKT3_PKT4_S5_PT5_21rocsparse_index_base_b,comdat
	.globl	_ZN9rocsparseL20bsrxmvn_17_32_kernelILj21EiliaaiEEvT2_20rocsparse_direction_NS_24const_host_device_scalarIT0_EES1_PKS1_PKT1_SA_S7_PKT3_PKT4_S5_PT5_21rocsparse_index_base_b ; -- Begin function _ZN9rocsparseL20bsrxmvn_17_32_kernelILj21EiliaaiEEvT2_20rocsparse_direction_NS_24const_host_device_scalarIT0_EES1_PKS1_PKT1_SA_S7_PKT3_PKT4_S5_PT5_21rocsparse_index_base_b
	.p2align	8
	.type	_ZN9rocsparseL20bsrxmvn_17_32_kernelILj21EiliaaiEEvT2_20rocsparse_direction_NS_24const_host_device_scalarIT0_EES1_PKS1_PKT1_SA_S7_PKT3_PKT4_S5_PT5_21rocsparse_index_base_b,@function
_ZN9rocsparseL20bsrxmvn_17_32_kernelILj21EiliaaiEEvT2_20rocsparse_direction_NS_24const_host_device_scalarIT0_EES1_PKS1_PKT1_SA_S7_PKT3_PKT4_S5_PT5_21rocsparse_index_base_b: ; @_ZN9rocsparseL20bsrxmvn_17_32_kernelILj21EiliaaiEEvT2_20rocsparse_direction_NS_24const_host_device_scalarIT0_EES1_PKS1_PKT1_SA_S7_PKT3_PKT4_S5_PT5_21rocsparse_index_base_b
; %bb.0:
	s_load_dwordx2 s[14:15], s[4:5], 0x58
	s_load_dwordx2 s[8:9], s[4:5], 0x8
	s_mov_b64 s[10:11], -1
	s_waitcnt lgkmcnt(0)
	s_bitcmp1_b32 s15, 0
	s_cselect_b64 s[0:1], -1, 0
	s_xor_b64 s[2:3], s[0:1], -1
	s_and_b64 vcc, exec, s[2:3]
                                        ; implicit-def: $sgpr15
	s_cbranch_vccnz .LBB212_4
; %bb.1:
	s_load_dwordx2 s[0:1], s[4:5], 0x48
	s_andn2_b64 vcc, exec, s[10:11]
	s_cbranch_vccz .LBB212_5
.LBB212_2:
	s_and_b64 vcc, exec, s[2:3]
	s_cbranch_vccz .LBB212_6
.LBB212_3:
	s_waitcnt lgkmcnt(0)
	s_load_dword s22, s[0:1], 0x0
	s_cbranch_execz .LBB212_7
	s_branch .LBB212_8
.LBB212_4:
	s_load_dword s15, s[8:9], 0x0
	s_load_dwordx2 s[0:1], s[4:5], 0x48
	s_cbranch_execnz .LBB212_2
.LBB212_5:
	s_waitcnt lgkmcnt(0)
	s_mov_b32 s15, s8
	s_and_b64 vcc, exec, s[2:3]
	s_cbranch_vccnz .LBB212_3
.LBB212_6:
                                        ; implicit-def: $sgpr22
.LBB212_7:
	s_waitcnt lgkmcnt(0)
	s_mov_b32 s22, s0
.LBB212_8:
	s_waitcnt lgkmcnt(0)
	s_cmp_lg_u32 s15, 0
	s_cselect_b64 s[0:1], -1, 0
	s_cmp_lg_u32 s22, 1
	s_cselect_b64 s[2:3], -1, 0
	s_or_b64 s[0:1], s[0:1], s[2:3]
	s_andn2_b64 vcc, exec, s[0:1]
	s_cbranch_vccnz .LBB212_44
; %bb.9:
	s_load_dwordx4 s[0:3], s[4:5], 0x18
	s_load_dwordx2 s[8:9], s[4:5], 0x28
	s_waitcnt lgkmcnt(0)
	s_cmp_eq_u64 s[0:1], 0
	s_cbranch_scc1 .LBB212_11
; %bb.10:
	s_ashr_i32 s7, s6, 31
	s_lshl_b64 s[6:7], s[6:7], 2
	s_add_u32 s0, s0, s6
	s_addc_u32 s1, s1, s7
	s_load_dword s0, s[0:1], 0x0
	s_waitcnt lgkmcnt(0)
	s_sub_i32 s6, s0, s14
.LBB212_11:
	s_load_dword s7, s[4:5], 0x4
	s_load_dwordx2 s[12:13], s[4:5], 0x50
	v_mul_u32_u24_e32 v1, 0xc31, v0
	v_mov_b32_e32 v2, 21
	v_mul_lo_u16_sdwa v2, v1, v2 dst_sel:DWORD dst_unused:UNUSED_PAD src0_sel:WORD_1 src1_sel:DWORD
	s_waitcnt lgkmcnt(0)
	s_cmp_eq_u32 s7, 1
	s_cselect_b64 s[0:1], -1, 0
	s_cmp_lg_u32 s7, 1
	s_cselect_b64 s[16:17], -1, 0
	s_ashr_i32 s7, s6, 31
	s_lshl_b64 s[10:11], s[6:7], 3
	s_add_u32 s2, s2, s10
	s_addc_u32 s3, s3, s11
	s_add_u32 s7, s2, 8
	s_addc_u32 s18, s3, 0
	;; [unrolled: 2-line block ×3, first 2 shown]
	s_cmp_eq_u64 s[8:9], 0
	s_cselect_b32 s9, s18, s11
	s_cselect_b32 s8, s7, s10
	s_load_dwordx2 s[18:19], s[8:9], 0x0
	s_load_dwordx2 s[20:21], s[2:3], 0x0
	v_sub_u16_e32 v7, v0, v2
	v_mov_b32_e32 v6, 0
	s_waitcnt lgkmcnt(0)
	v_mov_b32_e32 v2, s18
	v_mov_b32_e32 v3, s19
	v_cmp_ge_i64_e32 vcc, s[20:21], v[2:3]
	s_cbranch_vccnz .LBB212_16
; %bb.12:
	v_mov_b32_e32 v2, 25
	v_mul_lo_u16_sdwa v2, v1, v2 dst_sel:DWORD dst_unused:UNUSED_PAD src0_sel:WORD_1 src1_sel:DWORD
	s_load_dwordx4 s[8:11], s[4:5], 0x30
	s_load_dwordx2 s[2:3], s[4:5], 0x40
	s_sub_u32 s4, s18, s14
	v_lshrrev_b16_e32 v2, 9, v2
	s_subb_u32 s5, s19, 0
	v_mul_lo_u16_e32 v2, 21, v2
	v_sub_u16_sdwa v1, v1, v2 dst_sel:DWORD dst_unused:UNUSED_PAD src0_sel:WORD_1 src1_sel:DWORD
	s_sub_u32 s18, s20, s14
	v_and_b32_e32 v1, 0xff, v1
	s_subb_u32 s19, s21, 0
	v_cndmask_b32_e64 v1, v7, v1, s[0:1]
	s_mul_i32 s0, s19, 0x1b9
	s_mul_hi_u32 s1, s18, 0x1b9
	s_add_i32 s1, s1, s0
	s_mul_i32 s0, s18, 0x1b9
	s_waitcnt lgkmcnt(0)
	s_add_u32 s0, s10, s0
	s_addc_u32 s1, s11, s1
	v_add_co_u32_e32 v2, vcc, s0, v0
	s_movk_i32 s0, 0x253
	v_mov_b32_e32 v3, s1
	v_mul_u32_u24_sdwa v4, v0, s0 dst_sel:DWORD dst_unused:UNUSED_PAD src0_sel:WORD_0 src1_sel:DWORD
	v_addc_co_u32_e32 v3, vcc, 0, v3, vcc
	v_lshrrev_b32_e32 v8, 18, v4
	v_mov_b32_e32 v4, s21
	v_add_co_u32_e32 v5, vcc, s20, v8
	v_addc_co_u32_e32 v9, vcc, 0, v4, vcc
	v_subrev_co_u32_e32 v4, vcc, s14, v5
	v_subbrev_co_u32_e32 v5, vcc, 0, v9, vcc
	v_lshlrev_b64 v[4:5], 2, v[4:5]
	v_mov_b32_e32 v9, s9
	v_add_co_u32_e32 v4, vcc, s8, v4
	v_mov_b32_e32 v6, 0
	v_addc_co_u32_e32 v5, vcc, v9, v5, vcc
	s_branch .LBB212_14
.LBB212_13:                             ;   in Loop: Header=BB212_14 Depth=1
	s_or_b64 exec, exec, s[0:1]
	s_add_u32 s18, s18, 1
	v_mov_b32_e32 v10, s5
	s_addc_u32 s19, s19, 0
	v_mov_b32_e32 v9, s4
	v_cmp_lt_i64_e32 vcc, s[18:19], v[9:10]
	v_add_co_u32_e64 v4, s[0:1], 4, v4
	v_addc_co_u32_e64 v5, s[0:1], 0, v5, s[0:1]
	s_cbranch_vccz .LBB212_16
.LBB212_14:                             ; =>This Inner Loop Header: Depth=1
	v_mov_b32_e32 v10, s19
	v_add_co_u32_e32 v9, vcc, s18, v8
	v_addc_co_u32_e32 v10, vcc, 0, v10, vcc
	v_cmp_gt_i64_e32 vcc, s[4:5], v[9:10]
	s_and_saveexec_b64 s[0:1], vcc
	s_cbranch_execz .LBB212_13
; %bb.15:                               ;   in Loop: Header=BB212_14 Depth=1
	global_load_dword v9, v[4:5], off
	global_load_sbyte v11, v[2:3], off
	s_waitcnt vmcnt(1)
	v_subrev_u32_e32 v9, s14, v9
	v_mad_u64_u32 v[9:10], s[8:9], v9, 21, v[1:2]
	v_mov_b32_e32 v10, s3
	v_ashrrev_i32_e32 v12, 31, v9
	v_add_co_u32_e32 v9, vcc, s2, v9
	v_addc_co_u32_e32 v10, vcc, v10, v12, vcc
	global_load_sbyte v9, v[9:10], off
	v_add_co_u32_e32 v2, vcc, 0x1b9, v2
	v_addc_co_u32_e32 v3, vcc, 0, v3, vcc
	s_waitcnt vmcnt(0)
	v_mad_i32_i24 v6, v9, v11, v6
	s_branch .LBB212_13
.LBB212_16:
	v_lshlrev_b32_e32 v1, 2, v0
	s_and_b64 vcc, exec, s[16:17]
	ds_write_b32 v1, v6
	s_waitcnt lgkmcnt(0)
	s_barrier
	s_cbranch_vccz .LBB212_28
; %bb.17:
	v_cmp_gt_u16_e32 vcc, 5, v7
	s_and_saveexec_b64 s[0:1], vcc
	s_cbranch_execz .LBB212_19
; %bb.18:
	ds_read2_b32 v[2:3], v1 offset1:16
	s_waitcnt lgkmcnt(0)
	v_add_u32_e32 v2, v2, v3
	ds_write_b32 v1, v2
.LBB212_19:
	s_or_b64 exec, exec, s[0:1]
	v_cmp_gt_u16_e32 vcc, 8, v7
	s_waitcnt lgkmcnt(0)
	s_barrier
	s_and_saveexec_b64 s[0:1], vcc
	s_cbranch_execz .LBB212_21
; %bb.20:
	ds_read2_b32 v[2:3], v1 offset1:8
	s_waitcnt lgkmcnt(0)
	v_add_u32_e32 v2, v2, v3
	ds_write_b32 v1, v2
.LBB212_21:
	s_or_b64 exec, exec, s[0:1]
	v_cmp_gt_u16_e32 vcc, 4, v7
	s_waitcnt lgkmcnt(0)
	s_barrier
	s_and_saveexec_b64 s[0:1], vcc
	s_cbranch_execz .LBB212_23
; %bb.22:
	ds_read2_b32 v[2:3], v1 offset1:4
	s_waitcnt lgkmcnt(0)
	v_add_u32_e32 v2, v2, v3
	ds_write_b32 v1, v2
.LBB212_23:
	s_or_b64 exec, exec, s[0:1]
	v_cmp_gt_u16_e32 vcc, 2, v7
	s_waitcnt lgkmcnt(0)
	s_barrier
	s_and_saveexec_b64 s[0:1], vcc
	s_cbranch_execz .LBB212_25
; %bb.24:
	ds_read2_b32 v[2:3], v1 offset1:2
	s_waitcnt lgkmcnt(0)
	v_add_u32_e32 v2, v2, v3
	ds_write_b32 v1, v2
.LBB212_25:
	s_or_b64 exec, exec, s[0:1]
	v_cmp_gt_u32_e32 vcc, 21, v0
	v_mov_b32_e32 v2, v6
	s_waitcnt lgkmcnt(0)
	s_barrier
	s_and_saveexec_b64 s[0:1], vcc
	s_cbranch_execz .LBB212_27
; %bb.26:
	s_movk_i32 s2, 0x50
	v_mad_u32_u24 v2, v0, s2, v1
	ds_read2_b32 v[2:3], v2 offset1:1
	s_waitcnt lgkmcnt(0)
	v_add_u32_e32 v2, v3, v2
.LBB212_27:
	s_or_b64 exec, exec, s[0:1]
	s_branch .LBB212_40
.LBB212_28:
                                        ; implicit-def: $vgpr2
	s_cbranch_execz .LBB212_40
; %bb.29:
	s_movk_i32 s0, 0x69
	v_cmp_gt_u32_e32 vcc, s0, v0
	s_and_saveexec_b64 s[0:1], vcc
	s_cbranch_execz .LBB212_31
; %bb.30:
	ds_read_b32 v2, v1 offset:1344
	ds_read_b32 v3, v1
	s_waitcnt lgkmcnt(0)
	v_add_u32_e32 v2, v3, v2
	ds_write_b32 v1, v2
.LBB212_31:
	s_or_b64 exec, exec, s[0:1]
	s_movk_i32 s0, 0xa8
	v_cmp_gt_u32_e32 vcc, s0, v0
	s_waitcnt lgkmcnt(0)
	s_barrier
	s_and_saveexec_b64 s[0:1], vcc
	s_cbranch_execz .LBB212_33
; %bb.32:
	ds_read2_b32 v[2:3], v1 offset1:168
	s_waitcnt lgkmcnt(0)
	v_add_u32_e32 v2, v2, v3
	ds_write_b32 v1, v2
.LBB212_33:
	s_or_b64 exec, exec, s[0:1]
	s_movk_i32 s0, 0x54
	v_cmp_gt_u32_e32 vcc, s0, v0
	s_waitcnt lgkmcnt(0)
	s_barrier
	s_and_saveexec_b64 s[0:1], vcc
	s_cbranch_execz .LBB212_35
; %bb.34:
	ds_read2_b32 v[2:3], v1 offset1:84
	s_waitcnt lgkmcnt(0)
	v_add_u32_e32 v2, v2, v3
	ds_write_b32 v1, v2
.LBB212_35:
	s_or_b64 exec, exec, s[0:1]
	v_cmp_gt_u32_e32 vcc, 42, v0
	s_waitcnt lgkmcnt(0)
	s_barrier
	s_and_saveexec_b64 s[0:1], vcc
	s_cbranch_execz .LBB212_37
; %bb.36:
	ds_read2_b32 v[2:3], v1 offset1:42
	s_waitcnt lgkmcnt(0)
	v_add_u32_e32 v2, v2, v3
	ds_write_b32 v1, v2
.LBB212_37:
	s_or_b64 exec, exec, s[0:1]
	v_cmp_gt_u32_e32 vcc, 21, v0
	s_waitcnt lgkmcnt(0)
	s_and_saveexec_b64 s[0:1], vcc
	s_cbranch_execz .LBB212_39
; %bb.38:
	ds_read2_b32 v[1:2], v1 offset1:21
	s_waitcnt lgkmcnt(0)
	v_add_u32_e32 v6, v2, v1
.LBB212_39:
	s_or_b64 exec, exec, s[0:1]
	v_mov_b32_e32 v2, v6
.LBB212_40:
	v_cmp_gt_u32_e32 vcc, 21, v0
	s_and_saveexec_b64 s[0:1], vcc
	s_cbranch_execz .LBB212_44
; %bb.41:
	v_mul_lo_u32 v1, v2, s15
	s_cmp_eq_u32 s22, 0
	s_cbranch_scc1 .LBB212_45
; %bb.42:
	v_mad_u64_u32 v[2:3], s[0:1], s6, 21, v[0:1]
	v_mov_b32_e32 v3, 0
	v_mov_b32_e32 v4, s13
	v_lshlrev_b64 v[2:3], 2, v[2:3]
	v_add_co_u32_e32 v2, vcc, s12, v2
	v_addc_co_u32_e32 v3, vcc, v4, v3, vcc
	global_load_dword v4, v[2:3], off
	s_waitcnt vmcnt(0)
	v_mad_u64_u32 v[4:5], s[0:1], v4, s22, v[1:2]
	global_store_dword v[2:3], v4, off
	s_cbranch_execnz .LBB212_44
.LBB212_43:
	v_mad_u64_u32 v[2:3], s[0:1], s6, 21, v[0:1]
	v_mov_b32_e32 v3, 0
	v_mov_b32_e32 v0, s13
	v_lshlrev_b64 v[2:3], 2, v[2:3]
	v_add_co_u32_e32 v2, vcc, s12, v2
	v_addc_co_u32_e32 v3, vcc, v0, v3, vcc
	global_store_dword v[2:3], v1, off
.LBB212_44:
	s_endpgm
.LBB212_45:
	s_branch .LBB212_43
	.section	.rodata,"a",@progbits
	.p2align	6, 0x0
	.amdhsa_kernel _ZN9rocsparseL20bsrxmvn_17_32_kernelILj21EiliaaiEEvT2_20rocsparse_direction_NS_24const_host_device_scalarIT0_EES1_PKS1_PKT1_SA_S7_PKT3_PKT4_S5_PT5_21rocsparse_index_base_b
		.amdhsa_group_segment_fixed_size 1764
		.amdhsa_private_segment_fixed_size 0
		.amdhsa_kernarg_size 96
		.amdhsa_user_sgpr_count 6
		.amdhsa_user_sgpr_private_segment_buffer 1
		.amdhsa_user_sgpr_dispatch_ptr 0
		.amdhsa_user_sgpr_queue_ptr 0
		.amdhsa_user_sgpr_kernarg_segment_ptr 1
		.amdhsa_user_sgpr_dispatch_id 0
		.amdhsa_user_sgpr_flat_scratch_init 0
		.amdhsa_user_sgpr_private_segment_size 0
		.amdhsa_uses_dynamic_stack 0
		.amdhsa_system_sgpr_private_segment_wavefront_offset 0
		.amdhsa_system_sgpr_workgroup_id_x 1
		.amdhsa_system_sgpr_workgroup_id_y 0
		.amdhsa_system_sgpr_workgroup_id_z 0
		.amdhsa_system_sgpr_workgroup_info 0
		.amdhsa_system_vgpr_workitem_id 0
		.amdhsa_next_free_vgpr 13
		.amdhsa_next_free_sgpr 23
		.amdhsa_reserve_vcc 1
		.amdhsa_reserve_flat_scratch 0
		.amdhsa_float_round_mode_32 0
		.amdhsa_float_round_mode_16_64 0
		.amdhsa_float_denorm_mode_32 3
		.amdhsa_float_denorm_mode_16_64 3
		.amdhsa_dx10_clamp 1
		.amdhsa_ieee_mode 1
		.amdhsa_fp16_overflow 0
		.amdhsa_exception_fp_ieee_invalid_op 0
		.amdhsa_exception_fp_denorm_src 0
		.amdhsa_exception_fp_ieee_div_zero 0
		.amdhsa_exception_fp_ieee_overflow 0
		.amdhsa_exception_fp_ieee_underflow 0
		.amdhsa_exception_fp_ieee_inexact 0
		.amdhsa_exception_int_div_zero 0
	.end_amdhsa_kernel
	.section	.text._ZN9rocsparseL20bsrxmvn_17_32_kernelILj21EiliaaiEEvT2_20rocsparse_direction_NS_24const_host_device_scalarIT0_EES1_PKS1_PKT1_SA_S7_PKT3_PKT4_S5_PT5_21rocsparse_index_base_b,"axG",@progbits,_ZN9rocsparseL20bsrxmvn_17_32_kernelILj21EiliaaiEEvT2_20rocsparse_direction_NS_24const_host_device_scalarIT0_EES1_PKS1_PKT1_SA_S7_PKT3_PKT4_S5_PT5_21rocsparse_index_base_b,comdat
.Lfunc_end212:
	.size	_ZN9rocsparseL20bsrxmvn_17_32_kernelILj21EiliaaiEEvT2_20rocsparse_direction_NS_24const_host_device_scalarIT0_EES1_PKS1_PKT1_SA_S7_PKT3_PKT4_S5_PT5_21rocsparse_index_base_b, .Lfunc_end212-_ZN9rocsparseL20bsrxmvn_17_32_kernelILj21EiliaaiEEvT2_20rocsparse_direction_NS_24const_host_device_scalarIT0_EES1_PKS1_PKT1_SA_S7_PKT3_PKT4_S5_PT5_21rocsparse_index_base_b
                                        ; -- End function
	.set _ZN9rocsparseL20bsrxmvn_17_32_kernelILj21EiliaaiEEvT2_20rocsparse_direction_NS_24const_host_device_scalarIT0_EES1_PKS1_PKT1_SA_S7_PKT3_PKT4_S5_PT5_21rocsparse_index_base_b.num_vgpr, 13
	.set _ZN9rocsparseL20bsrxmvn_17_32_kernelILj21EiliaaiEEvT2_20rocsparse_direction_NS_24const_host_device_scalarIT0_EES1_PKS1_PKT1_SA_S7_PKT3_PKT4_S5_PT5_21rocsparse_index_base_b.num_agpr, 0
	.set _ZN9rocsparseL20bsrxmvn_17_32_kernelILj21EiliaaiEEvT2_20rocsparse_direction_NS_24const_host_device_scalarIT0_EES1_PKS1_PKT1_SA_S7_PKT3_PKT4_S5_PT5_21rocsparse_index_base_b.numbered_sgpr, 23
	.set _ZN9rocsparseL20bsrxmvn_17_32_kernelILj21EiliaaiEEvT2_20rocsparse_direction_NS_24const_host_device_scalarIT0_EES1_PKS1_PKT1_SA_S7_PKT3_PKT4_S5_PT5_21rocsparse_index_base_b.num_named_barrier, 0
	.set _ZN9rocsparseL20bsrxmvn_17_32_kernelILj21EiliaaiEEvT2_20rocsparse_direction_NS_24const_host_device_scalarIT0_EES1_PKS1_PKT1_SA_S7_PKT3_PKT4_S5_PT5_21rocsparse_index_base_b.private_seg_size, 0
	.set _ZN9rocsparseL20bsrxmvn_17_32_kernelILj21EiliaaiEEvT2_20rocsparse_direction_NS_24const_host_device_scalarIT0_EES1_PKS1_PKT1_SA_S7_PKT3_PKT4_S5_PT5_21rocsparse_index_base_b.uses_vcc, 1
	.set _ZN9rocsparseL20bsrxmvn_17_32_kernelILj21EiliaaiEEvT2_20rocsparse_direction_NS_24const_host_device_scalarIT0_EES1_PKS1_PKT1_SA_S7_PKT3_PKT4_S5_PT5_21rocsparse_index_base_b.uses_flat_scratch, 0
	.set _ZN9rocsparseL20bsrxmvn_17_32_kernelILj21EiliaaiEEvT2_20rocsparse_direction_NS_24const_host_device_scalarIT0_EES1_PKS1_PKT1_SA_S7_PKT3_PKT4_S5_PT5_21rocsparse_index_base_b.has_dyn_sized_stack, 0
	.set _ZN9rocsparseL20bsrxmvn_17_32_kernelILj21EiliaaiEEvT2_20rocsparse_direction_NS_24const_host_device_scalarIT0_EES1_PKS1_PKT1_SA_S7_PKT3_PKT4_S5_PT5_21rocsparse_index_base_b.has_recursion, 0
	.set _ZN9rocsparseL20bsrxmvn_17_32_kernelILj21EiliaaiEEvT2_20rocsparse_direction_NS_24const_host_device_scalarIT0_EES1_PKS1_PKT1_SA_S7_PKT3_PKT4_S5_PT5_21rocsparse_index_base_b.has_indirect_call, 0
	.section	.AMDGPU.csdata,"",@progbits
; Kernel info:
; codeLenInByte = 1372
; TotalNumSgprs: 27
; NumVgprs: 13
; ScratchSize: 0
; MemoryBound: 0
; FloatMode: 240
; IeeeMode: 1
; LDSByteSize: 1764 bytes/workgroup (compile time only)
; SGPRBlocks: 3
; VGPRBlocks: 3
; NumSGPRsForWavesPerEU: 27
; NumVGPRsForWavesPerEU: 13
; Occupancy: 10
; WaveLimiterHint : 1
; COMPUTE_PGM_RSRC2:SCRATCH_EN: 0
; COMPUTE_PGM_RSRC2:USER_SGPR: 6
; COMPUTE_PGM_RSRC2:TRAP_HANDLER: 0
; COMPUTE_PGM_RSRC2:TGID_X_EN: 1
; COMPUTE_PGM_RSRC2:TGID_Y_EN: 0
; COMPUTE_PGM_RSRC2:TGID_Z_EN: 0
; COMPUTE_PGM_RSRC2:TIDIG_COMP_CNT: 0
	.section	.text._ZN9rocsparseL20bsrxmvn_17_32_kernelILj22EiliaaiEEvT2_20rocsparse_direction_NS_24const_host_device_scalarIT0_EES1_PKS1_PKT1_SA_S7_PKT3_PKT4_S5_PT5_21rocsparse_index_base_b,"axG",@progbits,_ZN9rocsparseL20bsrxmvn_17_32_kernelILj22EiliaaiEEvT2_20rocsparse_direction_NS_24const_host_device_scalarIT0_EES1_PKS1_PKT1_SA_S7_PKT3_PKT4_S5_PT5_21rocsparse_index_base_b,comdat
	.globl	_ZN9rocsparseL20bsrxmvn_17_32_kernelILj22EiliaaiEEvT2_20rocsparse_direction_NS_24const_host_device_scalarIT0_EES1_PKS1_PKT1_SA_S7_PKT3_PKT4_S5_PT5_21rocsparse_index_base_b ; -- Begin function _ZN9rocsparseL20bsrxmvn_17_32_kernelILj22EiliaaiEEvT2_20rocsparse_direction_NS_24const_host_device_scalarIT0_EES1_PKS1_PKT1_SA_S7_PKT3_PKT4_S5_PT5_21rocsparse_index_base_b
	.p2align	8
	.type	_ZN9rocsparseL20bsrxmvn_17_32_kernelILj22EiliaaiEEvT2_20rocsparse_direction_NS_24const_host_device_scalarIT0_EES1_PKS1_PKT1_SA_S7_PKT3_PKT4_S5_PT5_21rocsparse_index_base_b,@function
_ZN9rocsparseL20bsrxmvn_17_32_kernelILj22EiliaaiEEvT2_20rocsparse_direction_NS_24const_host_device_scalarIT0_EES1_PKS1_PKT1_SA_S7_PKT3_PKT4_S5_PT5_21rocsparse_index_base_b: ; @_ZN9rocsparseL20bsrxmvn_17_32_kernelILj22EiliaaiEEvT2_20rocsparse_direction_NS_24const_host_device_scalarIT0_EES1_PKS1_PKT1_SA_S7_PKT3_PKT4_S5_PT5_21rocsparse_index_base_b
; %bb.0:
	s_load_dwordx2 s[14:15], s[4:5], 0x58
	s_load_dwordx2 s[8:9], s[4:5], 0x8
	s_mov_b64 s[10:11], -1
	s_waitcnt lgkmcnt(0)
	s_bitcmp1_b32 s15, 0
	s_cselect_b64 s[0:1], -1, 0
	s_xor_b64 s[2:3], s[0:1], -1
	s_and_b64 vcc, exec, s[2:3]
                                        ; implicit-def: $sgpr15
	s_cbranch_vccnz .LBB213_4
; %bb.1:
	s_load_dwordx2 s[0:1], s[4:5], 0x48
	s_andn2_b64 vcc, exec, s[10:11]
	s_cbranch_vccz .LBB213_5
.LBB213_2:
	s_and_b64 vcc, exec, s[2:3]
	s_cbranch_vccz .LBB213_6
.LBB213_3:
	s_waitcnt lgkmcnt(0)
	s_load_dword s22, s[0:1], 0x0
	s_cbranch_execz .LBB213_7
	s_branch .LBB213_8
.LBB213_4:
	s_load_dword s15, s[8:9], 0x0
	s_load_dwordx2 s[0:1], s[4:5], 0x48
	s_cbranch_execnz .LBB213_2
.LBB213_5:
	s_waitcnt lgkmcnt(0)
	s_mov_b32 s15, s8
	s_and_b64 vcc, exec, s[2:3]
	s_cbranch_vccnz .LBB213_3
.LBB213_6:
                                        ; implicit-def: $sgpr22
.LBB213_7:
	s_waitcnt lgkmcnt(0)
	s_mov_b32 s22, s0
.LBB213_8:
	s_waitcnt lgkmcnt(0)
	s_cmp_lg_u32 s15, 0
	s_cselect_b64 s[0:1], -1, 0
	s_cmp_lg_u32 s22, 1
	s_cselect_b64 s[2:3], -1, 0
	s_or_b64 s[0:1], s[0:1], s[2:3]
	s_andn2_b64 vcc, exec, s[0:1]
	s_cbranch_vccnz .LBB213_44
; %bb.9:
	s_load_dwordx4 s[0:3], s[4:5], 0x18
	s_load_dwordx2 s[8:9], s[4:5], 0x28
	s_waitcnt lgkmcnt(0)
	s_cmp_eq_u64 s[0:1], 0
	s_cbranch_scc1 .LBB213_11
; %bb.10:
	s_ashr_i32 s7, s6, 31
	s_lshl_b64 s[6:7], s[6:7], 2
	s_add_u32 s0, s0, s6
	s_addc_u32 s1, s1, s7
	s_load_dword s0, s[0:1], 0x0
	s_waitcnt lgkmcnt(0)
	s_sub_i32 s6, s0, s14
.LBB213_11:
	s_load_dword s7, s[4:5], 0x4
	s_load_dwordx2 s[12:13], s[4:5], 0x50
	v_mul_u32_u24_e32 v1, 0xba3, v0
	v_mov_b32_e32 v2, 22
	v_mul_lo_u16_sdwa v3, v1, v2 dst_sel:DWORD dst_unused:UNUSED_PAD src0_sel:WORD_1 src1_sel:DWORD
	s_waitcnt lgkmcnt(0)
	s_cmp_eq_u32 s7, 1
	s_cselect_b64 s[0:1], -1, 0
	s_cmp_lg_u32 s7, 1
	s_cselect_b64 s[16:17], -1, 0
	s_ashr_i32 s7, s6, 31
	s_lshl_b64 s[10:11], s[6:7], 3
	s_add_u32 s2, s2, s10
	s_addc_u32 s3, s3, s11
	s_add_u32 s7, s2, 8
	s_addc_u32 s18, s3, 0
	;; [unrolled: 2-line block ×3, first 2 shown]
	s_cmp_eq_u64 s[8:9], 0
	s_cselect_b32 s9, s18, s11
	s_cselect_b32 s8, s7, s10
	s_load_dwordx2 s[18:19], s[8:9], 0x0
	s_load_dwordx2 s[20:21], s[2:3], 0x0
	v_sub_u16_e32 v7, v0, v3
	v_mov_b32_e32 v6, 0
	s_waitcnt lgkmcnt(0)
	v_mov_b32_e32 v3, s18
	v_mov_b32_e32 v4, s19
	v_cmp_ge_i64_e32 vcc, s[20:21], v[3:4]
	s_cbranch_vccnz .LBB213_16
; %bb.12:
	v_mov_b32_e32 v3, 12
	s_load_dwordx4 s[8:11], s[4:5], 0x30
	s_load_dwordx2 s[2:3], s[4:5], 0x40
	s_sub_u32 s4, s18, s14
	v_mul_lo_u16_sdwa v3, v1, v3 dst_sel:DWORD dst_unused:UNUSED_PAD src0_sel:WORD_1 src1_sel:DWORD
	s_subb_u32 s5, s19, 0
	v_mul_lo_u16_sdwa v2, v3, v2 dst_sel:DWORD dst_unused:UNUSED_PAD src0_sel:BYTE_1 src1_sel:DWORD
	v_sub_u16_sdwa v1, v1, v2 dst_sel:DWORD dst_unused:UNUSED_PAD src0_sel:WORD_1 src1_sel:DWORD
	s_sub_u32 s18, s20, s14
	v_and_b32_e32 v1, 0xff, v1
	s_subb_u32 s19, s21, 0
	v_cndmask_b32_e64 v1, v7, v1, s[0:1]
	s_mul_i32 s0, s19, 0x1e4
	s_mul_hi_u32 s1, s18, 0x1e4
	s_add_i32 s1, s1, s0
	s_mul_i32 s0, s18, 0x1e4
	s_waitcnt lgkmcnt(0)
	s_add_u32 s0, s10, s0
	s_addc_u32 s1, s11, s1
	v_add_co_u32_e32 v2, vcc, s0, v0
	s_movk_i32 s0, 0x10f
	v_mov_b32_e32 v3, s1
	v_mul_u32_u24_sdwa v4, v0, s0 dst_sel:DWORD dst_unused:UNUSED_PAD src0_sel:WORD_0 src1_sel:DWORD
	v_addc_co_u32_e32 v3, vcc, 0, v3, vcc
	v_lshrrev_b32_e32 v8, 17, v4
	v_mov_b32_e32 v4, s21
	v_add_co_u32_e32 v5, vcc, s20, v8
	v_addc_co_u32_e32 v9, vcc, 0, v4, vcc
	v_subrev_co_u32_e32 v4, vcc, s14, v5
	v_subbrev_co_u32_e32 v5, vcc, 0, v9, vcc
	v_lshlrev_b64 v[4:5], 2, v[4:5]
	v_mov_b32_e32 v9, s9
	v_add_co_u32_e32 v4, vcc, s8, v4
	v_mov_b32_e32 v6, 0
	v_addc_co_u32_e32 v5, vcc, v9, v5, vcc
	s_branch .LBB213_14
.LBB213_13:                             ;   in Loop: Header=BB213_14 Depth=1
	s_or_b64 exec, exec, s[0:1]
	s_add_u32 s18, s18, 1
	v_mov_b32_e32 v10, s5
	s_addc_u32 s19, s19, 0
	v_mov_b32_e32 v9, s4
	v_cmp_lt_i64_e32 vcc, s[18:19], v[9:10]
	v_add_co_u32_e64 v4, s[0:1], 4, v4
	v_addc_co_u32_e64 v5, s[0:1], 0, v5, s[0:1]
	s_cbranch_vccz .LBB213_16
.LBB213_14:                             ; =>This Inner Loop Header: Depth=1
	v_mov_b32_e32 v10, s19
	v_add_co_u32_e32 v9, vcc, s18, v8
	v_addc_co_u32_e32 v10, vcc, 0, v10, vcc
	v_cmp_gt_i64_e32 vcc, s[4:5], v[9:10]
	s_and_saveexec_b64 s[0:1], vcc
	s_cbranch_execz .LBB213_13
; %bb.15:                               ;   in Loop: Header=BB213_14 Depth=1
	global_load_dword v9, v[4:5], off
	global_load_sbyte v11, v[2:3], off
	s_waitcnt vmcnt(1)
	v_subrev_u32_e32 v9, s14, v9
	v_mad_u64_u32 v[9:10], s[8:9], v9, 22, v[1:2]
	v_mov_b32_e32 v10, s3
	v_ashrrev_i32_e32 v12, 31, v9
	v_add_co_u32_e32 v9, vcc, s2, v9
	v_addc_co_u32_e32 v10, vcc, v10, v12, vcc
	global_load_sbyte v9, v[9:10], off
	v_add_co_u32_e32 v2, vcc, 0x1e4, v2
	v_addc_co_u32_e32 v3, vcc, 0, v3, vcc
	s_waitcnt vmcnt(0)
	v_mad_i32_i24 v6, v9, v11, v6
	s_branch .LBB213_13
.LBB213_16:
	v_lshlrev_b32_e32 v1, 2, v0
	s_and_b64 vcc, exec, s[16:17]
	ds_write_b32 v1, v6
	s_waitcnt lgkmcnt(0)
	s_barrier
	s_cbranch_vccz .LBB213_28
; %bb.17:
	v_cmp_gt_u16_e32 vcc, 6, v7
	s_and_saveexec_b64 s[0:1], vcc
	s_cbranch_execz .LBB213_19
; %bb.18:
	ds_read2_b32 v[2:3], v1 offset1:16
	s_waitcnt lgkmcnt(0)
	v_add_u32_e32 v2, v2, v3
	ds_write_b32 v1, v2
.LBB213_19:
	s_or_b64 exec, exec, s[0:1]
	v_cmp_gt_u16_e32 vcc, 8, v7
	s_waitcnt lgkmcnt(0)
	s_barrier
	s_and_saveexec_b64 s[0:1], vcc
	s_cbranch_execz .LBB213_21
; %bb.20:
	ds_read2_b32 v[2:3], v1 offset1:8
	s_waitcnt lgkmcnt(0)
	v_add_u32_e32 v2, v2, v3
	ds_write_b32 v1, v2
.LBB213_21:
	s_or_b64 exec, exec, s[0:1]
	v_cmp_gt_u16_e32 vcc, 4, v7
	s_waitcnt lgkmcnt(0)
	s_barrier
	;; [unrolled: 12-line block ×3, first 2 shown]
	s_and_saveexec_b64 s[0:1], vcc
	s_cbranch_execz .LBB213_25
; %bb.24:
	ds_read2_b32 v[2:3], v1 offset1:2
	s_waitcnt lgkmcnt(0)
	v_add_u32_e32 v2, v2, v3
	ds_write_b32 v1, v2
.LBB213_25:
	s_or_b64 exec, exec, s[0:1]
	v_cmp_gt_u32_e32 vcc, 22, v0
	v_mov_b32_e32 v2, v6
	s_waitcnt lgkmcnt(0)
	s_barrier
	s_and_saveexec_b64 s[0:1], vcc
	s_cbranch_execz .LBB213_27
; %bb.26:
	s_movk_i32 s2, 0x54
	v_mad_u32_u24 v2, v0, s2, v1
	ds_read_b64 v[2:3], v2
	s_waitcnt lgkmcnt(0)
	v_add_u32_e32 v2, v3, v2
.LBB213_27:
	s_or_b64 exec, exec, s[0:1]
	s_branch .LBB213_40
.LBB213_28:
                                        ; implicit-def: $vgpr2
	s_cbranch_execz .LBB213_40
; %bb.29:
	s_movk_i32 s0, 0x84
	v_cmp_gt_u32_e32 vcc, s0, v0
	s_and_saveexec_b64 s[0:1], vcc
	s_cbranch_execz .LBB213_31
; %bb.30:
	ds_read_b32 v2, v1 offset:1408
	ds_read_b32 v3, v1
	s_waitcnt lgkmcnt(0)
	v_add_u32_e32 v2, v3, v2
	ds_write_b32 v1, v2
.LBB213_31:
	s_or_b64 exec, exec, s[0:1]
	s_movk_i32 s0, 0xb0
	v_cmp_gt_u32_e32 vcc, s0, v0
	s_waitcnt lgkmcnt(0)
	s_barrier
	s_and_saveexec_b64 s[0:1], vcc
	s_cbranch_execz .LBB213_33
; %bb.32:
	ds_read2_b32 v[2:3], v1 offset1:176
	s_waitcnt lgkmcnt(0)
	v_add_u32_e32 v2, v2, v3
	ds_write_b32 v1, v2
.LBB213_33:
	s_or_b64 exec, exec, s[0:1]
	s_movk_i32 s0, 0x58
	v_cmp_gt_u32_e32 vcc, s0, v0
	s_waitcnt lgkmcnt(0)
	s_barrier
	s_and_saveexec_b64 s[0:1], vcc
	s_cbranch_execz .LBB213_35
; %bb.34:
	ds_read2_b32 v[2:3], v1 offset1:88
	s_waitcnt lgkmcnt(0)
	v_add_u32_e32 v2, v2, v3
	ds_write_b32 v1, v2
.LBB213_35:
	s_or_b64 exec, exec, s[0:1]
	v_cmp_gt_u32_e32 vcc, 44, v0
	s_waitcnt lgkmcnt(0)
	s_barrier
	s_and_saveexec_b64 s[0:1], vcc
	s_cbranch_execz .LBB213_37
; %bb.36:
	ds_read2_b32 v[2:3], v1 offset1:44
	s_waitcnt lgkmcnt(0)
	v_add_u32_e32 v2, v2, v3
	ds_write_b32 v1, v2
.LBB213_37:
	s_or_b64 exec, exec, s[0:1]
	v_cmp_gt_u32_e32 vcc, 22, v0
	s_waitcnt lgkmcnt(0)
	s_and_saveexec_b64 s[0:1], vcc
	s_cbranch_execz .LBB213_39
; %bb.38:
	ds_read2_b32 v[1:2], v1 offset1:22
	s_waitcnt lgkmcnt(0)
	v_add_u32_e32 v6, v2, v1
.LBB213_39:
	s_or_b64 exec, exec, s[0:1]
	v_mov_b32_e32 v2, v6
.LBB213_40:
	v_cmp_gt_u32_e32 vcc, 22, v0
	s_and_saveexec_b64 s[0:1], vcc
	s_cbranch_execz .LBB213_44
; %bb.41:
	v_mul_lo_u32 v1, v2, s15
	s_cmp_eq_u32 s22, 0
	s_cbranch_scc1 .LBB213_45
; %bb.42:
	v_mad_u64_u32 v[2:3], s[0:1], s6, 22, v[0:1]
	v_mov_b32_e32 v3, 0
	v_mov_b32_e32 v4, s13
	v_lshlrev_b64 v[2:3], 2, v[2:3]
	v_add_co_u32_e32 v2, vcc, s12, v2
	v_addc_co_u32_e32 v3, vcc, v4, v3, vcc
	global_load_dword v4, v[2:3], off
	s_waitcnt vmcnt(0)
	v_mad_u64_u32 v[4:5], s[0:1], v4, s22, v[1:2]
	global_store_dword v[2:3], v4, off
	s_cbranch_execnz .LBB213_44
.LBB213_43:
	v_mad_u64_u32 v[2:3], s[0:1], s6, 22, v[0:1]
	v_mov_b32_e32 v3, 0
	v_mov_b32_e32 v0, s13
	v_lshlrev_b64 v[2:3], 2, v[2:3]
	v_add_co_u32_e32 v2, vcc, s12, v2
	v_addc_co_u32_e32 v3, vcc, v0, v3, vcc
	global_store_dword v[2:3], v1, off
.LBB213_44:
	s_endpgm
.LBB213_45:
	s_branch .LBB213_43
	.section	.rodata,"a",@progbits
	.p2align	6, 0x0
	.amdhsa_kernel _ZN9rocsparseL20bsrxmvn_17_32_kernelILj22EiliaaiEEvT2_20rocsparse_direction_NS_24const_host_device_scalarIT0_EES1_PKS1_PKT1_SA_S7_PKT3_PKT4_S5_PT5_21rocsparse_index_base_b
		.amdhsa_group_segment_fixed_size 1936
		.amdhsa_private_segment_fixed_size 0
		.amdhsa_kernarg_size 96
		.amdhsa_user_sgpr_count 6
		.amdhsa_user_sgpr_private_segment_buffer 1
		.amdhsa_user_sgpr_dispatch_ptr 0
		.amdhsa_user_sgpr_queue_ptr 0
		.amdhsa_user_sgpr_kernarg_segment_ptr 1
		.amdhsa_user_sgpr_dispatch_id 0
		.amdhsa_user_sgpr_flat_scratch_init 0
		.amdhsa_user_sgpr_private_segment_size 0
		.amdhsa_uses_dynamic_stack 0
		.amdhsa_system_sgpr_private_segment_wavefront_offset 0
		.amdhsa_system_sgpr_workgroup_id_x 1
		.amdhsa_system_sgpr_workgroup_id_y 0
		.amdhsa_system_sgpr_workgroup_id_z 0
		.amdhsa_system_sgpr_workgroup_info 0
		.amdhsa_system_vgpr_workitem_id 0
		.amdhsa_next_free_vgpr 13
		.amdhsa_next_free_sgpr 23
		.amdhsa_reserve_vcc 1
		.amdhsa_reserve_flat_scratch 0
		.amdhsa_float_round_mode_32 0
		.amdhsa_float_round_mode_16_64 0
		.amdhsa_float_denorm_mode_32 3
		.amdhsa_float_denorm_mode_16_64 3
		.amdhsa_dx10_clamp 1
		.amdhsa_ieee_mode 1
		.amdhsa_fp16_overflow 0
		.amdhsa_exception_fp_ieee_invalid_op 0
		.amdhsa_exception_fp_denorm_src 0
		.amdhsa_exception_fp_ieee_div_zero 0
		.amdhsa_exception_fp_ieee_overflow 0
		.amdhsa_exception_fp_ieee_underflow 0
		.amdhsa_exception_fp_ieee_inexact 0
		.amdhsa_exception_int_div_zero 0
	.end_amdhsa_kernel
	.section	.text._ZN9rocsparseL20bsrxmvn_17_32_kernelILj22EiliaaiEEvT2_20rocsparse_direction_NS_24const_host_device_scalarIT0_EES1_PKS1_PKT1_SA_S7_PKT3_PKT4_S5_PT5_21rocsparse_index_base_b,"axG",@progbits,_ZN9rocsparseL20bsrxmvn_17_32_kernelILj22EiliaaiEEvT2_20rocsparse_direction_NS_24const_host_device_scalarIT0_EES1_PKS1_PKT1_SA_S7_PKT3_PKT4_S5_PT5_21rocsparse_index_base_b,comdat
.Lfunc_end213:
	.size	_ZN9rocsparseL20bsrxmvn_17_32_kernelILj22EiliaaiEEvT2_20rocsparse_direction_NS_24const_host_device_scalarIT0_EES1_PKS1_PKT1_SA_S7_PKT3_PKT4_S5_PT5_21rocsparse_index_base_b, .Lfunc_end213-_ZN9rocsparseL20bsrxmvn_17_32_kernelILj22EiliaaiEEvT2_20rocsparse_direction_NS_24const_host_device_scalarIT0_EES1_PKS1_PKT1_SA_S7_PKT3_PKT4_S5_PT5_21rocsparse_index_base_b
                                        ; -- End function
	.set _ZN9rocsparseL20bsrxmvn_17_32_kernelILj22EiliaaiEEvT2_20rocsparse_direction_NS_24const_host_device_scalarIT0_EES1_PKS1_PKT1_SA_S7_PKT3_PKT4_S5_PT5_21rocsparse_index_base_b.num_vgpr, 13
	.set _ZN9rocsparseL20bsrxmvn_17_32_kernelILj22EiliaaiEEvT2_20rocsparse_direction_NS_24const_host_device_scalarIT0_EES1_PKS1_PKT1_SA_S7_PKT3_PKT4_S5_PT5_21rocsparse_index_base_b.num_agpr, 0
	.set _ZN9rocsparseL20bsrxmvn_17_32_kernelILj22EiliaaiEEvT2_20rocsparse_direction_NS_24const_host_device_scalarIT0_EES1_PKS1_PKT1_SA_S7_PKT3_PKT4_S5_PT5_21rocsparse_index_base_b.numbered_sgpr, 23
	.set _ZN9rocsparseL20bsrxmvn_17_32_kernelILj22EiliaaiEEvT2_20rocsparse_direction_NS_24const_host_device_scalarIT0_EES1_PKS1_PKT1_SA_S7_PKT3_PKT4_S5_PT5_21rocsparse_index_base_b.num_named_barrier, 0
	.set _ZN9rocsparseL20bsrxmvn_17_32_kernelILj22EiliaaiEEvT2_20rocsparse_direction_NS_24const_host_device_scalarIT0_EES1_PKS1_PKT1_SA_S7_PKT3_PKT4_S5_PT5_21rocsparse_index_base_b.private_seg_size, 0
	.set _ZN9rocsparseL20bsrxmvn_17_32_kernelILj22EiliaaiEEvT2_20rocsparse_direction_NS_24const_host_device_scalarIT0_EES1_PKS1_PKT1_SA_S7_PKT3_PKT4_S5_PT5_21rocsparse_index_base_b.uses_vcc, 1
	.set _ZN9rocsparseL20bsrxmvn_17_32_kernelILj22EiliaaiEEvT2_20rocsparse_direction_NS_24const_host_device_scalarIT0_EES1_PKS1_PKT1_SA_S7_PKT3_PKT4_S5_PT5_21rocsparse_index_base_b.uses_flat_scratch, 0
	.set _ZN9rocsparseL20bsrxmvn_17_32_kernelILj22EiliaaiEEvT2_20rocsparse_direction_NS_24const_host_device_scalarIT0_EES1_PKS1_PKT1_SA_S7_PKT3_PKT4_S5_PT5_21rocsparse_index_base_b.has_dyn_sized_stack, 0
	.set _ZN9rocsparseL20bsrxmvn_17_32_kernelILj22EiliaaiEEvT2_20rocsparse_direction_NS_24const_host_device_scalarIT0_EES1_PKS1_PKT1_SA_S7_PKT3_PKT4_S5_PT5_21rocsparse_index_base_b.has_recursion, 0
	.set _ZN9rocsparseL20bsrxmvn_17_32_kernelILj22EiliaaiEEvT2_20rocsparse_direction_NS_24const_host_device_scalarIT0_EES1_PKS1_PKT1_SA_S7_PKT3_PKT4_S5_PT5_21rocsparse_index_base_b.has_indirect_call, 0
	.section	.AMDGPU.csdata,"",@progbits
; Kernel info:
; codeLenInByte = 1372
; TotalNumSgprs: 27
; NumVgprs: 13
; ScratchSize: 0
; MemoryBound: 0
; FloatMode: 240
; IeeeMode: 1
; LDSByteSize: 1936 bytes/workgroup (compile time only)
; SGPRBlocks: 3
; VGPRBlocks: 3
; NumSGPRsForWavesPerEU: 27
; NumVGPRsForWavesPerEU: 13
; Occupancy: 10
; WaveLimiterHint : 1
; COMPUTE_PGM_RSRC2:SCRATCH_EN: 0
; COMPUTE_PGM_RSRC2:USER_SGPR: 6
; COMPUTE_PGM_RSRC2:TRAP_HANDLER: 0
; COMPUTE_PGM_RSRC2:TGID_X_EN: 1
; COMPUTE_PGM_RSRC2:TGID_Y_EN: 0
; COMPUTE_PGM_RSRC2:TGID_Z_EN: 0
; COMPUTE_PGM_RSRC2:TIDIG_COMP_CNT: 0
	.section	.text._ZN9rocsparseL20bsrxmvn_17_32_kernelILj23EiliaaiEEvT2_20rocsparse_direction_NS_24const_host_device_scalarIT0_EES1_PKS1_PKT1_SA_S7_PKT3_PKT4_S5_PT5_21rocsparse_index_base_b,"axG",@progbits,_ZN9rocsparseL20bsrxmvn_17_32_kernelILj23EiliaaiEEvT2_20rocsparse_direction_NS_24const_host_device_scalarIT0_EES1_PKS1_PKT1_SA_S7_PKT3_PKT4_S5_PT5_21rocsparse_index_base_b,comdat
	.globl	_ZN9rocsparseL20bsrxmvn_17_32_kernelILj23EiliaaiEEvT2_20rocsparse_direction_NS_24const_host_device_scalarIT0_EES1_PKS1_PKT1_SA_S7_PKT3_PKT4_S5_PT5_21rocsparse_index_base_b ; -- Begin function _ZN9rocsparseL20bsrxmvn_17_32_kernelILj23EiliaaiEEvT2_20rocsparse_direction_NS_24const_host_device_scalarIT0_EES1_PKS1_PKT1_SA_S7_PKT3_PKT4_S5_PT5_21rocsparse_index_base_b
	.p2align	8
	.type	_ZN9rocsparseL20bsrxmvn_17_32_kernelILj23EiliaaiEEvT2_20rocsparse_direction_NS_24const_host_device_scalarIT0_EES1_PKS1_PKT1_SA_S7_PKT3_PKT4_S5_PT5_21rocsparse_index_base_b,@function
_ZN9rocsparseL20bsrxmvn_17_32_kernelILj23EiliaaiEEvT2_20rocsparse_direction_NS_24const_host_device_scalarIT0_EES1_PKS1_PKT1_SA_S7_PKT3_PKT4_S5_PT5_21rocsparse_index_base_b: ; @_ZN9rocsparseL20bsrxmvn_17_32_kernelILj23EiliaaiEEvT2_20rocsparse_direction_NS_24const_host_device_scalarIT0_EES1_PKS1_PKT1_SA_S7_PKT3_PKT4_S5_PT5_21rocsparse_index_base_b
; %bb.0:
	s_load_dwordx2 s[14:15], s[4:5], 0x58
	s_load_dwordx2 s[8:9], s[4:5], 0x8
	s_mov_b64 s[10:11], -1
	s_waitcnt lgkmcnt(0)
	s_bitcmp1_b32 s15, 0
	s_cselect_b64 s[0:1], -1, 0
	s_xor_b64 s[2:3], s[0:1], -1
	s_and_b64 vcc, exec, s[2:3]
                                        ; implicit-def: $sgpr15
	s_cbranch_vccnz .LBB214_4
; %bb.1:
	s_load_dwordx2 s[0:1], s[4:5], 0x48
	s_andn2_b64 vcc, exec, s[10:11]
	s_cbranch_vccz .LBB214_5
.LBB214_2:
	s_and_b64 vcc, exec, s[2:3]
	s_cbranch_vccz .LBB214_6
.LBB214_3:
	s_waitcnt lgkmcnt(0)
	s_load_dword s22, s[0:1], 0x0
	s_cbranch_execz .LBB214_7
	s_branch .LBB214_8
.LBB214_4:
	s_load_dword s15, s[8:9], 0x0
	s_load_dwordx2 s[0:1], s[4:5], 0x48
	s_cbranch_execnz .LBB214_2
.LBB214_5:
	s_waitcnt lgkmcnt(0)
	s_mov_b32 s15, s8
	s_and_b64 vcc, exec, s[2:3]
	s_cbranch_vccnz .LBB214_3
.LBB214_6:
                                        ; implicit-def: $sgpr22
.LBB214_7:
	s_waitcnt lgkmcnt(0)
	s_mov_b32 s22, s0
.LBB214_8:
	s_waitcnt lgkmcnt(0)
	s_cmp_lg_u32 s15, 0
	s_cselect_b64 s[0:1], -1, 0
	s_cmp_lg_u32 s22, 1
	s_cselect_b64 s[2:3], -1, 0
	s_or_b64 s[0:1], s[0:1], s[2:3]
	s_andn2_b64 vcc, exec, s[0:1]
	s_cbranch_vccnz .LBB214_44
; %bb.9:
	s_load_dwordx4 s[0:3], s[4:5], 0x18
	s_load_dwordx2 s[8:9], s[4:5], 0x28
	s_waitcnt lgkmcnt(0)
	s_cmp_eq_u64 s[0:1], 0
	s_cbranch_scc1 .LBB214_11
; %bb.10:
	s_ashr_i32 s7, s6, 31
	s_lshl_b64 s[6:7], s[6:7], 2
	s_add_u32 s0, s0, s6
	s_addc_u32 s1, s1, s7
	s_load_dword s0, s[0:1], 0x0
	s_waitcnt lgkmcnt(0)
	s_sub_i32 s6, s0, s14
.LBB214_11:
	s_load_dword s7, s[4:5], 0x4
	s_load_dwordx2 s[12:13], s[4:5], 0x50
	v_mul_u32_u24_e32 v1, 0xb22, v0
	v_mov_b32_e32 v2, 23
	v_mul_lo_u16_sdwa v2, v1, v2 dst_sel:DWORD dst_unused:UNUSED_PAD src0_sel:WORD_1 src1_sel:DWORD
	s_waitcnt lgkmcnt(0)
	s_cmp_eq_u32 s7, 1
	s_cselect_b64 s[0:1], -1, 0
	s_cmp_lg_u32 s7, 1
	s_cselect_b64 s[16:17], -1, 0
	s_ashr_i32 s7, s6, 31
	s_lshl_b64 s[10:11], s[6:7], 3
	s_add_u32 s2, s2, s10
	s_addc_u32 s3, s3, s11
	s_add_u32 s7, s2, 8
	s_addc_u32 s18, s3, 0
	s_add_u32 s10, s8, s10
	s_addc_u32 s11, s9, s11
	s_cmp_eq_u64 s[8:9], 0
	s_cselect_b32 s9, s18, s11
	s_cselect_b32 s8, s7, s10
	s_load_dwordx2 s[18:19], s[8:9], 0x0
	s_load_dwordx2 s[20:21], s[2:3], 0x0
	v_sub_u16_e32 v9, v0, v2
	v_mov_b32_e32 v8, 0
	s_waitcnt lgkmcnt(0)
	v_mov_b32_e32 v2, s18
	v_mov_b32_e32 v3, s19
	v_cmp_ge_i64_e32 vcc, s[20:21], v[2:3]
	s_cbranch_vccnz .LBB214_16
; %bb.12:
	s_load_dwordx4 s[8:11], s[4:5], 0x30
	s_load_dwordx2 s[2:3], s[4:5], 0x40
	s_sub_u32 s4, s18, s14
	s_mov_b32 s7, 0xffff
	s_subb_u32 s5, s19, 0
	s_movk_i32 s18, 0x211
	v_and_b32_sdwa v1, s7, v1 dst_sel:DWORD dst_unused:UNUSED_PAD src0_sel:DWORD src1_sel:WORD_1
	v_subrev_u32_e32 v2, 23, v1
	v_cmp_gt_u32_e32 vcc, s18, v0
	s_sub_u32 s18, s20, s14
	v_cndmask_b32_e32 v1, v2, v1, vcc
	s_subb_u32 s19, s21, 0
	v_cndmask_b32_e64 v1, v9, v1, s[0:1]
	s_mul_i32 s0, s19, 0x211
	s_mul_hi_u32 s1, s18, 0x211
	s_add_i32 s1, s1, s0
	s_mul_i32 s0, s18, 0x211
	s_waitcnt lgkmcnt(0)
	s_add_u32 s0, s10, s0
	s_addc_u32 s1, s11, s1
	v_mov_b32_e32 v3, s1
	v_add_co_u32_e32 v2, vcc, s0, v0
	v_addc_co_u32_e32 v3, vcc, 0, v3, vcc
	s_movk_i32 s0, 0x210
	v_cmp_lt_u32_e32 vcc, s0, v0
	v_cndmask_b32_e64 v10, 0, 1, vcc
	v_mov_b32_e32 v4, s21
	v_add_co_u32_e32 v5, vcc, s20, v10
	v_addc_co_u32_e32 v6, vcc, 0, v4, vcc
	v_subrev_co_u32_e32 v4, vcc, s14, v5
	v_subbrev_co_u32_e32 v5, vcc, 0, v6, vcc
	v_lshlrev_b64 v[4:5], 2, v[4:5]
	v_mov_b32_e32 v6, s9
	v_add_co_u32_e32 v4, vcc, s8, v4
	v_addc_co_u32_e32 v5, vcc, v6, v5, vcc
	v_mov_b32_e32 v7, s5
	v_mov_b32_e32 v8, 0
	v_mov_b32_e32 v6, s4
	s_branch .LBB214_14
.LBB214_13:                             ;   in Loop: Header=BB214_14 Depth=1
	s_or_b64 exec, exec, s[0:1]
	s_add_u32 s18, s18, 1
	s_addc_u32 s19, s19, 0
	v_cmp_lt_i64_e32 vcc, s[18:19], v[6:7]
	v_add_co_u32_e64 v4, s[0:1], 4, v4
	v_addc_co_u32_e64 v5, s[0:1], 0, v5, s[0:1]
	s_cbranch_vccz .LBB214_16
.LBB214_14:                             ; =>This Inner Loop Header: Depth=1
	v_mov_b32_e32 v12, s19
	v_add_co_u32_e32 v11, vcc, s18, v10
	v_addc_co_u32_e32 v12, vcc, 0, v12, vcc
	v_cmp_gt_i64_e32 vcc, s[4:5], v[11:12]
	s_and_saveexec_b64 s[0:1], vcc
	s_cbranch_execz .LBB214_13
; %bb.15:                               ;   in Loop: Header=BB214_14 Depth=1
	global_load_dword v11, v[4:5], off
	global_load_sbyte v13, v[2:3], off
	s_waitcnt vmcnt(1)
	v_subrev_u32_e32 v11, s14, v11
	v_mad_u64_u32 v[11:12], s[8:9], v11, 23, v[1:2]
	v_mov_b32_e32 v12, s3
	v_ashrrev_i32_e32 v14, 31, v11
	v_add_co_u32_e32 v11, vcc, s2, v11
	v_addc_co_u32_e32 v12, vcc, v12, v14, vcc
	global_load_sbyte v11, v[11:12], off
	v_add_co_u32_e32 v2, vcc, 0x211, v2
	v_addc_co_u32_e32 v3, vcc, 0, v3, vcc
	s_waitcnt vmcnt(0)
	v_mad_i32_i24 v8, v11, v13, v8
	s_branch .LBB214_13
.LBB214_16:
	v_lshlrev_b32_e32 v1, 2, v0
	s_and_b64 vcc, exec, s[16:17]
	ds_write_b32 v1, v8
	s_waitcnt lgkmcnt(0)
	s_barrier
	s_cbranch_vccz .LBB214_28
; %bb.17:
	v_cmp_gt_u16_e32 vcc, 7, v9
	s_and_saveexec_b64 s[0:1], vcc
	s_cbranch_execz .LBB214_19
; %bb.18:
	ds_read2_b32 v[2:3], v1 offset1:16
	s_waitcnt lgkmcnt(0)
	v_add_u32_e32 v2, v2, v3
	ds_write_b32 v1, v2
.LBB214_19:
	s_or_b64 exec, exec, s[0:1]
	v_cmp_gt_u16_e32 vcc, 8, v9
	s_waitcnt lgkmcnt(0)
	s_barrier
	s_and_saveexec_b64 s[0:1], vcc
	s_cbranch_execz .LBB214_21
; %bb.20:
	ds_read2_b32 v[2:3], v1 offset1:8
	s_waitcnt lgkmcnt(0)
	v_add_u32_e32 v2, v2, v3
	ds_write_b32 v1, v2
.LBB214_21:
	s_or_b64 exec, exec, s[0:1]
	v_cmp_gt_u16_e32 vcc, 4, v9
	s_waitcnt lgkmcnt(0)
	s_barrier
	;; [unrolled: 12-line block ×3, first 2 shown]
	s_and_saveexec_b64 s[0:1], vcc
	s_cbranch_execz .LBB214_25
; %bb.24:
	ds_read2_b32 v[2:3], v1 offset1:2
	s_waitcnt lgkmcnt(0)
	v_add_u32_e32 v2, v2, v3
	ds_write_b32 v1, v2
.LBB214_25:
	s_or_b64 exec, exec, s[0:1]
	v_cmp_gt_u32_e32 vcc, 23, v0
	v_mov_b32_e32 v2, v8
	s_waitcnt lgkmcnt(0)
	s_barrier
	s_and_saveexec_b64 s[0:1], vcc
	s_cbranch_execz .LBB214_27
; %bb.26:
	s_movk_i32 s2, 0x58
	v_mad_u32_u24 v2, v0, s2, v1
	ds_read2_b32 v[2:3], v2 offset1:1
	s_waitcnt lgkmcnt(0)
	v_add_u32_e32 v2, v3, v2
.LBB214_27:
	s_or_b64 exec, exec, s[0:1]
	s_branch .LBB214_40
.LBB214_28:
                                        ; implicit-def: $vgpr2
	s_cbranch_execz .LBB214_40
; %bb.29:
	s_movk_i32 s0, 0xa1
	v_cmp_gt_u32_e32 vcc, s0, v0
	s_and_saveexec_b64 s[0:1], vcc
	s_cbranch_execz .LBB214_31
; %bb.30:
	ds_read_b32 v2, v1 offset:1472
	ds_read_b32 v3, v1
	s_waitcnt lgkmcnt(0)
	v_add_u32_e32 v2, v3, v2
	ds_write_b32 v1, v2
.LBB214_31:
	s_or_b64 exec, exec, s[0:1]
	s_movk_i32 s0, 0xb8
	v_cmp_gt_u32_e32 vcc, s0, v0
	s_waitcnt lgkmcnt(0)
	s_barrier
	s_and_saveexec_b64 s[0:1], vcc
	s_cbranch_execz .LBB214_33
; %bb.32:
	ds_read2_b32 v[2:3], v1 offset1:184
	s_waitcnt lgkmcnt(0)
	v_add_u32_e32 v2, v2, v3
	ds_write_b32 v1, v2
.LBB214_33:
	s_or_b64 exec, exec, s[0:1]
	s_movk_i32 s0, 0x5c
	v_cmp_gt_u32_e32 vcc, s0, v0
	s_waitcnt lgkmcnt(0)
	s_barrier
	s_and_saveexec_b64 s[0:1], vcc
	s_cbranch_execz .LBB214_35
; %bb.34:
	ds_read2_b32 v[2:3], v1 offset1:92
	s_waitcnt lgkmcnt(0)
	v_add_u32_e32 v2, v2, v3
	ds_write_b32 v1, v2
.LBB214_35:
	s_or_b64 exec, exec, s[0:1]
	v_cmp_gt_u32_e32 vcc, 46, v0
	s_waitcnt lgkmcnt(0)
	s_barrier
	s_and_saveexec_b64 s[0:1], vcc
	s_cbranch_execz .LBB214_37
; %bb.36:
	ds_read2_b32 v[2:3], v1 offset1:46
	s_waitcnt lgkmcnt(0)
	v_add_u32_e32 v2, v2, v3
	ds_write_b32 v1, v2
.LBB214_37:
	s_or_b64 exec, exec, s[0:1]
	v_cmp_gt_u32_e32 vcc, 23, v0
	s_waitcnt lgkmcnt(0)
	s_and_saveexec_b64 s[0:1], vcc
	s_cbranch_execz .LBB214_39
; %bb.38:
	ds_read2_b32 v[1:2], v1 offset1:23
	s_waitcnt lgkmcnt(0)
	v_add_u32_e32 v8, v2, v1
.LBB214_39:
	s_or_b64 exec, exec, s[0:1]
	v_mov_b32_e32 v2, v8
.LBB214_40:
	v_cmp_gt_u32_e32 vcc, 23, v0
	s_and_saveexec_b64 s[0:1], vcc
	s_cbranch_execz .LBB214_44
; %bb.41:
	v_mul_lo_u32 v1, v2, s15
	s_cmp_eq_u32 s22, 0
	s_cbranch_scc1 .LBB214_45
; %bb.42:
	v_mad_u64_u32 v[2:3], s[0:1], s6, 23, v[0:1]
	v_mov_b32_e32 v3, 0
	v_mov_b32_e32 v4, s13
	v_lshlrev_b64 v[2:3], 2, v[2:3]
	v_add_co_u32_e32 v2, vcc, s12, v2
	v_addc_co_u32_e32 v3, vcc, v4, v3, vcc
	global_load_dword v4, v[2:3], off
	s_waitcnt vmcnt(0)
	v_mad_u64_u32 v[4:5], s[0:1], v4, s22, v[1:2]
	global_store_dword v[2:3], v4, off
	s_cbranch_execnz .LBB214_44
.LBB214_43:
	v_mad_u64_u32 v[2:3], s[0:1], s6, 23, v[0:1]
	v_mov_b32_e32 v3, 0
	v_mov_b32_e32 v0, s13
	v_lshlrev_b64 v[2:3], 2, v[2:3]
	v_add_co_u32_e32 v2, vcc, s12, v2
	v_addc_co_u32_e32 v3, vcc, v0, v3, vcc
	global_store_dword v[2:3], v1, off
.LBB214_44:
	s_endpgm
.LBB214_45:
	s_branch .LBB214_43
	.section	.rodata,"a",@progbits
	.p2align	6, 0x0
	.amdhsa_kernel _ZN9rocsparseL20bsrxmvn_17_32_kernelILj23EiliaaiEEvT2_20rocsparse_direction_NS_24const_host_device_scalarIT0_EES1_PKS1_PKT1_SA_S7_PKT3_PKT4_S5_PT5_21rocsparse_index_base_b
		.amdhsa_group_segment_fixed_size 2116
		.amdhsa_private_segment_fixed_size 0
		.amdhsa_kernarg_size 96
		.amdhsa_user_sgpr_count 6
		.amdhsa_user_sgpr_private_segment_buffer 1
		.amdhsa_user_sgpr_dispatch_ptr 0
		.amdhsa_user_sgpr_queue_ptr 0
		.amdhsa_user_sgpr_kernarg_segment_ptr 1
		.amdhsa_user_sgpr_dispatch_id 0
		.amdhsa_user_sgpr_flat_scratch_init 0
		.amdhsa_user_sgpr_private_segment_size 0
		.amdhsa_uses_dynamic_stack 0
		.amdhsa_system_sgpr_private_segment_wavefront_offset 0
		.amdhsa_system_sgpr_workgroup_id_x 1
		.amdhsa_system_sgpr_workgroup_id_y 0
		.amdhsa_system_sgpr_workgroup_id_z 0
		.amdhsa_system_sgpr_workgroup_info 0
		.amdhsa_system_vgpr_workitem_id 0
		.amdhsa_next_free_vgpr 25
		.amdhsa_next_free_sgpr 61
		.amdhsa_reserve_vcc 1
		.amdhsa_reserve_flat_scratch 0
		.amdhsa_float_round_mode_32 0
		.amdhsa_float_round_mode_16_64 0
		.amdhsa_float_denorm_mode_32 3
		.amdhsa_float_denorm_mode_16_64 3
		.amdhsa_dx10_clamp 1
		.amdhsa_ieee_mode 1
		.amdhsa_fp16_overflow 0
		.amdhsa_exception_fp_ieee_invalid_op 0
		.amdhsa_exception_fp_denorm_src 0
		.amdhsa_exception_fp_ieee_div_zero 0
		.amdhsa_exception_fp_ieee_overflow 0
		.amdhsa_exception_fp_ieee_underflow 0
		.amdhsa_exception_fp_ieee_inexact 0
		.amdhsa_exception_int_div_zero 0
	.end_amdhsa_kernel
	.section	.text._ZN9rocsparseL20bsrxmvn_17_32_kernelILj23EiliaaiEEvT2_20rocsparse_direction_NS_24const_host_device_scalarIT0_EES1_PKS1_PKT1_SA_S7_PKT3_PKT4_S5_PT5_21rocsparse_index_base_b,"axG",@progbits,_ZN9rocsparseL20bsrxmvn_17_32_kernelILj23EiliaaiEEvT2_20rocsparse_direction_NS_24const_host_device_scalarIT0_EES1_PKS1_PKT1_SA_S7_PKT3_PKT4_S5_PT5_21rocsparse_index_base_b,comdat
.Lfunc_end214:
	.size	_ZN9rocsparseL20bsrxmvn_17_32_kernelILj23EiliaaiEEvT2_20rocsparse_direction_NS_24const_host_device_scalarIT0_EES1_PKS1_PKT1_SA_S7_PKT3_PKT4_S5_PT5_21rocsparse_index_base_b, .Lfunc_end214-_ZN9rocsparseL20bsrxmvn_17_32_kernelILj23EiliaaiEEvT2_20rocsparse_direction_NS_24const_host_device_scalarIT0_EES1_PKS1_PKT1_SA_S7_PKT3_PKT4_S5_PT5_21rocsparse_index_base_b
                                        ; -- End function
	.set _ZN9rocsparseL20bsrxmvn_17_32_kernelILj23EiliaaiEEvT2_20rocsparse_direction_NS_24const_host_device_scalarIT0_EES1_PKS1_PKT1_SA_S7_PKT3_PKT4_S5_PT5_21rocsparse_index_base_b.num_vgpr, 15
	.set _ZN9rocsparseL20bsrxmvn_17_32_kernelILj23EiliaaiEEvT2_20rocsparse_direction_NS_24const_host_device_scalarIT0_EES1_PKS1_PKT1_SA_S7_PKT3_PKT4_S5_PT5_21rocsparse_index_base_b.num_agpr, 0
	.set _ZN9rocsparseL20bsrxmvn_17_32_kernelILj23EiliaaiEEvT2_20rocsparse_direction_NS_24const_host_device_scalarIT0_EES1_PKS1_PKT1_SA_S7_PKT3_PKT4_S5_PT5_21rocsparse_index_base_b.numbered_sgpr, 23
	.set _ZN9rocsparseL20bsrxmvn_17_32_kernelILj23EiliaaiEEvT2_20rocsparse_direction_NS_24const_host_device_scalarIT0_EES1_PKS1_PKT1_SA_S7_PKT3_PKT4_S5_PT5_21rocsparse_index_base_b.num_named_barrier, 0
	.set _ZN9rocsparseL20bsrxmvn_17_32_kernelILj23EiliaaiEEvT2_20rocsparse_direction_NS_24const_host_device_scalarIT0_EES1_PKS1_PKT1_SA_S7_PKT3_PKT4_S5_PT5_21rocsparse_index_base_b.private_seg_size, 0
	.set _ZN9rocsparseL20bsrxmvn_17_32_kernelILj23EiliaaiEEvT2_20rocsparse_direction_NS_24const_host_device_scalarIT0_EES1_PKS1_PKT1_SA_S7_PKT3_PKT4_S5_PT5_21rocsparse_index_base_b.uses_vcc, 1
	.set _ZN9rocsparseL20bsrxmvn_17_32_kernelILj23EiliaaiEEvT2_20rocsparse_direction_NS_24const_host_device_scalarIT0_EES1_PKS1_PKT1_SA_S7_PKT3_PKT4_S5_PT5_21rocsparse_index_base_b.uses_flat_scratch, 0
	.set _ZN9rocsparseL20bsrxmvn_17_32_kernelILj23EiliaaiEEvT2_20rocsparse_direction_NS_24const_host_device_scalarIT0_EES1_PKS1_PKT1_SA_S7_PKT3_PKT4_S5_PT5_21rocsparse_index_base_b.has_dyn_sized_stack, 0
	.set _ZN9rocsparseL20bsrxmvn_17_32_kernelILj23EiliaaiEEvT2_20rocsparse_direction_NS_24const_host_device_scalarIT0_EES1_PKS1_PKT1_SA_S7_PKT3_PKT4_S5_PT5_21rocsparse_index_base_b.has_recursion, 0
	.set _ZN9rocsparseL20bsrxmvn_17_32_kernelILj23EiliaaiEEvT2_20rocsparse_direction_NS_24const_host_device_scalarIT0_EES1_PKS1_PKT1_SA_S7_PKT3_PKT4_S5_PT5_21rocsparse_index_base_b.has_indirect_call, 0
	.section	.AMDGPU.csdata,"",@progbits
; Kernel info:
; codeLenInByte = 1368
; TotalNumSgprs: 27
; NumVgprs: 15
; ScratchSize: 0
; MemoryBound: 0
; FloatMode: 240
; IeeeMode: 1
; LDSByteSize: 2116 bytes/workgroup (compile time only)
; SGPRBlocks: 8
; VGPRBlocks: 6
; NumSGPRsForWavesPerEU: 65
; NumVGPRsForWavesPerEU: 25
; Occupancy: 9
; WaveLimiterHint : 1
; COMPUTE_PGM_RSRC2:SCRATCH_EN: 0
; COMPUTE_PGM_RSRC2:USER_SGPR: 6
; COMPUTE_PGM_RSRC2:TRAP_HANDLER: 0
; COMPUTE_PGM_RSRC2:TGID_X_EN: 1
; COMPUTE_PGM_RSRC2:TGID_Y_EN: 0
; COMPUTE_PGM_RSRC2:TGID_Z_EN: 0
; COMPUTE_PGM_RSRC2:TIDIG_COMP_CNT: 0
	.section	.text._ZN9rocsparseL20bsrxmvn_17_32_kernelILj24EiliaaiEEvT2_20rocsparse_direction_NS_24const_host_device_scalarIT0_EES1_PKS1_PKT1_SA_S7_PKT3_PKT4_S5_PT5_21rocsparse_index_base_b,"axG",@progbits,_ZN9rocsparseL20bsrxmvn_17_32_kernelILj24EiliaaiEEvT2_20rocsparse_direction_NS_24const_host_device_scalarIT0_EES1_PKS1_PKT1_SA_S7_PKT3_PKT4_S5_PT5_21rocsparse_index_base_b,comdat
	.globl	_ZN9rocsparseL20bsrxmvn_17_32_kernelILj24EiliaaiEEvT2_20rocsparse_direction_NS_24const_host_device_scalarIT0_EES1_PKS1_PKT1_SA_S7_PKT3_PKT4_S5_PT5_21rocsparse_index_base_b ; -- Begin function _ZN9rocsparseL20bsrxmvn_17_32_kernelILj24EiliaaiEEvT2_20rocsparse_direction_NS_24const_host_device_scalarIT0_EES1_PKS1_PKT1_SA_S7_PKT3_PKT4_S5_PT5_21rocsparse_index_base_b
	.p2align	8
	.type	_ZN9rocsparseL20bsrxmvn_17_32_kernelILj24EiliaaiEEvT2_20rocsparse_direction_NS_24const_host_device_scalarIT0_EES1_PKS1_PKT1_SA_S7_PKT3_PKT4_S5_PT5_21rocsparse_index_base_b,@function
_ZN9rocsparseL20bsrxmvn_17_32_kernelILj24EiliaaiEEvT2_20rocsparse_direction_NS_24const_host_device_scalarIT0_EES1_PKS1_PKT1_SA_S7_PKT3_PKT4_S5_PT5_21rocsparse_index_base_b: ; @_ZN9rocsparseL20bsrxmvn_17_32_kernelILj24EiliaaiEEvT2_20rocsparse_direction_NS_24const_host_device_scalarIT0_EES1_PKS1_PKT1_SA_S7_PKT3_PKT4_S5_PT5_21rocsparse_index_base_b
; %bb.0:
	s_load_dwordx2 s[14:15], s[4:5], 0x58
	s_load_dwordx2 s[8:9], s[4:5], 0x8
	s_mov_b64 s[10:11], -1
	s_waitcnt lgkmcnt(0)
	s_bitcmp1_b32 s15, 0
	s_cselect_b64 s[0:1], -1, 0
	s_xor_b64 s[2:3], s[0:1], -1
	s_and_b64 vcc, exec, s[2:3]
                                        ; implicit-def: $sgpr15
	s_cbranch_vccnz .LBB215_4
; %bb.1:
	s_load_dwordx2 s[0:1], s[4:5], 0x48
	s_andn2_b64 vcc, exec, s[10:11]
	s_cbranch_vccz .LBB215_5
.LBB215_2:
	s_and_b64 vcc, exec, s[2:3]
	s_cbranch_vccz .LBB215_6
.LBB215_3:
	s_waitcnt lgkmcnt(0)
	s_load_dword s22, s[0:1], 0x0
	s_cbranch_execz .LBB215_7
	s_branch .LBB215_8
.LBB215_4:
	s_load_dword s15, s[8:9], 0x0
	s_load_dwordx2 s[0:1], s[4:5], 0x48
	s_cbranch_execnz .LBB215_2
.LBB215_5:
	s_waitcnt lgkmcnt(0)
	s_mov_b32 s15, s8
	s_and_b64 vcc, exec, s[2:3]
	s_cbranch_vccnz .LBB215_3
.LBB215_6:
                                        ; implicit-def: $sgpr22
.LBB215_7:
	s_waitcnt lgkmcnt(0)
	s_mov_b32 s22, s0
.LBB215_8:
	s_waitcnt lgkmcnt(0)
	s_cmp_lg_u32 s15, 0
	s_cselect_b64 s[0:1], -1, 0
	s_cmp_lg_u32 s22, 1
	s_cselect_b64 s[2:3], -1, 0
	s_or_b64 s[0:1], s[0:1], s[2:3]
	s_andn2_b64 vcc, exec, s[0:1]
	s_cbranch_vccnz .LBB215_44
; %bb.9:
	s_load_dwordx4 s[0:3], s[4:5], 0x18
	s_load_dwordx2 s[8:9], s[4:5], 0x28
	s_waitcnt lgkmcnt(0)
	s_cmp_eq_u64 s[0:1], 0
	s_cbranch_scc1 .LBB215_11
; %bb.10:
	s_ashr_i32 s7, s6, 31
	s_lshl_b64 s[6:7], s[6:7], 2
	s_add_u32 s0, s0, s6
	s_addc_u32 s1, s1, s7
	s_load_dword s0, s[0:1], 0x0
	s_waitcnt lgkmcnt(0)
	s_sub_i32 s6, s0, s14
.LBB215_11:
	s_load_dword s7, s[4:5], 0x4
	s_load_dwordx2 s[12:13], s[4:5], 0x50
	v_mul_u32_u24_e32 v1, 0xaab, v0
	v_mov_b32_e32 v2, 24
	v_mul_lo_u16_sdwa v2, v1, v2 dst_sel:DWORD dst_unused:UNUSED_PAD src0_sel:WORD_1 src1_sel:DWORD
	s_waitcnt lgkmcnt(0)
	s_cmp_eq_u32 s7, 1
	s_cselect_b64 s[0:1], -1, 0
	s_cmp_lg_u32 s7, 1
	s_cselect_b64 s[16:17], -1, 0
	s_ashr_i32 s7, s6, 31
	s_lshl_b64 s[10:11], s[6:7], 3
	s_add_u32 s2, s2, s10
	s_addc_u32 s3, s3, s11
	s_add_u32 s7, s2, 8
	s_addc_u32 s18, s3, 0
	s_add_u32 s10, s8, s10
	s_addc_u32 s11, s9, s11
	s_cmp_eq_u64 s[8:9], 0
	s_cselect_b32 s9, s18, s11
	s_cselect_b32 s8, s7, s10
	s_load_dwordx2 s[18:19], s[8:9], 0x0
	s_load_dwordx2 s[20:21], s[2:3], 0x0
	v_sub_u16_e32 v9, v0, v2
	v_mov_b32_e32 v8, 0
	s_waitcnt lgkmcnt(0)
	v_mov_b32_e32 v2, s18
	v_mov_b32_e32 v3, s19
	v_cmp_ge_i64_e32 vcc, s[20:21], v[2:3]
	s_cbranch_vccnz .LBB215_16
; %bb.12:
	s_load_dwordx4 s[8:11], s[4:5], 0x30
	s_load_dwordx2 s[2:3], s[4:5], 0x40
	s_sub_u32 s4, s18, s14
	s_mov_b32 s7, 0xffff
	s_subb_u32 s5, s19, 0
	s_movk_i32 s18, 0x240
	v_and_b32_sdwa v1, s7, v1 dst_sel:DWORD dst_unused:UNUSED_PAD src0_sel:DWORD src1_sel:WORD_1
	v_subrev_u32_e32 v2, 24, v1
	v_cmp_gt_u32_e32 vcc, s18, v0
	s_sub_u32 s18, s20, s14
	v_cndmask_b32_e32 v1, v2, v1, vcc
	s_subb_u32 s19, s21, 0
	v_cndmask_b32_e64 v1, v9, v1, s[0:1]
	s_mul_i32 s0, s19, 0x240
	s_mul_hi_u32 s1, s18, 0x240
	s_add_i32 s1, s1, s0
	s_mul_i32 s0, s18, 0x240
	s_waitcnt lgkmcnt(0)
	s_add_u32 s0, s10, s0
	s_addc_u32 s1, s11, s1
	v_mov_b32_e32 v3, s1
	v_add_co_u32_e32 v2, vcc, s0, v0
	v_addc_co_u32_e32 v3, vcc, 0, v3, vcc
	s_movk_i32 s0, 0x23f
	v_cmp_lt_u32_e32 vcc, s0, v0
	v_cndmask_b32_e64 v10, 0, 1, vcc
	v_mov_b32_e32 v4, s21
	v_add_co_u32_e32 v5, vcc, s20, v10
	v_addc_co_u32_e32 v6, vcc, 0, v4, vcc
	v_subrev_co_u32_e32 v4, vcc, s14, v5
	v_subbrev_co_u32_e32 v5, vcc, 0, v6, vcc
	v_lshlrev_b64 v[4:5], 2, v[4:5]
	v_mov_b32_e32 v6, s9
	v_add_co_u32_e32 v4, vcc, s8, v4
	v_addc_co_u32_e32 v5, vcc, v6, v5, vcc
	v_mov_b32_e32 v7, s5
	v_mov_b32_e32 v8, 0
	;; [unrolled: 1-line block ×3, first 2 shown]
	s_branch .LBB215_14
.LBB215_13:                             ;   in Loop: Header=BB215_14 Depth=1
	s_or_b64 exec, exec, s[0:1]
	s_add_u32 s18, s18, 1
	s_addc_u32 s19, s19, 0
	v_cmp_lt_i64_e32 vcc, s[18:19], v[6:7]
	v_add_co_u32_e64 v4, s[0:1], 4, v4
	v_addc_co_u32_e64 v5, s[0:1], 0, v5, s[0:1]
	s_cbranch_vccz .LBB215_16
.LBB215_14:                             ; =>This Inner Loop Header: Depth=1
	v_mov_b32_e32 v12, s19
	v_add_co_u32_e32 v11, vcc, s18, v10
	v_addc_co_u32_e32 v12, vcc, 0, v12, vcc
	v_cmp_gt_i64_e32 vcc, s[4:5], v[11:12]
	s_and_saveexec_b64 s[0:1], vcc
	s_cbranch_execz .LBB215_13
; %bb.15:                               ;   in Loop: Header=BB215_14 Depth=1
	global_load_dword v11, v[4:5], off
	global_load_sbyte v13, v[2:3], off
	s_waitcnt vmcnt(1)
	v_subrev_u32_e32 v11, s14, v11
	v_mad_u64_u32 v[11:12], s[8:9], v11, 24, v[1:2]
	v_mov_b32_e32 v12, s3
	v_ashrrev_i32_e32 v14, 31, v11
	v_add_co_u32_e32 v11, vcc, s2, v11
	v_addc_co_u32_e32 v12, vcc, v12, v14, vcc
	global_load_sbyte v11, v[11:12], off
	v_add_co_u32_e32 v2, vcc, 0x240, v2
	v_addc_co_u32_e32 v3, vcc, 0, v3, vcc
	s_waitcnt vmcnt(0)
	v_mad_i32_i24 v8, v11, v13, v8
	s_branch .LBB215_13
.LBB215_16:
	v_lshlrev_b32_e32 v1, 2, v0
	s_and_b64 vcc, exec, s[16:17]
	ds_write_b32 v1, v8
	s_waitcnt lgkmcnt(0)
	s_barrier
	s_cbranch_vccz .LBB215_28
; %bb.17:
	v_cmp_gt_u16_e32 vcc, 8, v9
	s_and_saveexec_b64 s[0:1], vcc
	s_cbranch_execz .LBB215_19
; %bb.18:
	ds_read2_b32 v[2:3], v1 offset1:16
	s_waitcnt lgkmcnt(0)
	v_add_u32_e32 v2, v2, v3
	ds_write_b32 v1, v2
.LBB215_19:
	s_or_b64 exec, exec, s[0:1]
	s_waitcnt lgkmcnt(0)
	s_barrier
	s_and_saveexec_b64 s[0:1], vcc
	s_cbranch_execz .LBB215_21
; %bb.20:
	ds_read2_b32 v[2:3], v1 offset1:8
	s_waitcnt lgkmcnt(0)
	v_add_u32_e32 v2, v2, v3
	ds_write_b32 v1, v2
.LBB215_21:
	s_or_b64 exec, exec, s[0:1]
	v_cmp_gt_u16_e32 vcc, 4, v9
	s_waitcnt lgkmcnt(0)
	s_barrier
	s_and_saveexec_b64 s[0:1], vcc
	s_cbranch_execz .LBB215_23
; %bb.22:
	ds_read2_b32 v[2:3], v1 offset1:4
	s_waitcnt lgkmcnt(0)
	v_add_u32_e32 v2, v2, v3
	ds_write_b32 v1, v2
.LBB215_23:
	s_or_b64 exec, exec, s[0:1]
	v_cmp_gt_u16_e32 vcc, 2, v9
	s_waitcnt lgkmcnt(0)
	s_barrier
	s_and_saveexec_b64 s[0:1], vcc
	s_cbranch_execz .LBB215_25
; %bb.24:
	ds_read2_b32 v[2:3], v1 offset1:2
	s_waitcnt lgkmcnt(0)
	v_add_u32_e32 v2, v2, v3
	ds_write_b32 v1, v2
.LBB215_25:
	s_or_b64 exec, exec, s[0:1]
	v_cmp_gt_u32_e32 vcc, 24, v0
	v_mov_b32_e32 v2, v8
	s_waitcnt lgkmcnt(0)
	s_barrier
	s_and_saveexec_b64 s[0:1], vcc
	s_cbranch_execz .LBB215_27
; %bb.26:
	s_movk_i32 s2, 0x5c
	v_mad_u32_u24 v2, v0, s2, v1
	ds_read_b64 v[2:3], v2
	s_waitcnt lgkmcnt(0)
	v_add_u32_e32 v2, v3, v2
.LBB215_27:
	s_or_b64 exec, exec, s[0:1]
	s_branch .LBB215_40
.LBB215_28:
                                        ; implicit-def: $vgpr2
	s_cbranch_execz .LBB215_40
; %bb.29:
	s_movk_i32 s0, 0xc0
	v_cmp_gt_u32_e32 vcc, s0, v0
	s_and_saveexec_b64 s[0:1], vcc
	s_cbranch_execz .LBB215_31
; %bb.30:
	ds_read2st64_b32 v[2:3], v1 offset1:6
	s_waitcnt lgkmcnt(0)
	v_add_u32_e32 v2, v2, v3
	ds_write_b32 v1, v2
.LBB215_31:
	s_or_b64 exec, exec, s[0:1]
	s_waitcnt lgkmcnt(0)
	s_barrier
	s_and_saveexec_b64 s[0:1], vcc
	s_cbranch_execz .LBB215_33
; %bb.32:
	ds_read2st64_b32 v[2:3], v1 offset1:3
	s_waitcnt lgkmcnt(0)
	v_add_u32_e32 v2, v2, v3
	ds_write_b32 v1, v2
.LBB215_33:
	s_or_b64 exec, exec, s[0:1]
	s_movk_i32 s0, 0x60
	v_cmp_gt_u32_e32 vcc, s0, v0
	s_waitcnt lgkmcnt(0)
	s_barrier
	s_and_saveexec_b64 s[0:1], vcc
	s_cbranch_execz .LBB215_35
; %bb.34:
	ds_read2_b32 v[2:3], v1 offset1:96
	s_waitcnt lgkmcnt(0)
	v_add_u32_e32 v2, v2, v3
	ds_write_b32 v1, v2
.LBB215_35:
	s_or_b64 exec, exec, s[0:1]
	v_cmp_gt_u32_e32 vcc, 48, v0
	s_waitcnt lgkmcnt(0)
	s_barrier
	s_and_saveexec_b64 s[0:1], vcc
	s_cbranch_execz .LBB215_37
; %bb.36:
	ds_read2_b32 v[2:3], v1 offset1:48
	s_waitcnt lgkmcnt(0)
	v_add_u32_e32 v2, v2, v3
	ds_write_b32 v1, v2
.LBB215_37:
	s_or_b64 exec, exec, s[0:1]
	v_cmp_gt_u32_e32 vcc, 24, v0
	s_waitcnt lgkmcnt(0)
	s_and_saveexec_b64 s[0:1], vcc
	s_cbranch_execz .LBB215_39
; %bb.38:
	ds_read2_b32 v[1:2], v1 offset1:24
	s_waitcnt lgkmcnt(0)
	v_add_u32_e32 v8, v2, v1
.LBB215_39:
	s_or_b64 exec, exec, s[0:1]
	v_mov_b32_e32 v2, v8
.LBB215_40:
	v_cmp_gt_u32_e32 vcc, 24, v0
	s_and_saveexec_b64 s[0:1], vcc
	s_cbranch_execz .LBB215_44
; %bb.41:
	v_mul_lo_u32 v1, v2, s15
	s_cmp_eq_u32 s22, 0
	s_cbranch_scc1 .LBB215_45
; %bb.42:
	v_mad_u64_u32 v[2:3], s[0:1], s6, 24, v[0:1]
	v_mov_b32_e32 v3, 0
	v_mov_b32_e32 v4, s13
	v_lshlrev_b64 v[2:3], 2, v[2:3]
	v_add_co_u32_e32 v2, vcc, s12, v2
	v_addc_co_u32_e32 v3, vcc, v4, v3, vcc
	global_load_dword v4, v[2:3], off
	s_waitcnt vmcnt(0)
	v_mad_u64_u32 v[4:5], s[0:1], v4, s22, v[1:2]
	global_store_dword v[2:3], v4, off
	s_cbranch_execnz .LBB215_44
.LBB215_43:
	v_mad_u64_u32 v[2:3], s[0:1], s6, 24, v[0:1]
	v_mov_b32_e32 v3, 0
	v_mov_b32_e32 v0, s13
	v_lshlrev_b64 v[2:3], 2, v[2:3]
	v_add_co_u32_e32 v2, vcc, s12, v2
	v_addc_co_u32_e32 v3, vcc, v0, v3, vcc
	global_store_dword v[2:3], v1, off
.LBB215_44:
	s_endpgm
.LBB215_45:
	s_branch .LBB215_43
	.section	.rodata,"a",@progbits
	.p2align	6, 0x0
	.amdhsa_kernel _ZN9rocsparseL20bsrxmvn_17_32_kernelILj24EiliaaiEEvT2_20rocsparse_direction_NS_24const_host_device_scalarIT0_EES1_PKS1_PKT1_SA_S7_PKT3_PKT4_S5_PT5_21rocsparse_index_base_b
		.amdhsa_group_segment_fixed_size 2304
		.amdhsa_private_segment_fixed_size 0
		.amdhsa_kernarg_size 96
		.amdhsa_user_sgpr_count 6
		.amdhsa_user_sgpr_private_segment_buffer 1
		.amdhsa_user_sgpr_dispatch_ptr 0
		.amdhsa_user_sgpr_queue_ptr 0
		.amdhsa_user_sgpr_kernarg_segment_ptr 1
		.amdhsa_user_sgpr_dispatch_id 0
		.amdhsa_user_sgpr_flat_scratch_init 0
		.amdhsa_user_sgpr_private_segment_size 0
		.amdhsa_uses_dynamic_stack 0
		.amdhsa_system_sgpr_private_segment_wavefront_offset 0
		.amdhsa_system_sgpr_workgroup_id_x 1
		.amdhsa_system_sgpr_workgroup_id_y 0
		.amdhsa_system_sgpr_workgroup_id_z 0
		.amdhsa_system_sgpr_workgroup_info 0
		.amdhsa_system_vgpr_workitem_id 0
		.amdhsa_next_free_vgpr 25
		.amdhsa_next_free_sgpr 61
		.amdhsa_reserve_vcc 1
		.amdhsa_reserve_flat_scratch 0
		.amdhsa_float_round_mode_32 0
		.amdhsa_float_round_mode_16_64 0
		.amdhsa_float_denorm_mode_32 3
		.amdhsa_float_denorm_mode_16_64 3
		.amdhsa_dx10_clamp 1
		.amdhsa_ieee_mode 1
		.amdhsa_fp16_overflow 0
		.amdhsa_exception_fp_ieee_invalid_op 0
		.amdhsa_exception_fp_denorm_src 0
		.amdhsa_exception_fp_ieee_div_zero 0
		.amdhsa_exception_fp_ieee_overflow 0
		.amdhsa_exception_fp_ieee_underflow 0
		.amdhsa_exception_fp_ieee_inexact 0
		.amdhsa_exception_int_div_zero 0
	.end_amdhsa_kernel
	.section	.text._ZN9rocsparseL20bsrxmvn_17_32_kernelILj24EiliaaiEEvT2_20rocsparse_direction_NS_24const_host_device_scalarIT0_EES1_PKS1_PKT1_SA_S7_PKT3_PKT4_S5_PT5_21rocsparse_index_base_b,"axG",@progbits,_ZN9rocsparseL20bsrxmvn_17_32_kernelILj24EiliaaiEEvT2_20rocsparse_direction_NS_24const_host_device_scalarIT0_EES1_PKS1_PKT1_SA_S7_PKT3_PKT4_S5_PT5_21rocsparse_index_base_b,comdat
.Lfunc_end215:
	.size	_ZN9rocsparseL20bsrxmvn_17_32_kernelILj24EiliaaiEEvT2_20rocsparse_direction_NS_24const_host_device_scalarIT0_EES1_PKS1_PKT1_SA_S7_PKT3_PKT4_S5_PT5_21rocsparse_index_base_b, .Lfunc_end215-_ZN9rocsparseL20bsrxmvn_17_32_kernelILj24EiliaaiEEvT2_20rocsparse_direction_NS_24const_host_device_scalarIT0_EES1_PKS1_PKT1_SA_S7_PKT3_PKT4_S5_PT5_21rocsparse_index_base_b
                                        ; -- End function
	.set _ZN9rocsparseL20bsrxmvn_17_32_kernelILj24EiliaaiEEvT2_20rocsparse_direction_NS_24const_host_device_scalarIT0_EES1_PKS1_PKT1_SA_S7_PKT3_PKT4_S5_PT5_21rocsparse_index_base_b.num_vgpr, 15
	.set _ZN9rocsparseL20bsrxmvn_17_32_kernelILj24EiliaaiEEvT2_20rocsparse_direction_NS_24const_host_device_scalarIT0_EES1_PKS1_PKT1_SA_S7_PKT3_PKT4_S5_PT5_21rocsparse_index_base_b.num_agpr, 0
	.set _ZN9rocsparseL20bsrxmvn_17_32_kernelILj24EiliaaiEEvT2_20rocsparse_direction_NS_24const_host_device_scalarIT0_EES1_PKS1_PKT1_SA_S7_PKT3_PKT4_S5_PT5_21rocsparse_index_base_b.numbered_sgpr, 23
	.set _ZN9rocsparseL20bsrxmvn_17_32_kernelILj24EiliaaiEEvT2_20rocsparse_direction_NS_24const_host_device_scalarIT0_EES1_PKS1_PKT1_SA_S7_PKT3_PKT4_S5_PT5_21rocsparse_index_base_b.num_named_barrier, 0
	.set _ZN9rocsparseL20bsrxmvn_17_32_kernelILj24EiliaaiEEvT2_20rocsparse_direction_NS_24const_host_device_scalarIT0_EES1_PKS1_PKT1_SA_S7_PKT3_PKT4_S5_PT5_21rocsparse_index_base_b.private_seg_size, 0
	.set _ZN9rocsparseL20bsrxmvn_17_32_kernelILj24EiliaaiEEvT2_20rocsparse_direction_NS_24const_host_device_scalarIT0_EES1_PKS1_PKT1_SA_S7_PKT3_PKT4_S5_PT5_21rocsparse_index_base_b.uses_vcc, 1
	.set _ZN9rocsparseL20bsrxmvn_17_32_kernelILj24EiliaaiEEvT2_20rocsparse_direction_NS_24const_host_device_scalarIT0_EES1_PKS1_PKT1_SA_S7_PKT3_PKT4_S5_PT5_21rocsparse_index_base_b.uses_flat_scratch, 0
	.set _ZN9rocsparseL20bsrxmvn_17_32_kernelILj24EiliaaiEEvT2_20rocsparse_direction_NS_24const_host_device_scalarIT0_EES1_PKS1_PKT1_SA_S7_PKT3_PKT4_S5_PT5_21rocsparse_index_base_b.has_dyn_sized_stack, 0
	.set _ZN9rocsparseL20bsrxmvn_17_32_kernelILj24EiliaaiEEvT2_20rocsparse_direction_NS_24const_host_device_scalarIT0_EES1_PKS1_PKT1_SA_S7_PKT3_PKT4_S5_PT5_21rocsparse_index_base_b.has_recursion, 0
	.set _ZN9rocsparseL20bsrxmvn_17_32_kernelILj24EiliaaiEEvT2_20rocsparse_direction_NS_24const_host_device_scalarIT0_EES1_PKS1_PKT1_SA_S7_PKT3_PKT4_S5_PT5_21rocsparse_index_base_b.has_indirect_call, 0
	.section	.AMDGPU.csdata,"",@progbits
; Kernel info:
; codeLenInByte = 1348
; TotalNumSgprs: 27
; NumVgprs: 15
; ScratchSize: 0
; MemoryBound: 0
; FloatMode: 240
; IeeeMode: 1
; LDSByteSize: 2304 bytes/workgroup (compile time only)
; SGPRBlocks: 8
; VGPRBlocks: 6
; NumSGPRsForWavesPerEU: 65
; NumVGPRsForWavesPerEU: 25
; Occupancy: 9
; WaveLimiterHint : 1
; COMPUTE_PGM_RSRC2:SCRATCH_EN: 0
; COMPUTE_PGM_RSRC2:USER_SGPR: 6
; COMPUTE_PGM_RSRC2:TRAP_HANDLER: 0
; COMPUTE_PGM_RSRC2:TGID_X_EN: 1
; COMPUTE_PGM_RSRC2:TGID_Y_EN: 0
; COMPUTE_PGM_RSRC2:TGID_Z_EN: 0
; COMPUTE_PGM_RSRC2:TIDIG_COMP_CNT: 0
	.section	.text._ZN9rocsparseL20bsrxmvn_17_32_kernelILj25EiliaaiEEvT2_20rocsparse_direction_NS_24const_host_device_scalarIT0_EES1_PKS1_PKT1_SA_S7_PKT3_PKT4_S5_PT5_21rocsparse_index_base_b,"axG",@progbits,_ZN9rocsparseL20bsrxmvn_17_32_kernelILj25EiliaaiEEvT2_20rocsparse_direction_NS_24const_host_device_scalarIT0_EES1_PKS1_PKT1_SA_S7_PKT3_PKT4_S5_PT5_21rocsparse_index_base_b,comdat
	.globl	_ZN9rocsparseL20bsrxmvn_17_32_kernelILj25EiliaaiEEvT2_20rocsparse_direction_NS_24const_host_device_scalarIT0_EES1_PKS1_PKT1_SA_S7_PKT3_PKT4_S5_PT5_21rocsparse_index_base_b ; -- Begin function _ZN9rocsparseL20bsrxmvn_17_32_kernelILj25EiliaaiEEvT2_20rocsparse_direction_NS_24const_host_device_scalarIT0_EES1_PKS1_PKT1_SA_S7_PKT3_PKT4_S5_PT5_21rocsparse_index_base_b
	.p2align	8
	.type	_ZN9rocsparseL20bsrxmvn_17_32_kernelILj25EiliaaiEEvT2_20rocsparse_direction_NS_24const_host_device_scalarIT0_EES1_PKS1_PKT1_SA_S7_PKT3_PKT4_S5_PT5_21rocsparse_index_base_b,@function
_ZN9rocsparseL20bsrxmvn_17_32_kernelILj25EiliaaiEEvT2_20rocsparse_direction_NS_24const_host_device_scalarIT0_EES1_PKS1_PKT1_SA_S7_PKT3_PKT4_S5_PT5_21rocsparse_index_base_b: ; @_ZN9rocsparseL20bsrxmvn_17_32_kernelILj25EiliaaiEEvT2_20rocsparse_direction_NS_24const_host_device_scalarIT0_EES1_PKS1_PKT1_SA_S7_PKT3_PKT4_S5_PT5_21rocsparse_index_base_b
; %bb.0:
	s_load_dwordx2 s[14:15], s[4:5], 0x58
	s_load_dwordx2 s[8:9], s[4:5], 0x8
	s_mov_b64 s[10:11], -1
	s_waitcnt lgkmcnt(0)
	s_bitcmp1_b32 s15, 0
	s_cselect_b64 s[0:1], -1, 0
	s_xor_b64 s[2:3], s[0:1], -1
	s_and_b64 vcc, exec, s[2:3]
                                        ; implicit-def: $sgpr15
	s_cbranch_vccnz .LBB216_4
; %bb.1:
	s_load_dwordx2 s[0:1], s[4:5], 0x48
	s_andn2_b64 vcc, exec, s[10:11]
	s_cbranch_vccz .LBB216_5
.LBB216_2:
	s_and_b64 vcc, exec, s[2:3]
	s_cbranch_vccz .LBB216_6
.LBB216_3:
	s_waitcnt lgkmcnt(0)
	s_load_dword s22, s[0:1], 0x0
	s_cbranch_execz .LBB216_7
	s_branch .LBB216_8
.LBB216_4:
	s_load_dword s15, s[8:9], 0x0
	s_load_dwordx2 s[0:1], s[4:5], 0x48
	s_cbranch_execnz .LBB216_2
.LBB216_5:
	s_waitcnt lgkmcnt(0)
	s_mov_b32 s15, s8
	s_and_b64 vcc, exec, s[2:3]
	s_cbranch_vccnz .LBB216_3
.LBB216_6:
                                        ; implicit-def: $sgpr22
.LBB216_7:
	s_waitcnt lgkmcnt(0)
	s_mov_b32 s22, s0
.LBB216_8:
	s_waitcnt lgkmcnt(0)
	s_cmp_lg_u32 s15, 0
	s_cselect_b64 s[0:1], -1, 0
	s_cmp_lg_u32 s22, 1
	s_cselect_b64 s[2:3], -1, 0
	s_or_b64 s[0:1], s[0:1], s[2:3]
	s_andn2_b64 vcc, exec, s[0:1]
	s_cbranch_vccnz .LBB216_44
; %bb.9:
	s_load_dwordx4 s[0:3], s[4:5], 0x18
	s_load_dwordx2 s[8:9], s[4:5], 0x28
	s_waitcnt lgkmcnt(0)
	s_cmp_eq_u64 s[0:1], 0
	s_cbranch_scc1 .LBB216_11
; %bb.10:
	s_ashr_i32 s7, s6, 31
	s_lshl_b64 s[6:7], s[6:7], 2
	s_add_u32 s0, s0, s6
	s_addc_u32 s1, s1, s7
	s_load_dword s0, s[0:1], 0x0
	s_waitcnt lgkmcnt(0)
	s_sub_i32 s6, s0, s14
.LBB216_11:
	s_load_dword s7, s[4:5], 0x4
	s_load_dwordx2 s[12:13], s[4:5], 0x50
	v_mul_u32_u24_e32 v1, 0xa3e, v0
	v_mov_b32_e32 v2, 25
	v_mul_lo_u16_sdwa v2, v1, v2 dst_sel:DWORD dst_unused:UNUSED_PAD src0_sel:WORD_1 src1_sel:DWORD
	s_waitcnt lgkmcnt(0)
	s_cmp_eq_u32 s7, 1
	s_cselect_b64 s[0:1], -1, 0
	s_cmp_lg_u32 s7, 1
	s_cselect_b64 s[16:17], -1, 0
	s_ashr_i32 s7, s6, 31
	s_lshl_b64 s[10:11], s[6:7], 3
	s_add_u32 s2, s2, s10
	s_addc_u32 s3, s3, s11
	s_add_u32 s7, s2, 8
	s_addc_u32 s18, s3, 0
	;; [unrolled: 2-line block ×3, first 2 shown]
	s_cmp_eq_u64 s[8:9], 0
	s_cselect_b32 s9, s18, s11
	s_cselect_b32 s8, s7, s10
	s_load_dwordx2 s[18:19], s[8:9], 0x0
	s_load_dwordx2 s[20:21], s[2:3], 0x0
	v_sub_u16_e32 v9, v0, v2
	v_mov_b32_e32 v8, 0
	s_waitcnt lgkmcnt(0)
	v_mov_b32_e32 v2, s18
	v_mov_b32_e32 v3, s19
	v_cmp_ge_i64_e32 vcc, s[20:21], v[2:3]
	s_cbranch_vccnz .LBB216_16
; %bb.12:
	s_load_dwordx4 s[8:11], s[4:5], 0x30
	s_load_dwordx2 s[2:3], s[4:5], 0x40
	s_sub_u32 s4, s18, s14
	s_mov_b32 s7, 0xffff
	s_subb_u32 s5, s19, 0
	s_movk_i32 s18, 0x271
	v_and_b32_sdwa v1, s7, v1 dst_sel:DWORD dst_unused:UNUSED_PAD src0_sel:DWORD src1_sel:WORD_1
	v_subrev_u32_e32 v2, 25, v1
	v_cmp_gt_u32_e32 vcc, s18, v0
	s_sub_u32 s18, s20, s14
	v_cndmask_b32_e32 v1, v2, v1, vcc
	s_subb_u32 s19, s21, 0
	v_cndmask_b32_e64 v1, v9, v1, s[0:1]
	s_mul_i32 s0, s19, 0x271
	s_mul_hi_u32 s1, s18, 0x271
	s_add_i32 s1, s1, s0
	s_mul_i32 s0, s18, 0x271
	s_waitcnt lgkmcnt(0)
	s_add_u32 s0, s10, s0
	s_addc_u32 s1, s11, s1
	v_mov_b32_e32 v3, s1
	v_add_co_u32_e32 v2, vcc, s0, v0
	v_addc_co_u32_e32 v3, vcc, 0, v3, vcc
	s_movk_i32 s0, 0x270
	v_cmp_lt_u32_e32 vcc, s0, v0
	v_cndmask_b32_e64 v10, 0, 1, vcc
	v_mov_b32_e32 v4, s21
	v_add_co_u32_e32 v5, vcc, s20, v10
	v_addc_co_u32_e32 v6, vcc, 0, v4, vcc
	v_subrev_co_u32_e32 v4, vcc, s14, v5
	v_subbrev_co_u32_e32 v5, vcc, 0, v6, vcc
	v_lshlrev_b64 v[4:5], 2, v[4:5]
	v_mov_b32_e32 v6, s9
	v_add_co_u32_e32 v4, vcc, s8, v4
	v_addc_co_u32_e32 v5, vcc, v6, v5, vcc
	v_mov_b32_e32 v7, s5
	v_mov_b32_e32 v8, 0
	;; [unrolled: 1-line block ×3, first 2 shown]
	s_branch .LBB216_14
.LBB216_13:                             ;   in Loop: Header=BB216_14 Depth=1
	s_or_b64 exec, exec, s[0:1]
	s_add_u32 s18, s18, 1
	s_addc_u32 s19, s19, 0
	v_cmp_lt_i64_e32 vcc, s[18:19], v[6:7]
	v_add_co_u32_e64 v4, s[0:1], 4, v4
	v_addc_co_u32_e64 v5, s[0:1], 0, v5, s[0:1]
	s_cbranch_vccz .LBB216_16
.LBB216_14:                             ; =>This Inner Loop Header: Depth=1
	v_mov_b32_e32 v12, s19
	v_add_co_u32_e32 v11, vcc, s18, v10
	v_addc_co_u32_e32 v12, vcc, 0, v12, vcc
	v_cmp_gt_i64_e32 vcc, s[4:5], v[11:12]
	s_and_saveexec_b64 s[0:1], vcc
	s_cbranch_execz .LBB216_13
; %bb.15:                               ;   in Loop: Header=BB216_14 Depth=1
	global_load_dword v11, v[4:5], off
	global_load_sbyte v13, v[2:3], off
	s_waitcnt vmcnt(1)
	v_subrev_u32_e32 v11, s14, v11
	v_mad_u64_u32 v[11:12], s[8:9], v11, 25, v[1:2]
	v_mov_b32_e32 v12, s3
	v_ashrrev_i32_e32 v14, 31, v11
	v_add_co_u32_e32 v11, vcc, s2, v11
	v_addc_co_u32_e32 v12, vcc, v12, v14, vcc
	global_load_sbyte v11, v[11:12], off
	v_add_co_u32_e32 v2, vcc, 0x271, v2
	v_addc_co_u32_e32 v3, vcc, 0, v3, vcc
	s_waitcnt vmcnt(0)
	v_mad_i32_i24 v8, v11, v13, v8
	s_branch .LBB216_13
.LBB216_16:
	v_lshlrev_b32_e32 v1, 2, v0
	s_and_b64 vcc, exec, s[16:17]
	ds_write_b32 v1, v8
	s_waitcnt lgkmcnt(0)
	s_barrier
	s_cbranch_vccz .LBB216_28
; %bb.17:
	v_cmp_gt_u16_e32 vcc, 9, v9
	s_and_saveexec_b64 s[0:1], vcc
	s_cbranch_execz .LBB216_19
; %bb.18:
	ds_read2_b32 v[2:3], v1 offset1:16
	s_waitcnt lgkmcnt(0)
	v_add_u32_e32 v2, v2, v3
	ds_write_b32 v1, v2
.LBB216_19:
	s_or_b64 exec, exec, s[0:1]
	v_cmp_gt_u16_e32 vcc, 8, v9
	s_waitcnt lgkmcnt(0)
	s_barrier
	s_and_saveexec_b64 s[0:1], vcc
	s_cbranch_execz .LBB216_21
; %bb.20:
	ds_read2_b32 v[2:3], v1 offset1:8
	s_waitcnt lgkmcnt(0)
	v_add_u32_e32 v2, v2, v3
	ds_write_b32 v1, v2
.LBB216_21:
	s_or_b64 exec, exec, s[0:1]
	v_cmp_gt_u16_e32 vcc, 4, v9
	s_waitcnt lgkmcnt(0)
	s_barrier
	;; [unrolled: 12-line block ×3, first 2 shown]
	s_and_saveexec_b64 s[0:1], vcc
	s_cbranch_execz .LBB216_25
; %bb.24:
	ds_read2_b32 v[2:3], v1 offset1:2
	s_waitcnt lgkmcnt(0)
	v_add_u32_e32 v2, v2, v3
	ds_write_b32 v1, v2
.LBB216_25:
	s_or_b64 exec, exec, s[0:1]
	v_cmp_gt_u32_e32 vcc, 25, v0
	v_mov_b32_e32 v2, v8
	s_waitcnt lgkmcnt(0)
	s_barrier
	s_and_saveexec_b64 s[0:1], vcc
	s_cbranch_execz .LBB216_27
; %bb.26:
	s_movk_i32 s2, 0x60
	v_mad_u32_u24 v2, v0, s2, v1
	ds_read2_b32 v[2:3], v2 offset1:1
	s_waitcnt lgkmcnt(0)
	v_add_u32_e32 v2, v3, v2
.LBB216_27:
	s_or_b64 exec, exec, s[0:1]
	s_branch .LBB216_40
.LBB216_28:
                                        ; implicit-def: $vgpr2
	s_cbranch_execz .LBB216_40
; %bb.29:
	s_movk_i32 s0, 0xe1
	v_cmp_gt_u32_e32 vcc, s0, v0
	s_and_saveexec_b64 s[0:1], vcc
	s_cbranch_execz .LBB216_31
; %bb.30:
	ds_read_b32 v2, v1 offset:1600
	ds_read_b32 v3, v1
	s_waitcnt lgkmcnt(0)
	v_add_u32_e32 v2, v3, v2
	ds_write_b32 v1, v2
.LBB216_31:
	s_or_b64 exec, exec, s[0:1]
	s_movk_i32 s0, 0xc8
	v_cmp_gt_u32_e32 vcc, s0, v0
	s_waitcnt lgkmcnt(0)
	s_barrier
	s_and_saveexec_b64 s[0:1], vcc
	s_cbranch_execz .LBB216_33
; %bb.32:
	ds_read2_b32 v[2:3], v1 offset1:200
	s_waitcnt lgkmcnt(0)
	v_add_u32_e32 v2, v2, v3
	ds_write_b32 v1, v2
.LBB216_33:
	s_or_b64 exec, exec, s[0:1]
	s_movk_i32 s0, 0x64
	v_cmp_gt_u32_e32 vcc, s0, v0
	s_waitcnt lgkmcnt(0)
	s_barrier
	s_and_saveexec_b64 s[0:1], vcc
	s_cbranch_execz .LBB216_35
; %bb.34:
	ds_read2_b32 v[2:3], v1 offset1:100
	s_waitcnt lgkmcnt(0)
	v_add_u32_e32 v2, v2, v3
	ds_write_b32 v1, v2
.LBB216_35:
	s_or_b64 exec, exec, s[0:1]
	v_cmp_gt_u32_e32 vcc, 50, v0
	s_waitcnt lgkmcnt(0)
	s_barrier
	s_and_saveexec_b64 s[0:1], vcc
	s_cbranch_execz .LBB216_37
; %bb.36:
	ds_read2_b32 v[2:3], v1 offset1:50
	s_waitcnt lgkmcnt(0)
	v_add_u32_e32 v2, v2, v3
	ds_write_b32 v1, v2
.LBB216_37:
	s_or_b64 exec, exec, s[0:1]
	v_cmp_gt_u32_e32 vcc, 25, v0
	s_waitcnt lgkmcnt(0)
	s_and_saveexec_b64 s[0:1], vcc
	s_cbranch_execz .LBB216_39
; %bb.38:
	ds_read2_b32 v[1:2], v1 offset1:25
	s_waitcnt lgkmcnt(0)
	v_add_u32_e32 v8, v2, v1
.LBB216_39:
	s_or_b64 exec, exec, s[0:1]
	v_mov_b32_e32 v2, v8
.LBB216_40:
	v_cmp_gt_u32_e32 vcc, 25, v0
	s_and_saveexec_b64 s[0:1], vcc
	s_cbranch_execz .LBB216_44
; %bb.41:
	v_mul_lo_u32 v1, v2, s15
	s_cmp_eq_u32 s22, 0
	s_cbranch_scc1 .LBB216_45
; %bb.42:
	v_mad_u64_u32 v[2:3], s[0:1], s6, 25, v[0:1]
	v_mov_b32_e32 v3, 0
	v_mov_b32_e32 v4, s13
	v_lshlrev_b64 v[2:3], 2, v[2:3]
	v_add_co_u32_e32 v2, vcc, s12, v2
	v_addc_co_u32_e32 v3, vcc, v4, v3, vcc
	global_load_dword v4, v[2:3], off
	s_waitcnt vmcnt(0)
	v_mad_u64_u32 v[4:5], s[0:1], v4, s22, v[1:2]
	global_store_dword v[2:3], v4, off
	s_cbranch_execnz .LBB216_44
.LBB216_43:
	v_mad_u64_u32 v[2:3], s[0:1], s6, 25, v[0:1]
	v_mov_b32_e32 v3, 0
	v_mov_b32_e32 v0, s13
	v_lshlrev_b64 v[2:3], 2, v[2:3]
	v_add_co_u32_e32 v2, vcc, s12, v2
	v_addc_co_u32_e32 v3, vcc, v0, v3, vcc
	global_store_dword v[2:3], v1, off
.LBB216_44:
	s_endpgm
.LBB216_45:
	s_branch .LBB216_43
	.section	.rodata,"a",@progbits
	.p2align	6, 0x0
	.amdhsa_kernel _ZN9rocsparseL20bsrxmvn_17_32_kernelILj25EiliaaiEEvT2_20rocsparse_direction_NS_24const_host_device_scalarIT0_EES1_PKS1_PKT1_SA_S7_PKT3_PKT4_S5_PT5_21rocsparse_index_base_b
		.amdhsa_group_segment_fixed_size 2500
		.amdhsa_private_segment_fixed_size 0
		.amdhsa_kernarg_size 96
		.amdhsa_user_sgpr_count 6
		.amdhsa_user_sgpr_private_segment_buffer 1
		.amdhsa_user_sgpr_dispatch_ptr 0
		.amdhsa_user_sgpr_queue_ptr 0
		.amdhsa_user_sgpr_kernarg_segment_ptr 1
		.amdhsa_user_sgpr_dispatch_id 0
		.amdhsa_user_sgpr_flat_scratch_init 0
		.amdhsa_user_sgpr_private_segment_size 0
		.amdhsa_uses_dynamic_stack 0
		.amdhsa_system_sgpr_private_segment_wavefront_offset 0
		.amdhsa_system_sgpr_workgroup_id_x 1
		.amdhsa_system_sgpr_workgroup_id_y 0
		.amdhsa_system_sgpr_workgroup_id_z 0
		.amdhsa_system_sgpr_workgroup_info 0
		.amdhsa_system_vgpr_workitem_id 0
		.amdhsa_next_free_vgpr 15
		.amdhsa_next_free_sgpr 23
		.amdhsa_reserve_vcc 1
		.amdhsa_reserve_flat_scratch 0
		.amdhsa_float_round_mode_32 0
		.amdhsa_float_round_mode_16_64 0
		.amdhsa_float_denorm_mode_32 3
		.amdhsa_float_denorm_mode_16_64 3
		.amdhsa_dx10_clamp 1
		.amdhsa_ieee_mode 1
		.amdhsa_fp16_overflow 0
		.amdhsa_exception_fp_ieee_invalid_op 0
		.amdhsa_exception_fp_denorm_src 0
		.amdhsa_exception_fp_ieee_div_zero 0
		.amdhsa_exception_fp_ieee_overflow 0
		.amdhsa_exception_fp_ieee_underflow 0
		.amdhsa_exception_fp_ieee_inexact 0
		.amdhsa_exception_int_div_zero 0
	.end_amdhsa_kernel
	.section	.text._ZN9rocsparseL20bsrxmvn_17_32_kernelILj25EiliaaiEEvT2_20rocsparse_direction_NS_24const_host_device_scalarIT0_EES1_PKS1_PKT1_SA_S7_PKT3_PKT4_S5_PT5_21rocsparse_index_base_b,"axG",@progbits,_ZN9rocsparseL20bsrxmvn_17_32_kernelILj25EiliaaiEEvT2_20rocsparse_direction_NS_24const_host_device_scalarIT0_EES1_PKS1_PKT1_SA_S7_PKT3_PKT4_S5_PT5_21rocsparse_index_base_b,comdat
.Lfunc_end216:
	.size	_ZN9rocsparseL20bsrxmvn_17_32_kernelILj25EiliaaiEEvT2_20rocsparse_direction_NS_24const_host_device_scalarIT0_EES1_PKS1_PKT1_SA_S7_PKT3_PKT4_S5_PT5_21rocsparse_index_base_b, .Lfunc_end216-_ZN9rocsparseL20bsrxmvn_17_32_kernelILj25EiliaaiEEvT2_20rocsparse_direction_NS_24const_host_device_scalarIT0_EES1_PKS1_PKT1_SA_S7_PKT3_PKT4_S5_PT5_21rocsparse_index_base_b
                                        ; -- End function
	.set _ZN9rocsparseL20bsrxmvn_17_32_kernelILj25EiliaaiEEvT2_20rocsparse_direction_NS_24const_host_device_scalarIT0_EES1_PKS1_PKT1_SA_S7_PKT3_PKT4_S5_PT5_21rocsparse_index_base_b.num_vgpr, 15
	.set _ZN9rocsparseL20bsrxmvn_17_32_kernelILj25EiliaaiEEvT2_20rocsparse_direction_NS_24const_host_device_scalarIT0_EES1_PKS1_PKT1_SA_S7_PKT3_PKT4_S5_PT5_21rocsparse_index_base_b.num_agpr, 0
	.set _ZN9rocsparseL20bsrxmvn_17_32_kernelILj25EiliaaiEEvT2_20rocsparse_direction_NS_24const_host_device_scalarIT0_EES1_PKS1_PKT1_SA_S7_PKT3_PKT4_S5_PT5_21rocsparse_index_base_b.numbered_sgpr, 23
	.set _ZN9rocsparseL20bsrxmvn_17_32_kernelILj25EiliaaiEEvT2_20rocsparse_direction_NS_24const_host_device_scalarIT0_EES1_PKS1_PKT1_SA_S7_PKT3_PKT4_S5_PT5_21rocsparse_index_base_b.num_named_barrier, 0
	.set _ZN9rocsparseL20bsrxmvn_17_32_kernelILj25EiliaaiEEvT2_20rocsparse_direction_NS_24const_host_device_scalarIT0_EES1_PKS1_PKT1_SA_S7_PKT3_PKT4_S5_PT5_21rocsparse_index_base_b.private_seg_size, 0
	.set _ZN9rocsparseL20bsrxmvn_17_32_kernelILj25EiliaaiEEvT2_20rocsparse_direction_NS_24const_host_device_scalarIT0_EES1_PKS1_PKT1_SA_S7_PKT3_PKT4_S5_PT5_21rocsparse_index_base_b.uses_vcc, 1
	.set _ZN9rocsparseL20bsrxmvn_17_32_kernelILj25EiliaaiEEvT2_20rocsparse_direction_NS_24const_host_device_scalarIT0_EES1_PKS1_PKT1_SA_S7_PKT3_PKT4_S5_PT5_21rocsparse_index_base_b.uses_flat_scratch, 0
	.set _ZN9rocsparseL20bsrxmvn_17_32_kernelILj25EiliaaiEEvT2_20rocsparse_direction_NS_24const_host_device_scalarIT0_EES1_PKS1_PKT1_SA_S7_PKT3_PKT4_S5_PT5_21rocsparse_index_base_b.has_dyn_sized_stack, 0
	.set _ZN9rocsparseL20bsrxmvn_17_32_kernelILj25EiliaaiEEvT2_20rocsparse_direction_NS_24const_host_device_scalarIT0_EES1_PKS1_PKT1_SA_S7_PKT3_PKT4_S5_PT5_21rocsparse_index_base_b.has_recursion, 0
	.set _ZN9rocsparseL20bsrxmvn_17_32_kernelILj25EiliaaiEEvT2_20rocsparse_direction_NS_24const_host_device_scalarIT0_EES1_PKS1_PKT1_SA_S7_PKT3_PKT4_S5_PT5_21rocsparse_index_base_b.has_indirect_call, 0
	.section	.AMDGPU.csdata,"",@progbits
; Kernel info:
; codeLenInByte = 1368
; TotalNumSgprs: 27
; NumVgprs: 15
; ScratchSize: 0
; MemoryBound: 0
; FloatMode: 240
; IeeeMode: 1
; LDSByteSize: 2500 bytes/workgroup (compile time only)
; SGPRBlocks: 3
; VGPRBlocks: 3
; NumSGPRsForWavesPerEU: 27
; NumVGPRsForWavesPerEU: 15
; Occupancy: 10
; WaveLimiterHint : 1
; COMPUTE_PGM_RSRC2:SCRATCH_EN: 0
; COMPUTE_PGM_RSRC2:USER_SGPR: 6
; COMPUTE_PGM_RSRC2:TRAP_HANDLER: 0
; COMPUTE_PGM_RSRC2:TGID_X_EN: 1
; COMPUTE_PGM_RSRC2:TGID_Y_EN: 0
; COMPUTE_PGM_RSRC2:TGID_Z_EN: 0
; COMPUTE_PGM_RSRC2:TIDIG_COMP_CNT: 0
	.section	.text._ZN9rocsparseL20bsrxmvn_17_32_kernelILj26EiliaaiEEvT2_20rocsparse_direction_NS_24const_host_device_scalarIT0_EES1_PKS1_PKT1_SA_S7_PKT3_PKT4_S5_PT5_21rocsparse_index_base_b,"axG",@progbits,_ZN9rocsparseL20bsrxmvn_17_32_kernelILj26EiliaaiEEvT2_20rocsparse_direction_NS_24const_host_device_scalarIT0_EES1_PKS1_PKT1_SA_S7_PKT3_PKT4_S5_PT5_21rocsparse_index_base_b,comdat
	.globl	_ZN9rocsparseL20bsrxmvn_17_32_kernelILj26EiliaaiEEvT2_20rocsparse_direction_NS_24const_host_device_scalarIT0_EES1_PKS1_PKT1_SA_S7_PKT3_PKT4_S5_PT5_21rocsparse_index_base_b ; -- Begin function _ZN9rocsparseL20bsrxmvn_17_32_kernelILj26EiliaaiEEvT2_20rocsparse_direction_NS_24const_host_device_scalarIT0_EES1_PKS1_PKT1_SA_S7_PKT3_PKT4_S5_PT5_21rocsparse_index_base_b
	.p2align	8
	.type	_ZN9rocsparseL20bsrxmvn_17_32_kernelILj26EiliaaiEEvT2_20rocsparse_direction_NS_24const_host_device_scalarIT0_EES1_PKS1_PKT1_SA_S7_PKT3_PKT4_S5_PT5_21rocsparse_index_base_b,@function
_ZN9rocsparseL20bsrxmvn_17_32_kernelILj26EiliaaiEEvT2_20rocsparse_direction_NS_24const_host_device_scalarIT0_EES1_PKS1_PKT1_SA_S7_PKT3_PKT4_S5_PT5_21rocsparse_index_base_b: ; @_ZN9rocsparseL20bsrxmvn_17_32_kernelILj26EiliaaiEEvT2_20rocsparse_direction_NS_24const_host_device_scalarIT0_EES1_PKS1_PKT1_SA_S7_PKT3_PKT4_S5_PT5_21rocsparse_index_base_b
; %bb.0:
	s_load_dwordx2 s[14:15], s[4:5], 0x58
	s_load_dwordx2 s[8:9], s[4:5], 0x8
	s_mov_b64 s[10:11], -1
	s_waitcnt lgkmcnt(0)
	s_bitcmp1_b32 s15, 0
	s_cselect_b64 s[0:1], -1, 0
	s_xor_b64 s[2:3], s[0:1], -1
	s_and_b64 vcc, exec, s[2:3]
                                        ; implicit-def: $sgpr15
	s_cbranch_vccnz .LBB217_4
; %bb.1:
	s_load_dwordx2 s[0:1], s[4:5], 0x48
	s_andn2_b64 vcc, exec, s[10:11]
	s_cbranch_vccz .LBB217_5
.LBB217_2:
	s_and_b64 vcc, exec, s[2:3]
	s_cbranch_vccz .LBB217_6
.LBB217_3:
	s_waitcnt lgkmcnt(0)
	s_load_dword s22, s[0:1], 0x0
	s_cbranch_execz .LBB217_7
	s_branch .LBB217_8
.LBB217_4:
	s_load_dword s15, s[8:9], 0x0
	s_load_dwordx2 s[0:1], s[4:5], 0x48
	s_cbranch_execnz .LBB217_2
.LBB217_5:
	s_waitcnt lgkmcnt(0)
	s_mov_b32 s15, s8
	s_and_b64 vcc, exec, s[2:3]
	s_cbranch_vccnz .LBB217_3
.LBB217_6:
                                        ; implicit-def: $sgpr22
.LBB217_7:
	s_waitcnt lgkmcnt(0)
	s_mov_b32 s22, s0
.LBB217_8:
	s_waitcnt lgkmcnt(0)
	s_cmp_lg_u32 s15, 0
	s_cselect_b64 s[0:1], -1, 0
	s_cmp_lg_u32 s22, 1
	s_cselect_b64 s[2:3], -1, 0
	s_or_b64 s[0:1], s[0:1], s[2:3]
	s_andn2_b64 vcc, exec, s[0:1]
	s_cbranch_vccnz .LBB217_44
; %bb.9:
	s_load_dwordx4 s[0:3], s[4:5], 0x18
	s_load_dwordx2 s[8:9], s[4:5], 0x28
	s_waitcnt lgkmcnt(0)
	s_cmp_eq_u64 s[0:1], 0
	s_cbranch_scc1 .LBB217_11
; %bb.10:
	s_ashr_i32 s7, s6, 31
	s_lshl_b64 s[6:7], s[6:7], 2
	s_add_u32 s0, s0, s6
	s_addc_u32 s1, s1, s7
	s_load_dword s0, s[0:1], 0x0
	s_waitcnt lgkmcnt(0)
	s_sub_i32 s6, s0, s14
.LBB217_11:
	s_load_dword s7, s[4:5], 0x4
	s_load_dwordx2 s[12:13], s[4:5], 0x50
	v_mul_u32_u24_e32 v1, 0x9d9, v0
	v_mov_b32_e32 v2, 26
	v_mul_lo_u16_sdwa v2, v1, v2 dst_sel:DWORD dst_unused:UNUSED_PAD src0_sel:WORD_1 src1_sel:DWORD
	s_waitcnt lgkmcnt(0)
	s_cmp_eq_u32 s7, 1
	s_cselect_b64 s[0:1], -1, 0
	s_cmp_lg_u32 s7, 1
	s_cselect_b64 s[16:17], -1, 0
	s_ashr_i32 s7, s6, 31
	s_lshl_b64 s[10:11], s[6:7], 3
	s_add_u32 s2, s2, s10
	s_addc_u32 s3, s3, s11
	s_add_u32 s7, s2, 8
	s_addc_u32 s18, s3, 0
	;; [unrolled: 2-line block ×3, first 2 shown]
	s_cmp_eq_u64 s[8:9], 0
	s_cselect_b32 s9, s18, s11
	s_cselect_b32 s8, s7, s10
	s_load_dwordx2 s[18:19], s[8:9], 0x0
	s_load_dwordx2 s[20:21], s[2:3], 0x0
	v_sub_u16_e32 v9, v0, v2
	v_mov_b32_e32 v8, 0
	s_waitcnt lgkmcnt(0)
	v_mov_b32_e32 v2, s18
	v_mov_b32_e32 v3, s19
	v_cmp_ge_i64_e32 vcc, s[20:21], v[2:3]
	s_cbranch_vccnz .LBB217_16
; %bb.12:
	s_load_dwordx4 s[8:11], s[4:5], 0x30
	s_load_dwordx2 s[2:3], s[4:5], 0x40
	s_sub_u32 s4, s18, s14
	s_mov_b32 s7, 0xffff
	s_subb_u32 s5, s19, 0
	s_movk_i32 s18, 0x2a4
	v_and_b32_sdwa v1, s7, v1 dst_sel:DWORD dst_unused:UNUSED_PAD src0_sel:DWORD src1_sel:WORD_1
	v_subrev_u32_e32 v2, 26, v1
	v_cmp_gt_u32_e32 vcc, s18, v0
	s_sub_u32 s18, s20, s14
	v_cndmask_b32_e32 v1, v2, v1, vcc
	s_subb_u32 s19, s21, 0
	v_cndmask_b32_e64 v1, v9, v1, s[0:1]
	s_mul_i32 s0, s19, 0x2a4
	s_mul_hi_u32 s1, s18, 0x2a4
	s_add_i32 s1, s1, s0
	s_mul_i32 s0, s18, 0x2a4
	s_waitcnt lgkmcnt(0)
	s_add_u32 s0, s10, s0
	s_addc_u32 s1, s11, s1
	v_mov_b32_e32 v3, s1
	v_add_co_u32_e32 v2, vcc, s0, v0
	v_addc_co_u32_e32 v3, vcc, 0, v3, vcc
	s_movk_i32 s0, 0x2a3
	v_cmp_lt_u32_e32 vcc, s0, v0
	v_cndmask_b32_e64 v10, 0, 1, vcc
	v_mov_b32_e32 v4, s21
	v_add_co_u32_e32 v5, vcc, s20, v10
	v_addc_co_u32_e32 v6, vcc, 0, v4, vcc
	v_subrev_co_u32_e32 v4, vcc, s14, v5
	v_subbrev_co_u32_e32 v5, vcc, 0, v6, vcc
	v_lshlrev_b64 v[4:5], 2, v[4:5]
	v_mov_b32_e32 v6, s9
	v_add_co_u32_e32 v4, vcc, s8, v4
	v_addc_co_u32_e32 v5, vcc, v6, v5, vcc
	v_mov_b32_e32 v7, s5
	v_mov_b32_e32 v8, 0
	;; [unrolled: 1-line block ×3, first 2 shown]
	s_branch .LBB217_14
.LBB217_13:                             ;   in Loop: Header=BB217_14 Depth=1
	s_or_b64 exec, exec, s[0:1]
	s_add_u32 s18, s18, 1
	s_addc_u32 s19, s19, 0
	v_cmp_lt_i64_e32 vcc, s[18:19], v[6:7]
	v_add_co_u32_e64 v4, s[0:1], 4, v4
	v_addc_co_u32_e64 v5, s[0:1], 0, v5, s[0:1]
	s_cbranch_vccz .LBB217_16
.LBB217_14:                             ; =>This Inner Loop Header: Depth=1
	v_mov_b32_e32 v12, s19
	v_add_co_u32_e32 v11, vcc, s18, v10
	v_addc_co_u32_e32 v12, vcc, 0, v12, vcc
	v_cmp_gt_i64_e32 vcc, s[4:5], v[11:12]
	s_and_saveexec_b64 s[0:1], vcc
	s_cbranch_execz .LBB217_13
; %bb.15:                               ;   in Loop: Header=BB217_14 Depth=1
	global_load_dword v11, v[4:5], off
	global_load_sbyte v13, v[2:3], off
	s_waitcnt vmcnt(1)
	v_subrev_u32_e32 v11, s14, v11
	v_mad_u64_u32 v[11:12], s[8:9], v11, 26, v[1:2]
	v_mov_b32_e32 v12, s3
	v_ashrrev_i32_e32 v14, 31, v11
	v_add_co_u32_e32 v11, vcc, s2, v11
	v_addc_co_u32_e32 v12, vcc, v12, v14, vcc
	global_load_sbyte v11, v[11:12], off
	v_add_co_u32_e32 v2, vcc, 0x2a4, v2
	v_addc_co_u32_e32 v3, vcc, 0, v3, vcc
	s_waitcnt vmcnt(0)
	v_mad_i32_i24 v8, v11, v13, v8
	s_branch .LBB217_13
.LBB217_16:
	v_lshlrev_b32_e32 v1, 2, v0
	s_and_b64 vcc, exec, s[16:17]
	ds_write_b32 v1, v8
	s_waitcnt lgkmcnt(0)
	s_barrier
	s_cbranch_vccz .LBB217_28
; %bb.17:
	v_cmp_gt_u16_e32 vcc, 10, v9
	s_and_saveexec_b64 s[0:1], vcc
	s_cbranch_execz .LBB217_19
; %bb.18:
	ds_read2_b32 v[2:3], v1 offset1:16
	s_waitcnt lgkmcnt(0)
	v_add_u32_e32 v2, v2, v3
	ds_write_b32 v1, v2
.LBB217_19:
	s_or_b64 exec, exec, s[0:1]
	v_cmp_gt_u16_e32 vcc, 8, v9
	s_waitcnt lgkmcnt(0)
	s_barrier
	s_and_saveexec_b64 s[0:1], vcc
	s_cbranch_execz .LBB217_21
; %bb.20:
	ds_read2_b32 v[2:3], v1 offset1:8
	s_waitcnt lgkmcnt(0)
	v_add_u32_e32 v2, v2, v3
	ds_write_b32 v1, v2
.LBB217_21:
	s_or_b64 exec, exec, s[0:1]
	v_cmp_gt_u16_e32 vcc, 4, v9
	s_waitcnt lgkmcnt(0)
	s_barrier
	s_and_saveexec_b64 s[0:1], vcc
	s_cbranch_execz .LBB217_23
; %bb.22:
	ds_read2_b32 v[2:3], v1 offset1:4
	s_waitcnt lgkmcnt(0)
	v_add_u32_e32 v2, v2, v3
	ds_write_b32 v1, v2
.LBB217_23:
	s_or_b64 exec, exec, s[0:1]
	v_cmp_gt_u16_e32 vcc, 2, v9
	s_waitcnt lgkmcnt(0)
	s_barrier
	s_and_saveexec_b64 s[0:1], vcc
	s_cbranch_execz .LBB217_25
; %bb.24:
	ds_read2_b32 v[2:3], v1 offset1:2
	s_waitcnt lgkmcnt(0)
	v_add_u32_e32 v2, v2, v3
	ds_write_b32 v1, v2
.LBB217_25:
	s_or_b64 exec, exec, s[0:1]
	v_cmp_gt_u32_e32 vcc, 26, v0
	v_mov_b32_e32 v2, v8
	s_waitcnt lgkmcnt(0)
	s_barrier
	s_and_saveexec_b64 s[0:1], vcc
	s_cbranch_execz .LBB217_27
; %bb.26:
	s_movk_i32 s2, 0x64
	v_mad_u32_u24 v2, v0, s2, v1
	ds_read_b64 v[2:3], v2
	s_waitcnt lgkmcnt(0)
	v_add_u32_e32 v2, v3, v2
.LBB217_27:
	s_or_b64 exec, exec, s[0:1]
	s_branch .LBB217_40
.LBB217_28:
                                        ; implicit-def: $vgpr2
	s_cbranch_execz .LBB217_40
; %bb.29:
	s_movk_i32 s0, 0x104
	v_cmp_gt_u32_e32 vcc, s0, v0
	s_and_saveexec_b64 s[0:1], vcc
	s_cbranch_execz .LBB217_31
; %bb.30:
	ds_read_b32 v2, v1 offset:1664
	ds_read_b32 v3, v1
	s_waitcnt lgkmcnt(0)
	v_add_u32_e32 v2, v3, v2
	ds_write_b32 v1, v2
.LBB217_31:
	s_or_b64 exec, exec, s[0:1]
	s_movk_i32 s0, 0xd0
	v_cmp_gt_u32_e32 vcc, s0, v0
	s_waitcnt lgkmcnt(0)
	s_barrier
	s_and_saveexec_b64 s[0:1], vcc
	s_cbranch_execz .LBB217_33
; %bb.32:
	ds_read2_b32 v[2:3], v1 offset1:208
	s_waitcnt lgkmcnt(0)
	v_add_u32_e32 v2, v2, v3
	ds_write_b32 v1, v2
.LBB217_33:
	s_or_b64 exec, exec, s[0:1]
	s_movk_i32 s0, 0x68
	v_cmp_gt_u32_e32 vcc, s0, v0
	s_waitcnt lgkmcnt(0)
	s_barrier
	s_and_saveexec_b64 s[0:1], vcc
	s_cbranch_execz .LBB217_35
; %bb.34:
	ds_read2_b32 v[2:3], v1 offset1:104
	s_waitcnt lgkmcnt(0)
	v_add_u32_e32 v2, v2, v3
	ds_write_b32 v1, v2
.LBB217_35:
	s_or_b64 exec, exec, s[0:1]
	v_cmp_gt_u32_e32 vcc, 52, v0
	s_waitcnt lgkmcnt(0)
	s_barrier
	s_and_saveexec_b64 s[0:1], vcc
	s_cbranch_execz .LBB217_37
; %bb.36:
	ds_read2_b32 v[2:3], v1 offset1:52
	s_waitcnt lgkmcnt(0)
	v_add_u32_e32 v2, v2, v3
	ds_write_b32 v1, v2
.LBB217_37:
	s_or_b64 exec, exec, s[0:1]
	v_cmp_gt_u32_e32 vcc, 26, v0
	s_waitcnt lgkmcnt(0)
	s_and_saveexec_b64 s[0:1], vcc
	s_cbranch_execz .LBB217_39
; %bb.38:
	ds_read2_b32 v[1:2], v1 offset1:26
	s_waitcnt lgkmcnt(0)
	v_add_u32_e32 v8, v2, v1
.LBB217_39:
	s_or_b64 exec, exec, s[0:1]
	v_mov_b32_e32 v2, v8
.LBB217_40:
	v_cmp_gt_u32_e32 vcc, 26, v0
	s_and_saveexec_b64 s[0:1], vcc
	s_cbranch_execz .LBB217_44
; %bb.41:
	v_mul_lo_u32 v1, v2, s15
	s_cmp_eq_u32 s22, 0
	s_cbranch_scc1 .LBB217_45
; %bb.42:
	v_mad_u64_u32 v[2:3], s[0:1], s6, 26, v[0:1]
	v_mov_b32_e32 v3, 0
	v_mov_b32_e32 v4, s13
	v_lshlrev_b64 v[2:3], 2, v[2:3]
	v_add_co_u32_e32 v2, vcc, s12, v2
	v_addc_co_u32_e32 v3, vcc, v4, v3, vcc
	global_load_dword v4, v[2:3], off
	s_waitcnt vmcnt(0)
	v_mad_u64_u32 v[4:5], s[0:1], v4, s22, v[1:2]
	global_store_dword v[2:3], v4, off
	s_cbranch_execnz .LBB217_44
.LBB217_43:
	v_mad_u64_u32 v[2:3], s[0:1], s6, 26, v[0:1]
	v_mov_b32_e32 v3, 0
	v_mov_b32_e32 v0, s13
	v_lshlrev_b64 v[2:3], 2, v[2:3]
	v_add_co_u32_e32 v2, vcc, s12, v2
	v_addc_co_u32_e32 v3, vcc, v0, v3, vcc
	global_store_dword v[2:3], v1, off
.LBB217_44:
	s_endpgm
.LBB217_45:
	s_branch .LBB217_43
	.section	.rodata,"a",@progbits
	.p2align	6, 0x0
	.amdhsa_kernel _ZN9rocsparseL20bsrxmvn_17_32_kernelILj26EiliaaiEEvT2_20rocsparse_direction_NS_24const_host_device_scalarIT0_EES1_PKS1_PKT1_SA_S7_PKT3_PKT4_S5_PT5_21rocsparse_index_base_b
		.amdhsa_group_segment_fixed_size 2704
		.amdhsa_private_segment_fixed_size 0
		.amdhsa_kernarg_size 96
		.amdhsa_user_sgpr_count 6
		.amdhsa_user_sgpr_private_segment_buffer 1
		.amdhsa_user_sgpr_dispatch_ptr 0
		.amdhsa_user_sgpr_queue_ptr 0
		.amdhsa_user_sgpr_kernarg_segment_ptr 1
		.amdhsa_user_sgpr_dispatch_id 0
		.amdhsa_user_sgpr_flat_scratch_init 0
		.amdhsa_user_sgpr_private_segment_size 0
		.amdhsa_uses_dynamic_stack 0
		.amdhsa_system_sgpr_private_segment_wavefront_offset 0
		.amdhsa_system_sgpr_workgroup_id_x 1
		.amdhsa_system_sgpr_workgroup_id_y 0
		.amdhsa_system_sgpr_workgroup_id_z 0
		.amdhsa_system_sgpr_workgroup_info 0
		.amdhsa_system_vgpr_workitem_id 0
		.amdhsa_next_free_vgpr 25
		.amdhsa_next_free_sgpr 61
		.amdhsa_reserve_vcc 1
		.amdhsa_reserve_flat_scratch 0
		.amdhsa_float_round_mode_32 0
		.amdhsa_float_round_mode_16_64 0
		.amdhsa_float_denorm_mode_32 3
		.amdhsa_float_denorm_mode_16_64 3
		.amdhsa_dx10_clamp 1
		.amdhsa_ieee_mode 1
		.amdhsa_fp16_overflow 0
		.amdhsa_exception_fp_ieee_invalid_op 0
		.amdhsa_exception_fp_denorm_src 0
		.amdhsa_exception_fp_ieee_div_zero 0
		.amdhsa_exception_fp_ieee_overflow 0
		.amdhsa_exception_fp_ieee_underflow 0
		.amdhsa_exception_fp_ieee_inexact 0
		.amdhsa_exception_int_div_zero 0
	.end_amdhsa_kernel
	.section	.text._ZN9rocsparseL20bsrxmvn_17_32_kernelILj26EiliaaiEEvT2_20rocsparse_direction_NS_24const_host_device_scalarIT0_EES1_PKS1_PKT1_SA_S7_PKT3_PKT4_S5_PT5_21rocsparse_index_base_b,"axG",@progbits,_ZN9rocsparseL20bsrxmvn_17_32_kernelILj26EiliaaiEEvT2_20rocsparse_direction_NS_24const_host_device_scalarIT0_EES1_PKS1_PKT1_SA_S7_PKT3_PKT4_S5_PT5_21rocsparse_index_base_b,comdat
.Lfunc_end217:
	.size	_ZN9rocsparseL20bsrxmvn_17_32_kernelILj26EiliaaiEEvT2_20rocsparse_direction_NS_24const_host_device_scalarIT0_EES1_PKS1_PKT1_SA_S7_PKT3_PKT4_S5_PT5_21rocsparse_index_base_b, .Lfunc_end217-_ZN9rocsparseL20bsrxmvn_17_32_kernelILj26EiliaaiEEvT2_20rocsparse_direction_NS_24const_host_device_scalarIT0_EES1_PKS1_PKT1_SA_S7_PKT3_PKT4_S5_PT5_21rocsparse_index_base_b
                                        ; -- End function
	.set _ZN9rocsparseL20bsrxmvn_17_32_kernelILj26EiliaaiEEvT2_20rocsparse_direction_NS_24const_host_device_scalarIT0_EES1_PKS1_PKT1_SA_S7_PKT3_PKT4_S5_PT5_21rocsparse_index_base_b.num_vgpr, 15
	.set _ZN9rocsparseL20bsrxmvn_17_32_kernelILj26EiliaaiEEvT2_20rocsparse_direction_NS_24const_host_device_scalarIT0_EES1_PKS1_PKT1_SA_S7_PKT3_PKT4_S5_PT5_21rocsparse_index_base_b.num_agpr, 0
	.set _ZN9rocsparseL20bsrxmvn_17_32_kernelILj26EiliaaiEEvT2_20rocsparse_direction_NS_24const_host_device_scalarIT0_EES1_PKS1_PKT1_SA_S7_PKT3_PKT4_S5_PT5_21rocsparse_index_base_b.numbered_sgpr, 23
	.set _ZN9rocsparseL20bsrxmvn_17_32_kernelILj26EiliaaiEEvT2_20rocsparse_direction_NS_24const_host_device_scalarIT0_EES1_PKS1_PKT1_SA_S7_PKT3_PKT4_S5_PT5_21rocsparse_index_base_b.num_named_barrier, 0
	.set _ZN9rocsparseL20bsrxmvn_17_32_kernelILj26EiliaaiEEvT2_20rocsparse_direction_NS_24const_host_device_scalarIT0_EES1_PKS1_PKT1_SA_S7_PKT3_PKT4_S5_PT5_21rocsparse_index_base_b.private_seg_size, 0
	.set _ZN9rocsparseL20bsrxmvn_17_32_kernelILj26EiliaaiEEvT2_20rocsparse_direction_NS_24const_host_device_scalarIT0_EES1_PKS1_PKT1_SA_S7_PKT3_PKT4_S5_PT5_21rocsparse_index_base_b.uses_vcc, 1
	.set _ZN9rocsparseL20bsrxmvn_17_32_kernelILj26EiliaaiEEvT2_20rocsparse_direction_NS_24const_host_device_scalarIT0_EES1_PKS1_PKT1_SA_S7_PKT3_PKT4_S5_PT5_21rocsparse_index_base_b.uses_flat_scratch, 0
	.set _ZN9rocsparseL20bsrxmvn_17_32_kernelILj26EiliaaiEEvT2_20rocsparse_direction_NS_24const_host_device_scalarIT0_EES1_PKS1_PKT1_SA_S7_PKT3_PKT4_S5_PT5_21rocsparse_index_base_b.has_dyn_sized_stack, 0
	.set _ZN9rocsparseL20bsrxmvn_17_32_kernelILj26EiliaaiEEvT2_20rocsparse_direction_NS_24const_host_device_scalarIT0_EES1_PKS1_PKT1_SA_S7_PKT3_PKT4_S5_PT5_21rocsparse_index_base_b.has_recursion, 0
	.set _ZN9rocsparseL20bsrxmvn_17_32_kernelILj26EiliaaiEEvT2_20rocsparse_direction_NS_24const_host_device_scalarIT0_EES1_PKS1_PKT1_SA_S7_PKT3_PKT4_S5_PT5_21rocsparse_index_base_b.has_indirect_call, 0
	.section	.AMDGPU.csdata,"",@progbits
; Kernel info:
; codeLenInByte = 1368
; TotalNumSgprs: 27
; NumVgprs: 15
; ScratchSize: 0
; MemoryBound: 0
; FloatMode: 240
; IeeeMode: 1
; LDSByteSize: 2704 bytes/workgroup (compile time only)
; SGPRBlocks: 8
; VGPRBlocks: 6
; NumSGPRsForWavesPerEU: 65
; NumVGPRsForWavesPerEU: 25
; Occupancy: 9
; WaveLimiterHint : 1
; COMPUTE_PGM_RSRC2:SCRATCH_EN: 0
; COMPUTE_PGM_RSRC2:USER_SGPR: 6
; COMPUTE_PGM_RSRC2:TRAP_HANDLER: 0
; COMPUTE_PGM_RSRC2:TGID_X_EN: 1
; COMPUTE_PGM_RSRC2:TGID_Y_EN: 0
; COMPUTE_PGM_RSRC2:TGID_Z_EN: 0
; COMPUTE_PGM_RSRC2:TIDIG_COMP_CNT: 0
	.section	.text._ZN9rocsparseL20bsrxmvn_17_32_kernelILj27EiliaaiEEvT2_20rocsparse_direction_NS_24const_host_device_scalarIT0_EES1_PKS1_PKT1_SA_S7_PKT3_PKT4_S5_PT5_21rocsparse_index_base_b,"axG",@progbits,_ZN9rocsparseL20bsrxmvn_17_32_kernelILj27EiliaaiEEvT2_20rocsparse_direction_NS_24const_host_device_scalarIT0_EES1_PKS1_PKT1_SA_S7_PKT3_PKT4_S5_PT5_21rocsparse_index_base_b,comdat
	.globl	_ZN9rocsparseL20bsrxmvn_17_32_kernelILj27EiliaaiEEvT2_20rocsparse_direction_NS_24const_host_device_scalarIT0_EES1_PKS1_PKT1_SA_S7_PKT3_PKT4_S5_PT5_21rocsparse_index_base_b ; -- Begin function _ZN9rocsparseL20bsrxmvn_17_32_kernelILj27EiliaaiEEvT2_20rocsparse_direction_NS_24const_host_device_scalarIT0_EES1_PKS1_PKT1_SA_S7_PKT3_PKT4_S5_PT5_21rocsparse_index_base_b
	.p2align	8
	.type	_ZN9rocsparseL20bsrxmvn_17_32_kernelILj27EiliaaiEEvT2_20rocsparse_direction_NS_24const_host_device_scalarIT0_EES1_PKS1_PKT1_SA_S7_PKT3_PKT4_S5_PT5_21rocsparse_index_base_b,@function
_ZN9rocsparseL20bsrxmvn_17_32_kernelILj27EiliaaiEEvT2_20rocsparse_direction_NS_24const_host_device_scalarIT0_EES1_PKS1_PKT1_SA_S7_PKT3_PKT4_S5_PT5_21rocsparse_index_base_b: ; @_ZN9rocsparseL20bsrxmvn_17_32_kernelILj27EiliaaiEEvT2_20rocsparse_direction_NS_24const_host_device_scalarIT0_EES1_PKS1_PKT1_SA_S7_PKT3_PKT4_S5_PT5_21rocsparse_index_base_b
; %bb.0:
	s_load_dwordx2 s[14:15], s[4:5], 0x58
	s_load_dwordx2 s[8:9], s[4:5], 0x8
	s_mov_b64 s[10:11], -1
	s_waitcnt lgkmcnt(0)
	s_bitcmp1_b32 s15, 0
	s_cselect_b64 s[0:1], -1, 0
	s_xor_b64 s[2:3], s[0:1], -1
	s_and_b64 vcc, exec, s[2:3]
                                        ; implicit-def: $sgpr15
	s_cbranch_vccnz .LBB218_4
; %bb.1:
	s_load_dwordx2 s[0:1], s[4:5], 0x48
	s_andn2_b64 vcc, exec, s[10:11]
	s_cbranch_vccz .LBB218_5
.LBB218_2:
	s_and_b64 vcc, exec, s[2:3]
	s_cbranch_vccz .LBB218_6
.LBB218_3:
	s_waitcnt lgkmcnt(0)
	s_load_dword s22, s[0:1], 0x0
	s_cbranch_execz .LBB218_7
	s_branch .LBB218_8
.LBB218_4:
	s_load_dword s15, s[8:9], 0x0
	s_load_dwordx2 s[0:1], s[4:5], 0x48
	s_cbranch_execnz .LBB218_2
.LBB218_5:
	s_waitcnt lgkmcnt(0)
	s_mov_b32 s15, s8
	s_and_b64 vcc, exec, s[2:3]
	s_cbranch_vccnz .LBB218_3
.LBB218_6:
                                        ; implicit-def: $sgpr22
.LBB218_7:
	s_waitcnt lgkmcnt(0)
	s_mov_b32 s22, s0
.LBB218_8:
	s_waitcnt lgkmcnt(0)
	s_cmp_lg_u32 s15, 0
	s_cselect_b64 s[0:1], -1, 0
	s_cmp_lg_u32 s22, 1
	s_cselect_b64 s[2:3], -1, 0
	s_or_b64 s[0:1], s[0:1], s[2:3]
	s_andn2_b64 vcc, exec, s[0:1]
	s_cbranch_vccnz .LBB218_44
; %bb.9:
	s_load_dwordx4 s[0:3], s[4:5], 0x18
	s_load_dwordx2 s[8:9], s[4:5], 0x28
	s_waitcnt lgkmcnt(0)
	s_cmp_eq_u64 s[0:1], 0
	s_cbranch_scc1 .LBB218_11
; %bb.10:
	s_ashr_i32 s7, s6, 31
	s_lshl_b64 s[6:7], s[6:7], 2
	s_add_u32 s0, s0, s6
	s_addc_u32 s1, s1, s7
	s_load_dword s0, s[0:1], 0x0
	s_waitcnt lgkmcnt(0)
	s_sub_i32 s6, s0, s14
.LBB218_11:
	s_load_dword s7, s[4:5], 0x4
	s_load_dwordx2 s[12:13], s[4:5], 0x50
	v_mul_u32_u24_e32 v1, 0x97c, v0
	v_mov_b32_e32 v2, 27
	v_mul_lo_u16_sdwa v2, v1, v2 dst_sel:DWORD dst_unused:UNUSED_PAD src0_sel:WORD_1 src1_sel:DWORD
	s_waitcnt lgkmcnt(0)
	s_cmp_eq_u32 s7, 1
	s_cselect_b64 s[0:1], -1, 0
	s_cmp_lg_u32 s7, 1
	s_cselect_b64 s[16:17], -1, 0
	s_ashr_i32 s7, s6, 31
	s_lshl_b64 s[10:11], s[6:7], 3
	s_add_u32 s2, s2, s10
	s_addc_u32 s3, s3, s11
	s_add_u32 s7, s2, 8
	s_addc_u32 s18, s3, 0
	;; [unrolled: 2-line block ×3, first 2 shown]
	s_cmp_eq_u64 s[8:9], 0
	s_cselect_b32 s9, s18, s11
	s_cselect_b32 s8, s7, s10
	s_load_dwordx2 s[18:19], s[8:9], 0x0
	s_load_dwordx2 s[20:21], s[2:3], 0x0
	v_sub_u16_e32 v9, v0, v2
	v_mov_b32_e32 v8, 0
	s_waitcnt lgkmcnt(0)
	v_mov_b32_e32 v2, s18
	v_mov_b32_e32 v3, s19
	v_cmp_ge_i64_e32 vcc, s[20:21], v[2:3]
	s_cbranch_vccnz .LBB218_16
; %bb.12:
	s_load_dwordx4 s[8:11], s[4:5], 0x30
	s_load_dwordx2 s[2:3], s[4:5], 0x40
	s_sub_u32 s4, s18, s14
	s_mov_b32 s7, 0xffff
	s_subb_u32 s5, s19, 0
	s_movk_i32 s18, 0x2d9
	v_and_b32_sdwa v1, s7, v1 dst_sel:DWORD dst_unused:UNUSED_PAD src0_sel:DWORD src1_sel:WORD_1
	v_subrev_u32_e32 v2, 27, v1
	v_cmp_gt_u32_e32 vcc, s18, v0
	s_sub_u32 s18, s20, s14
	v_cndmask_b32_e32 v1, v2, v1, vcc
	s_subb_u32 s19, s21, 0
	v_cndmask_b32_e64 v1, v9, v1, s[0:1]
	s_mul_i32 s0, s19, 0x2d9
	s_mul_hi_u32 s1, s18, 0x2d9
	s_add_i32 s1, s1, s0
	s_mul_i32 s0, s18, 0x2d9
	s_waitcnt lgkmcnt(0)
	s_add_u32 s0, s10, s0
	s_addc_u32 s1, s11, s1
	v_mov_b32_e32 v3, s1
	v_add_co_u32_e32 v2, vcc, s0, v0
	v_addc_co_u32_e32 v3, vcc, 0, v3, vcc
	s_movk_i32 s0, 0x2d8
	v_cmp_lt_u32_e32 vcc, s0, v0
	v_cndmask_b32_e64 v10, 0, 1, vcc
	v_mov_b32_e32 v4, s21
	v_add_co_u32_e32 v5, vcc, s20, v10
	v_addc_co_u32_e32 v6, vcc, 0, v4, vcc
	v_subrev_co_u32_e32 v4, vcc, s14, v5
	v_subbrev_co_u32_e32 v5, vcc, 0, v6, vcc
	v_lshlrev_b64 v[4:5], 2, v[4:5]
	v_mov_b32_e32 v6, s9
	v_add_co_u32_e32 v4, vcc, s8, v4
	v_addc_co_u32_e32 v5, vcc, v6, v5, vcc
	v_mov_b32_e32 v7, s5
	v_mov_b32_e32 v8, 0
	;; [unrolled: 1-line block ×3, first 2 shown]
	s_branch .LBB218_14
.LBB218_13:                             ;   in Loop: Header=BB218_14 Depth=1
	s_or_b64 exec, exec, s[0:1]
	s_add_u32 s18, s18, 1
	s_addc_u32 s19, s19, 0
	v_cmp_lt_i64_e32 vcc, s[18:19], v[6:7]
	v_add_co_u32_e64 v4, s[0:1], 4, v4
	v_addc_co_u32_e64 v5, s[0:1], 0, v5, s[0:1]
	s_cbranch_vccz .LBB218_16
.LBB218_14:                             ; =>This Inner Loop Header: Depth=1
	v_mov_b32_e32 v12, s19
	v_add_co_u32_e32 v11, vcc, s18, v10
	v_addc_co_u32_e32 v12, vcc, 0, v12, vcc
	v_cmp_gt_i64_e32 vcc, s[4:5], v[11:12]
	s_and_saveexec_b64 s[0:1], vcc
	s_cbranch_execz .LBB218_13
; %bb.15:                               ;   in Loop: Header=BB218_14 Depth=1
	global_load_dword v11, v[4:5], off
	global_load_sbyte v13, v[2:3], off
	s_waitcnt vmcnt(1)
	v_subrev_u32_e32 v11, s14, v11
	v_mad_u64_u32 v[11:12], s[8:9], v11, 27, v[1:2]
	v_mov_b32_e32 v12, s3
	v_ashrrev_i32_e32 v14, 31, v11
	v_add_co_u32_e32 v11, vcc, s2, v11
	v_addc_co_u32_e32 v12, vcc, v12, v14, vcc
	global_load_sbyte v11, v[11:12], off
	v_add_co_u32_e32 v2, vcc, 0x2d9, v2
	v_addc_co_u32_e32 v3, vcc, 0, v3, vcc
	s_waitcnt vmcnt(0)
	v_mad_i32_i24 v8, v11, v13, v8
	s_branch .LBB218_13
.LBB218_16:
	v_lshlrev_b32_e32 v1, 2, v0
	s_and_b64 vcc, exec, s[16:17]
	ds_write_b32 v1, v8
	s_waitcnt lgkmcnt(0)
	s_barrier
	s_cbranch_vccz .LBB218_28
; %bb.17:
	v_cmp_gt_u16_e32 vcc, 11, v9
	s_and_saveexec_b64 s[0:1], vcc
	s_cbranch_execz .LBB218_19
; %bb.18:
	ds_read2_b32 v[2:3], v1 offset1:16
	s_waitcnt lgkmcnt(0)
	v_add_u32_e32 v2, v2, v3
	ds_write_b32 v1, v2
.LBB218_19:
	s_or_b64 exec, exec, s[0:1]
	v_cmp_gt_u16_e32 vcc, 8, v9
	s_waitcnt lgkmcnt(0)
	s_barrier
	s_and_saveexec_b64 s[0:1], vcc
	s_cbranch_execz .LBB218_21
; %bb.20:
	ds_read2_b32 v[2:3], v1 offset1:8
	s_waitcnt lgkmcnt(0)
	v_add_u32_e32 v2, v2, v3
	ds_write_b32 v1, v2
.LBB218_21:
	s_or_b64 exec, exec, s[0:1]
	v_cmp_gt_u16_e32 vcc, 4, v9
	s_waitcnt lgkmcnt(0)
	s_barrier
	;; [unrolled: 12-line block ×3, first 2 shown]
	s_and_saveexec_b64 s[0:1], vcc
	s_cbranch_execz .LBB218_25
; %bb.24:
	ds_read2_b32 v[2:3], v1 offset1:2
	s_waitcnt lgkmcnt(0)
	v_add_u32_e32 v2, v2, v3
	ds_write_b32 v1, v2
.LBB218_25:
	s_or_b64 exec, exec, s[0:1]
	v_cmp_gt_u32_e32 vcc, 27, v0
	v_mov_b32_e32 v2, v8
	s_waitcnt lgkmcnt(0)
	s_barrier
	s_and_saveexec_b64 s[0:1], vcc
	s_cbranch_execz .LBB218_27
; %bb.26:
	s_movk_i32 s2, 0x68
	v_mad_u32_u24 v2, v0, s2, v1
	ds_read2_b32 v[2:3], v2 offset1:1
	s_waitcnt lgkmcnt(0)
	v_add_u32_e32 v2, v3, v2
.LBB218_27:
	s_or_b64 exec, exec, s[0:1]
	s_branch .LBB218_40
.LBB218_28:
                                        ; implicit-def: $vgpr2
	s_cbranch_execz .LBB218_40
; %bb.29:
	s_movk_i32 s0, 0x129
	v_cmp_gt_u32_e32 vcc, s0, v0
	s_and_saveexec_b64 s[0:1], vcc
	s_cbranch_execz .LBB218_31
; %bb.30:
	ds_read_b32 v2, v1 offset:1728
	ds_read_b32 v3, v1
	s_waitcnt lgkmcnt(0)
	v_add_u32_e32 v2, v3, v2
	ds_write_b32 v1, v2
.LBB218_31:
	s_or_b64 exec, exec, s[0:1]
	s_movk_i32 s0, 0xd8
	v_cmp_gt_u32_e32 vcc, s0, v0
	s_waitcnt lgkmcnt(0)
	s_barrier
	s_and_saveexec_b64 s[0:1], vcc
	s_cbranch_execz .LBB218_33
; %bb.32:
	ds_read2_b32 v[2:3], v1 offset1:216
	s_waitcnt lgkmcnt(0)
	v_add_u32_e32 v2, v2, v3
	ds_write_b32 v1, v2
.LBB218_33:
	s_or_b64 exec, exec, s[0:1]
	s_movk_i32 s0, 0x6c
	v_cmp_gt_u32_e32 vcc, s0, v0
	s_waitcnt lgkmcnt(0)
	s_barrier
	s_and_saveexec_b64 s[0:1], vcc
	s_cbranch_execz .LBB218_35
; %bb.34:
	ds_read2_b32 v[2:3], v1 offset1:108
	s_waitcnt lgkmcnt(0)
	v_add_u32_e32 v2, v2, v3
	ds_write_b32 v1, v2
.LBB218_35:
	s_or_b64 exec, exec, s[0:1]
	v_cmp_gt_u32_e32 vcc, 54, v0
	s_waitcnt lgkmcnt(0)
	s_barrier
	s_and_saveexec_b64 s[0:1], vcc
	s_cbranch_execz .LBB218_37
; %bb.36:
	ds_read2_b32 v[2:3], v1 offset1:54
	s_waitcnt lgkmcnt(0)
	v_add_u32_e32 v2, v2, v3
	ds_write_b32 v1, v2
.LBB218_37:
	s_or_b64 exec, exec, s[0:1]
	v_cmp_gt_u32_e32 vcc, 27, v0
	s_waitcnt lgkmcnt(0)
	s_and_saveexec_b64 s[0:1], vcc
	s_cbranch_execz .LBB218_39
; %bb.38:
	ds_read2_b32 v[1:2], v1 offset1:27
	s_waitcnt lgkmcnt(0)
	v_add_u32_e32 v8, v2, v1
.LBB218_39:
	s_or_b64 exec, exec, s[0:1]
	v_mov_b32_e32 v2, v8
.LBB218_40:
	v_cmp_gt_u32_e32 vcc, 27, v0
	s_and_saveexec_b64 s[0:1], vcc
	s_cbranch_execz .LBB218_44
; %bb.41:
	v_mul_lo_u32 v1, v2, s15
	s_cmp_eq_u32 s22, 0
	s_cbranch_scc1 .LBB218_45
; %bb.42:
	v_mad_u64_u32 v[2:3], s[0:1], s6, 27, v[0:1]
	v_mov_b32_e32 v3, 0
	v_mov_b32_e32 v4, s13
	v_lshlrev_b64 v[2:3], 2, v[2:3]
	v_add_co_u32_e32 v2, vcc, s12, v2
	v_addc_co_u32_e32 v3, vcc, v4, v3, vcc
	global_load_dword v4, v[2:3], off
	s_waitcnt vmcnt(0)
	v_mad_u64_u32 v[4:5], s[0:1], v4, s22, v[1:2]
	global_store_dword v[2:3], v4, off
	s_cbranch_execnz .LBB218_44
.LBB218_43:
	v_mad_u64_u32 v[2:3], s[0:1], s6, 27, v[0:1]
	v_mov_b32_e32 v3, 0
	v_mov_b32_e32 v0, s13
	v_lshlrev_b64 v[2:3], 2, v[2:3]
	v_add_co_u32_e32 v2, vcc, s12, v2
	v_addc_co_u32_e32 v3, vcc, v0, v3, vcc
	global_store_dword v[2:3], v1, off
.LBB218_44:
	s_endpgm
.LBB218_45:
	s_branch .LBB218_43
	.section	.rodata,"a",@progbits
	.p2align	6, 0x0
	.amdhsa_kernel _ZN9rocsparseL20bsrxmvn_17_32_kernelILj27EiliaaiEEvT2_20rocsparse_direction_NS_24const_host_device_scalarIT0_EES1_PKS1_PKT1_SA_S7_PKT3_PKT4_S5_PT5_21rocsparse_index_base_b
		.amdhsa_group_segment_fixed_size 2916
		.amdhsa_private_segment_fixed_size 0
		.amdhsa_kernarg_size 96
		.amdhsa_user_sgpr_count 6
		.amdhsa_user_sgpr_private_segment_buffer 1
		.amdhsa_user_sgpr_dispatch_ptr 0
		.amdhsa_user_sgpr_queue_ptr 0
		.amdhsa_user_sgpr_kernarg_segment_ptr 1
		.amdhsa_user_sgpr_dispatch_id 0
		.amdhsa_user_sgpr_flat_scratch_init 0
		.amdhsa_user_sgpr_private_segment_size 0
		.amdhsa_uses_dynamic_stack 0
		.amdhsa_system_sgpr_private_segment_wavefront_offset 0
		.amdhsa_system_sgpr_workgroup_id_x 1
		.amdhsa_system_sgpr_workgroup_id_y 0
		.amdhsa_system_sgpr_workgroup_id_z 0
		.amdhsa_system_sgpr_workgroup_info 0
		.amdhsa_system_vgpr_workitem_id 0
		.amdhsa_next_free_vgpr 25
		.amdhsa_next_free_sgpr 61
		.amdhsa_reserve_vcc 1
		.amdhsa_reserve_flat_scratch 0
		.amdhsa_float_round_mode_32 0
		.amdhsa_float_round_mode_16_64 0
		.amdhsa_float_denorm_mode_32 3
		.amdhsa_float_denorm_mode_16_64 3
		.amdhsa_dx10_clamp 1
		.amdhsa_ieee_mode 1
		.amdhsa_fp16_overflow 0
		.amdhsa_exception_fp_ieee_invalid_op 0
		.amdhsa_exception_fp_denorm_src 0
		.amdhsa_exception_fp_ieee_div_zero 0
		.amdhsa_exception_fp_ieee_overflow 0
		.amdhsa_exception_fp_ieee_underflow 0
		.amdhsa_exception_fp_ieee_inexact 0
		.amdhsa_exception_int_div_zero 0
	.end_amdhsa_kernel
	.section	.text._ZN9rocsparseL20bsrxmvn_17_32_kernelILj27EiliaaiEEvT2_20rocsparse_direction_NS_24const_host_device_scalarIT0_EES1_PKS1_PKT1_SA_S7_PKT3_PKT4_S5_PT5_21rocsparse_index_base_b,"axG",@progbits,_ZN9rocsparseL20bsrxmvn_17_32_kernelILj27EiliaaiEEvT2_20rocsparse_direction_NS_24const_host_device_scalarIT0_EES1_PKS1_PKT1_SA_S7_PKT3_PKT4_S5_PT5_21rocsparse_index_base_b,comdat
.Lfunc_end218:
	.size	_ZN9rocsparseL20bsrxmvn_17_32_kernelILj27EiliaaiEEvT2_20rocsparse_direction_NS_24const_host_device_scalarIT0_EES1_PKS1_PKT1_SA_S7_PKT3_PKT4_S5_PT5_21rocsparse_index_base_b, .Lfunc_end218-_ZN9rocsparseL20bsrxmvn_17_32_kernelILj27EiliaaiEEvT2_20rocsparse_direction_NS_24const_host_device_scalarIT0_EES1_PKS1_PKT1_SA_S7_PKT3_PKT4_S5_PT5_21rocsparse_index_base_b
                                        ; -- End function
	.set _ZN9rocsparseL20bsrxmvn_17_32_kernelILj27EiliaaiEEvT2_20rocsparse_direction_NS_24const_host_device_scalarIT0_EES1_PKS1_PKT1_SA_S7_PKT3_PKT4_S5_PT5_21rocsparse_index_base_b.num_vgpr, 15
	.set _ZN9rocsparseL20bsrxmvn_17_32_kernelILj27EiliaaiEEvT2_20rocsparse_direction_NS_24const_host_device_scalarIT0_EES1_PKS1_PKT1_SA_S7_PKT3_PKT4_S5_PT5_21rocsparse_index_base_b.num_agpr, 0
	.set _ZN9rocsparseL20bsrxmvn_17_32_kernelILj27EiliaaiEEvT2_20rocsparse_direction_NS_24const_host_device_scalarIT0_EES1_PKS1_PKT1_SA_S7_PKT3_PKT4_S5_PT5_21rocsparse_index_base_b.numbered_sgpr, 23
	.set _ZN9rocsparseL20bsrxmvn_17_32_kernelILj27EiliaaiEEvT2_20rocsparse_direction_NS_24const_host_device_scalarIT0_EES1_PKS1_PKT1_SA_S7_PKT3_PKT4_S5_PT5_21rocsparse_index_base_b.num_named_barrier, 0
	.set _ZN9rocsparseL20bsrxmvn_17_32_kernelILj27EiliaaiEEvT2_20rocsparse_direction_NS_24const_host_device_scalarIT0_EES1_PKS1_PKT1_SA_S7_PKT3_PKT4_S5_PT5_21rocsparse_index_base_b.private_seg_size, 0
	.set _ZN9rocsparseL20bsrxmvn_17_32_kernelILj27EiliaaiEEvT2_20rocsparse_direction_NS_24const_host_device_scalarIT0_EES1_PKS1_PKT1_SA_S7_PKT3_PKT4_S5_PT5_21rocsparse_index_base_b.uses_vcc, 1
	.set _ZN9rocsparseL20bsrxmvn_17_32_kernelILj27EiliaaiEEvT2_20rocsparse_direction_NS_24const_host_device_scalarIT0_EES1_PKS1_PKT1_SA_S7_PKT3_PKT4_S5_PT5_21rocsparse_index_base_b.uses_flat_scratch, 0
	.set _ZN9rocsparseL20bsrxmvn_17_32_kernelILj27EiliaaiEEvT2_20rocsparse_direction_NS_24const_host_device_scalarIT0_EES1_PKS1_PKT1_SA_S7_PKT3_PKT4_S5_PT5_21rocsparse_index_base_b.has_dyn_sized_stack, 0
	.set _ZN9rocsparseL20bsrxmvn_17_32_kernelILj27EiliaaiEEvT2_20rocsparse_direction_NS_24const_host_device_scalarIT0_EES1_PKS1_PKT1_SA_S7_PKT3_PKT4_S5_PT5_21rocsparse_index_base_b.has_recursion, 0
	.set _ZN9rocsparseL20bsrxmvn_17_32_kernelILj27EiliaaiEEvT2_20rocsparse_direction_NS_24const_host_device_scalarIT0_EES1_PKS1_PKT1_SA_S7_PKT3_PKT4_S5_PT5_21rocsparse_index_base_b.has_indirect_call, 0
	.section	.AMDGPU.csdata,"",@progbits
; Kernel info:
; codeLenInByte = 1368
; TotalNumSgprs: 27
; NumVgprs: 15
; ScratchSize: 0
; MemoryBound: 0
; FloatMode: 240
; IeeeMode: 1
; LDSByteSize: 2916 bytes/workgroup (compile time only)
; SGPRBlocks: 8
; VGPRBlocks: 6
; NumSGPRsForWavesPerEU: 65
; NumVGPRsForWavesPerEU: 25
; Occupancy: 9
; WaveLimiterHint : 1
; COMPUTE_PGM_RSRC2:SCRATCH_EN: 0
; COMPUTE_PGM_RSRC2:USER_SGPR: 6
; COMPUTE_PGM_RSRC2:TRAP_HANDLER: 0
; COMPUTE_PGM_RSRC2:TGID_X_EN: 1
; COMPUTE_PGM_RSRC2:TGID_Y_EN: 0
; COMPUTE_PGM_RSRC2:TGID_Z_EN: 0
; COMPUTE_PGM_RSRC2:TIDIG_COMP_CNT: 0
	.section	.text._ZN9rocsparseL20bsrxmvn_17_32_kernelILj28EiliaaiEEvT2_20rocsparse_direction_NS_24const_host_device_scalarIT0_EES1_PKS1_PKT1_SA_S7_PKT3_PKT4_S5_PT5_21rocsparse_index_base_b,"axG",@progbits,_ZN9rocsparseL20bsrxmvn_17_32_kernelILj28EiliaaiEEvT2_20rocsparse_direction_NS_24const_host_device_scalarIT0_EES1_PKS1_PKT1_SA_S7_PKT3_PKT4_S5_PT5_21rocsparse_index_base_b,comdat
	.globl	_ZN9rocsparseL20bsrxmvn_17_32_kernelILj28EiliaaiEEvT2_20rocsparse_direction_NS_24const_host_device_scalarIT0_EES1_PKS1_PKT1_SA_S7_PKT3_PKT4_S5_PT5_21rocsparse_index_base_b ; -- Begin function _ZN9rocsparseL20bsrxmvn_17_32_kernelILj28EiliaaiEEvT2_20rocsparse_direction_NS_24const_host_device_scalarIT0_EES1_PKS1_PKT1_SA_S7_PKT3_PKT4_S5_PT5_21rocsparse_index_base_b
	.p2align	8
	.type	_ZN9rocsparseL20bsrxmvn_17_32_kernelILj28EiliaaiEEvT2_20rocsparse_direction_NS_24const_host_device_scalarIT0_EES1_PKS1_PKT1_SA_S7_PKT3_PKT4_S5_PT5_21rocsparse_index_base_b,@function
_ZN9rocsparseL20bsrxmvn_17_32_kernelILj28EiliaaiEEvT2_20rocsparse_direction_NS_24const_host_device_scalarIT0_EES1_PKS1_PKT1_SA_S7_PKT3_PKT4_S5_PT5_21rocsparse_index_base_b: ; @_ZN9rocsparseL20bsrxmvn_17_32_kernelILj28EiliaaiEEvT2_20rocsparse_direction_NS_24const_host_device_scalarIT0_EES1_PKS1_PKT1_SA_S7_PKT3_PKT4_S5_PT5_21rocsparse_index_base_b
; %bb.0:
	s_load_dwordx2 s[14:15], s[4:5], 0x58
	s_load_dwordx2 s[8:9], s[4:5], 0x8
	s_mov_b64 s[10:11], -1
	s_waitcnt lgkmcnt(0)
	s_bitcmp1_b32 s15, 0
	s_cselect_b64 s[0:1], -1, 0
	s_xor_b64 s[2:3], s[0:1], -1
	s_and_b64 vcc, exec, s[2:3]
                                        ; implicit-def: $sgpr15
	s_cbranch_vccnz .LBB219_4
; %bb.1:
	s_load_dwordx2 s[0:1], s[4:5], 0x48
	s_andn2_b64 vcc, exec, s[10:11]
	s_cbranch_vccz .LBB219_5
.LBB219_2:
	s_and_b64 vcc, exec, s[2:3]
	s_cbranch_vccz .LBB219_6
.LBB219_3:
	s_waitcnt lgkmcnt(0)
	s_load_dword s22, s[0:1], 0x0
	s_cbranch_execz .LBB219_7
	s_branch .LBB219_8
.LBB219_4:
	s_load_dword s15, s[8:9], 0x0
	s_load_dwordx2 s[0:1], s[4:5], 0x48
	s_cbranch_execnz .LBB219_2
.LBB219_5:
	s_waitcnt lgkmcnt(0)
	s_mov_b32 s15, s8
	s_and_b64 vcc, exec, s[2:3]
	s_cbranch_vccnz .LBB219_3
.LBB219_6:
                                        ; implicit-def: $sgpr22
.LBB219_7:
	s_waitcnt lgkmcnt(0)
	s_mov_b32 s22, s0
.LBB219_8:
	s_waitcnt lgkmcnt(0)
	s_cmp_lg_u32 s15, 0
	s_cselect_b64 s[0:1], -1, 0
	s_cmp_lg_u32 s22, 1
	s_cselect_b64 s[2:3], -1, 0
	s_or_b64 s[0:1], s[0:1], s[2:3]
	s_andn2_b64 vcc, exec, s[0:1]
	s_cbranch_vccnz .LBB219_44
; %bb.9:
	s_load_dwordx4 s[0:3], s[4:5], 0x18
	s_load_dwordx2 s[8:9], s[4:5], 0x28
	s_waitcnt lgkmcnt(0)
	s_cmp_eq_u64 s[0:1], 0
	s_cbranch_scc1 .LBB219_11
; %bb.10:
	s_ashr_i32 s7, s6, 31
	s_lshl_b64 s[6:7], s[6:7], 2
	s_add_u32 s0, s0, s6
	s_addc_u32 s1, s1, s7
	s_load_dword s0, s[0:1], 0x0
	s_waitcnt lgkmcnt(0)
	s_sub_i32 s6, s0, s14
.LBB219_11:
	s_load_dword s7, s[4:5], 0x4
	s_load_dwordx2 s[12:13], s[4:5], 0x50
	v_mul_u32_u24_e32 v1, 0x925, v0
	v_mov_b32_e32 v2, 28
	v_mul_lo_u16_sdwa v2, v1, v2 dst_sel:DWORD dst_unused:UNUSED_PAD src0_sel:WORD_1 src1_sel:DWORD
	s_waitcnt lgkmcnt(0)
	s_cmp_eq_u32 s7, 1
	s_cselect_b64 s[0:1], -1, 0
	s_cmp_lg_u32 s7, 1
	s_cselect_b64 s[16:17], -1, 0
	s_ashr_i32 s7, s6, 31
	s_lshl_b64 s[10:11], s[6:7], 3
	s_add_u32 s2, s2, s10
	s_addc_u32 s3, s3, s11
	s_add_u32 s7, s2, 8
	s_addc_u32 s18, s3, 0
	;; [unrolled: 2-line block ×3, first 2 shown]
	s_cmp_eq_u64 s[8:9], 0
	s_cselect_b32 s9, s18, s11
	s_cselect_b32 s8, s7, s10
	s_load_dwordx2 s[18:19], s[8:9], 0x0
	s_load_dwordx2 s[20:21], s[2:3], 0x0
	v_sub_u16_e32 v9, v0, v2
	v_mov_b32_e32 v8, 0
	s_waitcnt lgkmcnt(0)
	v_mov_b32_e32 v2, s18
	v_mov_b32_e32 v3, s19
	v_cmp_ge_i64_e32 vcc, s[20:21], v[2:3]
	s_cbranch_vccnz .LBB219_16
; %bb.12:
	s_load_dwordx4 s[8:11], s[4:5], 0x30
	s_load_dwordx2 s[2:3], s[4:5], 0x40
	s_sub_u32 s4, s18, s14
	s_mov_b32 s7, 0xffff
	s_subb_u32 s5, s19, 0
	s_movk_i32 s18, 0x310
	v_and_b32_sdwa v1, s7, v1 dst_sel:DWORD dst_unused:UNUSED_PAD src0_sel:DWORD src1_sel:WORD_1
	v_subrev_u32_e32 v2, 28, v1
	v_cmp_gt_u32_e32 vcc, s18, v0
	s_sub_u32 s18, s20, s14
	v_cndmask_b32_e32 v1, v2, v1, vcc
	s_subb_u32 s19, s21, 0
	v_cndmask_b32_e64 v1, v9, v1, s[0:1]
	s_mul_i32 s0, s19, 0x310
	s_mul_hi_u32 s1, s18, 0x310
	s_add_i32 s1, s1, s0
	s_mul_i32 s0, s18, 0x310
	s_waitcnt lgkmcnt(0)
	s_add_u32 s0, s10, s0
	s_addc_u32 s1, s11, s1
	v_mov_b32_e32 v3, s1
	v_add_co_u32_e32 v2, vcc, s0, v0
	v_addc_co_u32_e32 v3, vcc, 0, v3, vcc
	s_movk_i32 s0, 0x30f
	v_cmp_lt_u32_e32 vcc, s0, v0
	v_cndmask_b32_e64 v10, 0, 1, vcc
	v_mov_b32_e32 v4, s21
	v_add_co_u32_e32 v5, vcc, s20, v10
	v_addc_co_u32_e32 v6, vcc, 0, v4, vcc
	v_subrev_co_u32_e32 v4, vcc, s14, v5
	v_subbrev_co_u32_e32 v5, vcc, 0, v6, vcc
	v_lshlrev_b64 v[4:5], 2, v[4:5]
	v_mov_b32_e32 v6, s9
	v_add_co_u32_e32 v4, vcc, s8, v4
	v_addc_co_u32_e32 v5, vcc, v6, v5, vcc
	v_mov_b32_e32 v7, s5
	v_mov_b32_e32 v8, 0
	;; [unrolled: 1-line block ×3, first 2 shown]
	s_branch .LBB219_14
.LBB219_13:                             ;   in Loop: Header=BB219_14 Depth=1
	s_or_b64 exec, exec, s[0:1]
	s_add_u32 s18, s18, 1
	s_addc_u32 s19, s19, 0
	v_cmp_lt_i64_e32 vcc, s[18:19], v[6:7]
	v_add_co_u32_e64 v4, s[0:1], 4, v4
	v_addc_co_u32_e64 v5, s[0:1], 0, v5, s[0:1]
	s_cbranch_vccz .LBB219_16
.LBB219_14:                             ; =>This Inner Loop Header: Depth=1
	v_mov_b32_e32 v12, s19
	v_add_co_u32_e32 v11, vcc, s18, v10
	v_addc_co_u32_e32 v12, vcc, 0, v12, vcc
	v_cmp_gt_i64_e32 vcc, s[4:5], v[11:12]
	s_and_saveexec_b64 s[0:1], vcc
	s_cbranch_execz .LBB219_13
; %bb.15:                               ;   in Loop: Header=BB219_14 Depth=1
	global_load_dword v11, v[4:5], off
	global_load_sbyte v13, v[2:3], off
	s_waitcnt vmcnt(1)
	v_subrev_u32_e32 v11, s14, v11
	v_mad_u64_u32 v[11:12], s[8:9], v11, 28, v[1:2]
	v_mov_b32_e32 v12, s3
	v_ashrrev_i32_e32 v14, 31, v11
	v_add_co_u32_e32 v11, vcc, s2, v11
	v_addc_co_u32_e32 v12, vcc, v12, v14, vcc
	global_load_sbyte v11, v[11:12], off
	v_add_co_u32_e32 v2, vcc, 0x310, v2
	v_addc_co_u32_e32 v3, vcc, 0, v3, vcc
	s_waitcnt vmcnt(0)
	v_mad_i32_i24 v8, v11, v13, v8
	s_branch .LBB219_13
.LBB219_16:
	v_lshlrev_b32_e32 v1, 2, v0
	s_and_b64 vcc, exec, s[16:17]
	ds_write_b32 v1, v8
	s_waitcnt lgkmcnt(0)
	s_barrier
	s_cbranch_vccz .LBB219_28
; %bb.17:
	v_cmp_gt_u16_e32 vcc, 12, v9
	s_and_saveexec_b64 s[0:1], vcc
	s_cbranch_execz .LBB219_19
; %bb.18:
	ds_read2_b32 v[2:3], v1 offset1:16
	s_waitcnt lgkmcnt(0)
	v_add_u32_e32 v2, v2, v3
	ds_write_b32 v1, v2
.LBB219_19:
	s_or_b64 exec, exec, s[0:1]
	v_cmp_gt_u16_e32 vcc, 8, v9
	s_waitcnt lgkmcnt(0)
	s_barrier
	s_and_saveexec_b64 s[0:1], vcc
	s_cbranch_execz .LBB219_21
; %bb.20:
	ds_read2_b32 v[2:3], v1 offset1:8
	s_waitcnt lgkmcnt(0)
	v_add_u32_e32 v2, v2, v3
	ds_write_b32 v1, v2
.LBB219_21:
	s_or_b64 exec, exec, s[0:1]
	v_cmp_gt_u16_e32 vcc, 4, v9
	s_waitcnt lgkmcnt(0)
	s_barrier
	;; [unrolled: 12-line block ×3, first 2 shown]
	s_and_saveexec_b64 s[0:1], vcc
	s_cbranch_execz .LBB219_25
; %bb.24:
	ds_read2_b32 v[2:3], v1 offset1:2
	s_waitcnt lgkmcnt(0)
	v_add_u32_e32 v2, v2, v3
	ds_write_b32 v1, v2
.LBB219_25:
	s_or_b64 exec, exec, s[0:1]
	v_cmp_gt_u32_e32 vcc, 28, v0
	v_mov_b32_e32 v2, v8
	s_waitcnt lgkmcnt(0)
	s_barrier
	s_and_saveexec_b64 s[0:1], vcc
	s_cbranch_execz .LBB219_27
; %bb.26:
	s_movk_i32 s2, 0x6c
	v_mad_u32_u24 v2, v0, s2, v1
	ds_read_b64 v[2:3], v2
	s_waitcnt lgkmcnt(0)
	v_add_u32_e32 v2, v3, v2
.LBB219_27:
	s_or_b64 exec, exec, s[0:1]
	s_branch .LBB219_40
.LBB219_28:
                                        ; implicit-def: $vgpr2
	s_cbranch_execz .LBB219_40
; %bb.29:
	s_movk_i32 s0, 0x150
	v_cmp_gt_u32_e32 vcc, s0, v0
	s_and_saveexec_b64 s[0:1], vcc
	s_cbranch_execz .LBB219_31
; %bb.30:
	ds_read2st64_b32 v[2:3], v1 offset1:7
	s_waitcnt lgkmcnt(0)
	v_add_u32_e32 v2, v2, v3
	ds_write_b32 v1, v2
.LBB219_31:
	s_or_b64 exec, exec, s[0:1]
	s_movk_i32 s0, 0xe0
	v_cmp_gt_u32_e32 vcc, s0, v0
	s_waitcnt lgkmcnt(0)
	s_barrier
	s_and_saveexec_b64 s[0:1], vcc
	s_cbranch_execz .LBB219_33
; %bb.32:
	ds_read2_b32 v[2:3], v1 offset1:224
	s_waitcnt lgkmcnt(0)
	v_add_u32_e32 v2, v2, v3
	ds_write_b32 v1, v2
.LBB219_33:
	s_or_b64 exec, exec, s[0:1]
	s_movk_i32 s0, 0x70
	v_cmp_gt_u32_e32 vcc, s0, v0
	s_waitcnt lgkmcnt(0)
	s_barrier
	s_and_saveexec_b64 s[0:1], vcc
	s_cbranch_execz .LBB219_35
; %bb.34:
	ds_read2_b32 v[2:3], v1 offset1:112
	s_waitcnt lgkmcnt(0)
	v_add_u32_e32 v2, v2, v3
	ds_write_b32 v1, v2
.LBB219_35:
	s_or_b64 exec, exec, s[0:1]
	v_cmp_gt_u32_e32 vcc, 56, v0
	s_waitcnt lgkmcnt(0)
	s_barrier
	s_and_saveexec_b64 s[0:1], vcc
	s_cbranch_execz .LBB219_37
; %bb.36:
	ds_read2_b32 v[2:3], v1 offset1:56
	s_waitcnt lgkmcnt(0)
	v_add_u32_e32 v2, v2, v3
	ds_write_b32 v1, v2
.LBB219_37:
	s_or_b64 exec, exec, s[0:1]
	v_cmp_gt_u32_e32 vcc, 28, v0
	s_waitcnt lgkmcnt(0)
	s_and_saveexec_b64 s[0:1], vcc
	s_cbranch_execz .LBB219_39
; %bb.38:
	ds_read2_b32 v[1:2], v1 offset1:28
	s_waitcnt lgkmcnt(0)
	v_add_u32_e32 v8, v2, v1
.LBB219_39:
	s_or_b64 exec, exec, s[0:1]
	v_mov_b32_e32 v2, v8
.LBB219_40:
	v_cmp_gt_u32_e32 vcc, 28, v0
	s_and_saveexec_b64 s[0:1], vcc
	s_cbranch_execz .LBB219_44
; %bb.41:
	v_mul_lo_u32 v1, v2, s15
	s_cmp_eq_u32 s22, 0
	s_cbranch_scc1 .LBB219_45
; %bb.42:
	v_mad_u64_u32 v[2:3], s[0:1], s6, 28, v[0:1]
	v_mov_b32_e32 v3, 0
	v_mov_b32_e32 v4, s13
	v_lshlrev_b64 v[2:3], 2, v[2:3]
	v_add_co_u32_e32 v2, vcc, s12, v2
	v_addc_co_u32_e32 v3, vcc, v4, v3, vcc
	global_load_dword v4, v[2:3], off
	s_waitcnt vmcnt(0)
	v_mad_u64_u32 v[4:5], s[0:1], v4, s22, v[1:2]
	global_store_dword v[2:3], v4, off
	s_cbranch_execnz .LBB219_44
.LBB219_43:
	v_mad_u64_u32 v[2:3], s[0:1], s6, 28, v[0:1]
	v_mov_b32_e32 v3, 0
	v_mov_b32_e32 v0, s13
	v_lshlrev_b64 v[2:3], 2, v[2:3]
	v_add_co_u32_e32 v2, vcc, s12, v2
	v_addc_co_u32_e32 v3, vcc, v0, v3, vcc
	global_store_dword v[2:3], v1, off
.LBB219_44:
	s_endpgm
.LBB219_45:
	s_branch .LBB219_43
	.section	.rodata,"a",@progbits
	.p2align	6, 0x0
	.amdhsa_kernel _ZN9rocsparseL20bsrxmvn_17_32_kernelILj28EiliaaiEEvT2_20rocsparse_direction_NS_24const_host_device_scalarIT0_EES1_PKS1_PKT1_SA_S7_PKT3_PKT4_S5_PT5_21rocsparse_index_base_b
		.amdhsa_group_segment_fixed_size 3136
		.amdhsa_private_segment_fixed_size 0
		.amdhsa_kernarg_size 96
		.amdhsa_user_sgpr_count 6
		.amdhsa_user_sgpr_private_segment_buffer 1
		.amdhsa_user_sgpr_dispatch_ptr 0
		.amdhsa_user_sgpr_queue_ptr 0
		.amdhsa_user_sgpr_kernarg_segment_ptr 1
		.amdhsa_user_sgpr_dispatch_id 0
		.amdhsa_user_sgpr_flat_scratch_init 0
		.amdhsa_user_sgpr_private_segment_size 0
		.amdhsa_uses_dynamic_stack 0
		.amdhsa_system_sgpr_private_segment_wavefront_offset 0
		.amdhsa_system_sgpr_workgroup_id_x 1
		.amdhsa_system_sgpr_workgroup_id_y 0
		.amdhsa_system_sgpr_workgroup_id_z 0
		.amdhsa_system_sgpr_workgroup_info 0
		.amdhsa_system_vgpr_workitem_id 0
		.amdhsa_next_free_vgpr 15
		.amdhsa_next_free_sgpr 23
		.amdhsa_reserve_vcc 1
		.amdhsa_reserve_flat_scratch 0
		.amdhsa_float_round_mode_32 0
		.amdhsa_float_round_mode_16_64 0
		.amdhsa_float_denorm_mode_32 3
		.amdhsa_float_denorm_mode_16_64 3
		.amdhsa_dx10_clamp 1
		.amdhsa_ieee_mode 1
		.amdhsa_fp16_overflow 0
		.amdhsa_exception_fp_ieee_invalid_op 0
		.amdhsa_exception_fp_denorm_src 0
		.amdhsa_exception_fp_ieee_div_zero 0
		.amdhsa_exception_fp_ieee_overflow 0
		.amdhsa_exception_fp_ieee_underflow 0
		.amdhsa_exception_fp_ieee_inexact 0
		.amdhsa_exception_int_div_zero 0
	.end_amdhsa_kernel
	.section	.text._ZN9rocsparseL20bsrxmvn_17_32_kernelILj28EiliaaiEEvT2_20rocsparse_direction_NS_24const_host_device_scalarIT0_EES1_PKS1_PKT1_SA_S7_PKT3_PKT4_S5_PT5_21rocsparse_index_base_b,"axG",@progbits,_ZN9rocsparseL20bsrxmvn_17_32_kernelILj28EiliaaiEEvT2_20rocsparse_direction_NS_24const_host_device_scalarIT0_EES1_PKS1_PKT1_SA_S7_PKT3_PKT4_S5_PT5_21rocsparse_index_base_b,comdat
.Lfunc_end219:
	.size	_ZN9rocsparseL20bsrxmvn_17_32_kernelILj28EiliaaiEEvT2_20rocsparse_direction_NS_24const_host_device_scalarIT0_EES1_PKS1_PKT1_SA_S7_PKT3_PKT4_S5_PT5_21rocsparse_index_base_b, .Lfunc_end219-_ZN9rocsparseL20bsrxmvn_17_32_kernelILj28EiliaaiEEvT2_20rocsparse_direction_NS_24const_host_device_scalarIT0_EES1_PKS1_PKT1_SA_S7_PKT3_PKT4_S5_PT5_21rocsparse_index_base_b
                                        ; -- End function
	.set _ZN9rocsparseL20bsrxmvn_17_32_kernelILj28EiliaaiEEvT2_20rocsparse_direction_NS_24const_host_device_scalarIT0_EES1_PKS1_PKT1_SA_S7_PKT3_PKT4_S5_PT5_21rocsparse_index_base_b.num_vgpr, 15
	.set _ZN9rocsparseL20bsrxmvn_17_32_kernelILj28EiliaaiEEvT2_20rocsparse_direction_NS_24const_host_device_scalarIT0_EES1_PKS1_PKT1_SA_S7_PKT3_PKT4_S5_PT5_21rocsparse_index_base_b.num_agpr, 0
	.set _ZN9rocsparseL20bsrxmvn_17_32_kernelILj28EiliaaiEEvT2_20rocsparse_direction_NS_24const_host_device_scalarIT0_EES1_PKS1_PKT1_SA_S7_PKT3_PKT4_S5_PT5_21rocsparse_index_base_b.numbered_sgpr, 23
	.set _ZN9rocsparseL20bsrxmvn_17_32_kernelILj28EiliaaiEEvT2_20rocsparse_direction_NS_24const_host_device_scalarIT0_EES1_PKS1_PKT1_SA_S7_PKT3_PKT4_S5_PT5_21rocsparse_index_base_b.num_named_barrier, 0
	.set _ZN9rocsparseL20bsrxmvn_17_32_kernelILj28EiliaaiEEvT2_20rocsparse_direction_NS_24const_host_device_scalarIT0_EES1_PKS1_PKT1_SA_S7_PKT3_PKT4_S5_PT5_21rocsparse_index_base_b.private_seg_size, 0
	.set _ZN9rocsparseL20bsrxmvn_17_32_kernelILj28EiliaaiEEvT2_20rocsparse_direction_NS_24const_host_device_scalarIT0_EES1_PKS1_PKT1_SA_S7_PKT3_PKT4_S5_PT5_21rocsparse_index_base_b.uses_vcc, 1
	.set _ZN9rocsparseL20bsrxmvn_17_32_kernelILj28EiliaaiEEvT2_20rocsparse_direction_NS_24const_host_device_scalarIT0_EES1_PKS1_PKT1_SA_S7_PKT3_PKT4_S5_PT5_21rocsparse_index_base_b.uses_flat_scratch, 0
	.set _ZN9rocsparseL20bsrxmvn_17_32_kernelILj28EiliaaiEEvT2_20rocsparse_direction_NS_24const_host_device_scalarIT0_EES1_PKS1_PKT1_SA_S7_PKT3_PKT4_S5_PT5_21rocsparse_index_base_b.has_dyn_sized_stack, 0
	.set _ZN9rocsparseL20bsrxmvn_17_32_kernelILj28EiliaaiEEvT2_20rocsparse_direction_NS_24const_host_device_scalarIT0_EES1_PKS1_PKT1_SA_S7_PKT3_PKT4_S5_PT5_21rocsparse_index_base_b.has_recursion, 0
	.set _ZN9rocsparseL20bsrxmvn_17_32_kernelILj28EiliaaiEEvT2_20rocsparse_direction_NS_24const_host_device_scalarIT0_EES1_PKS1_PKT1_SA_S7_PKT3_PKT4_S5_PT5_21rocsparse_index_base_b.has_indirect_call, 0
	.section	.AMDGPU.csdata,"",@progbits
; Kernel info:
; codeLenInByte = 1360
; TotalNumSgprs: 27
; NumVgprs: 15
; ScratchSize: 0
; MemoryBound: 0
; FloatMode: 240
; IeeeMode: 1
; LDSByteSize: 3136 bytes/workgroup (compile time only)
; SGPRBlocks: 3
; VGPRBlocks: 3
; NumSGPRsForWavesPerEU: 27
; NumVGPRsForWavesPerEU: 15
; Occupancy: 10
; WaveLimiterHint : 1
; COMPUTE_PGM_RSRC2:SCRATCH_EN: 0
; COMPUTE_PGM_RSRC2:USER_SGPR: 6
; COMPUTE_PGM_RSRC2:TRAP_HANDLER: 0
; COMPUTE_PGM_RSRC2:TGID_X_EN: 1
; COMPUTE_PGM_RSRC2:TGID_Y_EN: 0
; COMPUTE_PGM_RSRC2:TGID_Z_EN: 0
; COMPUTE_PGM_RSRC2:TIDIG_COMP_CNT: 0
	.section	.text._ZN9rocsparseL20bsrxmvn_17_32_kernelILj29EiliaaiEEvT2_20rocsparse_direction_NS_24const_host_device_scalarIT0_EES1_PKS1_PKT1_SA_S7_PKT3_PKT4_S5_PT5_21rocsparse_index_base_b,"axG",@progbits,_ZN9rocsparseL20bsrxmvn_17_32_kernelILj29EiliaaiEEvT2_20rocsparse_direction_NS_24const_host_device_scalarIT0_EES1_PKS1_PKT1_SA_S7_PKT3_PKT4_S5_PT5_21rocsparse_index_base_b,comdat
	.globl	_ZN9rocsparseL20bsrxmvn_17_32_kernelILj29EiliaaiEEvT2_20rocsparse_direction_NS_24const_host_device_scalarIT0_EES1_PKS1_PKT1_SA_S7_PKT3_PKT4_S5_PT5_21rocsparse_index_base_b ; -- Begin function _ZN9rocsparseL20bsrxmvn_17_32_kernelILj29EiliaaiEEvT2_20rocsparse_direction_NS_24const_host_device_scalarIT0_EES1_PKS1_PKT1_SA_S7_PKT3_PKT4_S5_PT5_21rocsparse_index_base_b
	.p2align	8
	.type	_ZN9rocsparseL20bsrxmvn_17_32_kernelILj29EiliaaiEEvT2_20rocsparse_direction_NS_24const_host_device_scalarIT0_EES1_PKS1_PKT1_SA_S7_PKT3_PKT4_S5_PT5_21rocsparse_index_base_b,@function
_ZN9rocsparseL20bsrxmvn_17_32_kernelILj29EiliaaiEEvT2_20rocsparse_direction_NS_24const_host_device_scalarIT0_EES1_PKS1_PKT1_SA_S7_PKT3_PKT4_S5_PT5_21rocsparse_index_base_b: ; @_ZN9rocsparseL20bsrxmvn_17_32_kernelILj29EiliaaiEEvT2_20rocsparse_direction_NS_24const_host_device_scalarIT0_EES1_PKS1_PKT1_SA_S7_PKT3_PKT4_S5_PT5_21rocsparse_index_base_b
; %bb.0:
	s_load_dwordx2 s[14:15], s[4:5], 0x58
	s_load_dwordx2 s[8:9], s[4:5], 0x8
	s_mov_b64 s[10:11], -1
	s_waitcnt lgkmcnt(0)
	s_bitcmp1_b32 s15, 0
	s_cselect_b64 s[0:1], -1, 0
	s_xor_b64 s[2:3], s[0:1], -1
	s_and_b64 vcc, exec, s[2:3]
                                        ; implicit-def: $sgpr15
	s_cbranch_vccnz .LBB220_4
; %bb.1:
	s_load_dwordx2 s[0:1], s[4:5], 0x48
	s_andn2_b64 vcc, exec, s[10:11]
	s_cbranch_vccz .LBB220_5
.LBB220_2:
	s_and_b64 vcc, exec, s[2:3]
	s_cbranch_vccz .LBB220_6
.LBB220_3:
	s_waitcnt lgkmcnt(0)
	s_load_dword s22, s[0:1], 0x0
	s_cbranch_execz .LBB220_7
	s_branch .LBB220_8
.LBB220_4:
	s_load_dword s15, s[8:9], 0x0
	s_load_dwordx2 s[0:1], s[4:5], 0x48
	s_cbranch_execnz .LBB220_2
.LBB220_5:
	s_waitcnt lgkmcnt(0)
	s_mov_b32 s15, s8
	s_and_b64 vcc, exec, s[2:3]
	s_cbranch_vccnz .LBB220_3
.LBB220_6:
                                        ; implicit-def: $sgpr22
.LBB220_7:
	s_waitcnt lgkmcnt(0)
	s_mov_b32 s22, s0
.LBB220_8:
	s_waitcnt lgkmcnt(0)
	s_cmp_lg_u32 s15, 0
	s_cselect_b64 s[0:1], -1, 0
	s_cmp_lg_u32 s22, 1
	s_cselect_b64 s[2:3], -1, 0
	s_or_b64 s[0:1], s[0:1], s[2:3]
	s_andn2_b64 vcc, exec, s[0:1]
	s_cbranch_vccnz .LBB220_44
; %bb.9:
	s_load_dwordx4 s[0:3], s[4:5], 0x18
	s_load_dwordx2 s[8:9], s[4:5], 0x28
	s_waitcnt lgkmcnt(0)
	s_cmp_eq_u64 s[0:1], 0
	s_cbranch_scc1 .LBB220_11
; %bb.10:
	s_ashr_i32 s7, s6, 31
	s_lshl_b64 s[6:7], s[6:7], 2
	s_add_u32 s0, s0, s6
	s_addc_u32 s1, s1, s7
	s_load_dword s0, s[0:1], 0x0
	s_waitcnt lgkmcnt(0)
	s_sub_i32 s6, s0, s14
.LBB220_11:
	s_load_dword s7, s[4:5], 0x4
	s_load_dwordx2 s[12:13], s[4:5], 0x50
	v_mul_u32_u24_e32 v1, 0x8d4, v0
	v_mov_b32_e32 v2, 29
	v_mul_lo_u16_sdwa v2, v1, v2 dst_sel:DWORD dst_unused:UNUSED_PAD src0_sel:WORD_1 src1_sel:DWORD
	s_waitcnt lgkmcnt(0)
	s_cmp_eq_u32 s7, 1
	s_cselect_b64 s[0:1], -1, 0
	s_cmp_lg_u32 s7, 1
	s_cselect_b64 s[16:17], -1, 0
	s_ashr_i32 s7, s6, 31
	s_lshl_b64 s[10:11], s[6:7], 3
	s_add_u32 s2, s2, s10
	s_addc_u32 s3, s3, s11
	s_add_u32 s7, s2, 8
	s_addc_u32 s18, s3, 0
	;; [unrolled: 2-line block ×3, first 2 shown]
	s_cmp_eq_u64 s[8:9], 0
	s_cselect_b32 s9, s18, s11
	s_cselect_b32 s8, s7, s10
	s_load_dwordx2 s[18:19], s[8:9], 0x0
	s_load_dwordx2 s[20:21], s[2:3], 0x0
	v_sub_u16_e32 v9, v0, v2
	v_mov_b32_e32 v8, 0
	s_waitcnt lgkmcnt(0)
	v_mov_b32_e32 v2, s18
	v_mov_b32_e32 v3, s19
	v_cmp_ge_i64_e32 vcc, s[20:21], v[2:3]
	s_cbranch_vccnz .LBB220_16
; %bb.12:
	s_load_dwordx4 s[8:11], s[4:5], 0x30
	s_load_dwordx2 s[2:3], s[4:5], 0x40
	s_sub_u32 s4, s18, s14
	s_mov_b32 s7, 0xffff
	s_subb_u32 s5, s19, 0
	s_movk_i32 s18, 0x349
	v_and_b32_sdwa v1, s7, v1 dst_sel:DWORD dst_unused:UNUSED_PAD src0_sel:DWORD src1_sel:WORD_1
	v_subrev_u32_e32 v2, 29, v1
	v_cmp_gt_u32_e32 vcc, s18, v0
	s_sub_u32 s18, s20, s14
	v_cndmask_b32_e32 v1, v2, v1, vcc
	s_subb_u32 s19, s21, 0
	v_cndmask_b32_e64 v1, v9, v1, s[0:1]
	s_mul_i32 s0, s19, 0x349
	s_mul_hi_u32 s1, s18, 0x349
	s_add_i32 s1, s1, s0
	s_mul_i32 s0, s18, 0x349
	s_waitcnt lgkmcnt(0)
	s_add_u32 s0, s10, s0
	s_addc_u32 s1, s11, s1
	v_mov_b32_e32 v3, s1
	v_add_co_u32_e32 v2, vcc, s0, v0
	v_addc_co_u32_e32 v3, vcc, 0, v3, vcc
	s_movk_i32 s0, 0x348
	v_cmp_lt_u32_e32 vcc, s0, v0
	v_cndmask_b32_e64 v10, 0, 1, vcc
	v_mov_b32_e32 v4, s21
	v_add_co_u32_e32 v5, vcc, s20, v10
	v_addc_co_u32_e32 v6, vcc, 0, v4, vcc
	v_subrev_co_u32_e32 v4, vcc, s14, v5
	v_subbrev_co_u32_e32 v5, vcc, 0, v6, vcc
	v_lshlrev_b64 v[4:5], 2, v[4:5]
	v_mov_b32_e32 v6, s9
	v_add_co_u32_e32 v4, vcc, s8, v4
	v_addc_co_u32_e32 v5, vcc, v6, v5, vcc
	v_mov_b32_e32 v7, s5
	v_mov_b32_e32 v8, 0
	;; [unrolled: 1-line block ×3, first 2 shown]
	s_branch .LBB220_14
.LBB220_13:                             ;   in Loop: Header=BB220_14 Depth=1
	s_or_b64 exec, exec, s[0:1]
	s_add_u32 s18, s18, 1
	s_addc_u32 s19, s19, 0
	v_cmp_lt_i64_e32 vcc, s[18:19], v[6:7]
	v_add_co_u32_e64 v4, s[0:1], 4, v4
	v_addc_co_u32_e64 v5, s[0:1], 0, v5, s[0:1]
	s_cbranch_vccz .LBB220_16
.LBB220_14:                             ; =>This Inner Loop Header: Depth=1
	v_mov_b32_e32 v12, s19
	v_add_co_u32_e32 v11, vcc, s18, v10
	v_addc_co_u32_e32 v12, vcc, 0, v12, vcc
	v_cmp_gt_i64_e32 vcc, s[4:5], v[11:12]
	s_and_saveexec_b64 s[0:1], vcc
	s_cbranch_execz .LBB220_13
; %bb.15:                               ;   in Loop: Header=BB220_14 Depth=1
	global_load_dword v11, v[4:5], off
	global_load_sbyte v13, v[2:3], off
	s_waitcnt vmcnt(1)
	v_subrev_u32_e32 v11, s14, v11
	v_mad_u64_u32 v[11:12], s[8:9], v11, 29, v[1:2]
	v_mov_b32_e32 v12, s3
	v_ashrrev_i32_e32 v14, 31, v11
	v_add_co_u32_e32 v11, vcc, s2, v11
	v_addc_co_u32_e32 v12, vcc, v12, v14, vcc
	global_load_sbyte v11, v[11:12], off
	v_add_co_u32_e32 v2, vcc, 0x349, v2
	v_addc_co_u32_e32 v3, vcc, 0, v3, vcc
	s_waitcnt vmcnt(0)
	v_mad_i32_i24 v8, v11, v13, v8
	s_branch .LBB220_13
.LBB220_16:
	v_lshlrev_b32_e32 v1, 2, v0
	s_and_b64 vcc, exec, s[16:17]
	ds_write_b32 v1, v8
	s_waitcnt lgkmcnt(0)
	s_barrier
	s_cbranch_vccz .LBB220_28
; %bb.17:
	v_cmp_gt_u16_e32 vcc, 13, v9
	s_and_saveexec_b64 s[0:1], vcc
	s_cbranch_execz .LBB220_19
; %bb.18:
	ds_read2_b32 v[2:3], v1 offset1:16
	s_waitcnt lgkmcnt(0)
	v_add_u32_e32 v2, v2, v3
	ds_write_b32 v1, v2
.LBB220_19:
	s_or_b64 exec, exec, s[0:1]
	v_cmp_gt_u16_e32 vcc, 8, v9
	s_waitcnt lgkmcnt(0)
	s_barrier
	s_and_saveexec_b64 s[0:1], vcc
	s_cbranch_execz .LBB220_21
; %bb.20:
	ds_read2_b32 v[2:3], v1 offset1:8
	s_waitcnt lgkmcnt(0)
	v_add_u32_e32 v2, v2, v3
	ds_write_b32 v1, v2
.LBB220_21:
	s_or_b64 exec, exec, s[0:1]
	v_cmp_gt_u16_e32 vcc, 4, v9
	s_waitcnt lgkmcnt(0)
	s_barrier
	;; [unrolled: 12-line block ×3, first 2 shown]
	s_and_saveexec_b64 s[0:1], vcc
	s_cbranch_execz .LBB220_25
; %bb.24:
	ds_read2_b32 v[2:3], v1 offset1:2
	s_waitcnt lgkmcnt(0)
	v_add_u32_e32 v2, v2, v3
	ds_write_b32 v1, v2
.LBB220_25:
	s_or_b64 exec, exec, s[0:1]
	v_cmp_gt_u32_e32 vcc, 29, v0
	v_mov_b32_e32 v2, v8
	s_waitcnt lgkmcnt(0)
	s_barrier
	s_and_saveexec_b64 s[0:1], vcc
	s_cbranch_execz .LBB220_27
; %bb.26:
	s_movk_i32 s2, 0x70
	v_mad_u32_u24 v2, v0, s2, v1
	ds_read2_b32 v[2:3], v2 offset1:1
	s_waitcnt lgkmcnt(0)
	v_add_u32_e32 v2, v3, v2
.LBB220_27:
	s_or_b64 exec, exec, s[0:1]
	s_branch .LBB220_40
.LBB220_28:
                                        ; implicit-def: $vgpr2
	s_cbranch_execz .LBB220_40
; %bb.29:
	s_movk_i32 s0, 0x179
	v_cmp_gt_u32_e32 vcc, s0, v0
	s_and_saveexec_b64 s[0:1], vcc
	s_cbranch_execz .LBB220_31
; %bb.30:
	ds_read_b32 v2, v1 offset:1856
	ds_read_b32 v3, v1
	s_waitcnt lgkmcnt(0)
	v_add_u32_e32 v2, v3, v2
	ds_write_b32 v1, v2
.LBB220_31:
	s_or_b64 exec, exec, s[0:1]
	s_movk_i32 s0, 0xe8
	v_cmp_gt_u32_e32 vcc, s0, v0
	s_waitcnt lgkmcnt(0)
	s_barrier
	s_and_saveexec_b64 s[0:1], vcc
	s_cbranch_execz .LBB220_33
; %bb.32:
	ds_read2_b32 v[2:3], v1 offset1:232
	s_waitcnt lgkmcnt(0)
	v_add_u32_e32 v2, v2, v3
	ds_write_b32 v1, v2
.LBB220_33:
	s_or_b64 exec, exec, s[0:1]
	s_movk_i32 s0, 0x74
	v_cmp_gt_u32_e32 vcc, s0, v0
	s_waitcnt lgkmcnt(0)
	s_barrier
	s_and_saveexec_b64 s[0:1], vcc
	s_cbranch_execz .LBB220_35
; %bb.34:
	ds_read2_b32 v[2:3], v1 offset1:116
	s_waitcnt lgkmcnt(0)
	v_add_u32_e32 v2, v2, v3
	ds_write_b32 v1, v2
.LBB220_35:
	s_or_b64 exec, exec, s[0:1]
	v_cmp_gt_u32_e32 vcc, 58, v0
	s_waitcnt lgkmcnt(0)
	s_barrier
	s_and_saveexec_b64 s[0:1], vcc
	s_cbranch_execz .LBB220_37
; %bb.36:
	ds_read2_b32 v[2:3], v1 offset1:58
	s_waitcnt lgkmcnt(0)
	v_add_u32_e32 v2, v2, v3
	ds_write_b32 v1, v2
.LBB220_37:
	s_or_b64 exec, exec, s[0:1]
	v_cmp_gt_u32_e32 vcc, 29, v0
	s_waitcnt lgkmcnt(0)
	s_and_saveexec_b64 s[0:1], vcc
	s_cbranch_execz .LBB220_39
; %bb.38:
	ds_read2_b32 v[1:2], v1 offset1:29
	s_waitcnt lgkmcnt(0)
	v_add_u32_e32 v8, v2, v1
.LBB220_39:
	s_or_b64 exec, exec, s[0:1]
	v_mov_b32_e32 v2, v8
.LBB220_40:
	v_cmp_gt_u32_e32 vcc, 29, v0
	s_and_saveexec_b64 s[0:1], vcc
	s_cbranch_execz .LBB220_44
; %bb.41:
	v_mul_lo_u32 v1, v2, s15
	s_cmp_eq_u32 s22, 0
	s_cbranch_scc1 .LBB220_45
; %bb.42:
	v_mad_u64_u32 v[2:3], s[0:1], s6, 29, v[0:1]
	v_mov_b32_e32 v3, 0
	v_mov_b32_e32 v4, s13
	v_lshlrev_b64 v[2:3], 2, v[2:3]
	v_add_co_u32_e32 v2, vcc, s12, v2
	v_addc_co_u32_e32 v3, vcc, v4, v3, vcc
	global_load_dword v4, v[2:3], off
	s_waitcnt vmcnt(0)
	v_mad_u64_u32 v[4:5], s[0:1], v4, s22, v[1:2]
	global_store_dword v[2:3], v4, off
	s_cbranch_execnz .LBB220_44
.LBB220_43:
	v_mad_u64_u32 v[2:3], s[0:1], s6, 29, v[0:1]
	v_mov_b32_e32 v3, 0
	v_mov_b32_e32 v0, s13
	v_lshlrev_b64 v[2:3], 2, v[2:3]
	v_add_co_u32_e32 v2, vcc, s12, v2
	v_addc_co_u32_e32 v3, vcc, v0, v3, vcc
	global_store_dword v[2:3], v1, off
.LBB220_44:
	s_endpgm
.LBB220_45:
	s_branch .LBB220_43
	.section	.rodata,"a",@progbits
	.p2align	6, 0x0
	.amdhsa_kernel _ZN9rocsparseL20bsrxmvn_17_32_kernelILj29EiliaaiEEvT2_20rocsparse_direction_NS_24const_host_device_scalarIT0_EES1_PKS1_PKT1_SA_S7_PKT3_PKT4_S5_PT5_21rocsparse_index_base_b
		.amdhsa_group_segment_fixed_size 3364
		.amdhsa_private_segment_fixed_size 0
		.amdhsa_kernarg_size 96
		.amdhsa_user_sgpr_count 6
		.amdhsa_user_sgpr_private_segment_buffer 1
		.amdhsa_user_sgpr_dispatch_ptr 0
		.amdhsa_user_sgpr_queue_ptr 0
		.amdhsa_user_sgpr_kernarg_segment_ptr 1
		.amdhsa_user_sgpr_dispatch_id 0
		.amdhsa_user_sgpr_flat_scratch_init 0
		.amdhsa_user_sgpr_private_segment_size 0
		.amdhsa_uses_dynamic_stack 0
		.amdhsa_system_sgpr_private_segment_wavefront_offset 0
		.amdhsa_system_sgpr_workgroup_id_x 1
		.amdhsa_system_sgpr_workgroup_id_y 0
		.amdhsa_system_sgpr_workgroup_id_z 0
		.amdhsa_system_sgpr_workgroup_info 0
		.amdhsa_system_vgpr_workitem_id 0
		.amdhsa_next_free_vgpr 33
		.amdhsa_next_free_sgpr 77
		.amdhsa_reserve_vcc 1
		.amdhsa_reserve_flat_scratch 0
		.amdhsa_float_round_mode_32 0
		.amdhsa_float_round_mode_16_64 0
		.amdhsa_float_denorm_mode_32 3
		.amdhsa_float_denorm_mode_16_64 3
		.amdhsa_dx10_clamp 1
		.amdhsa_ieee_mode 1
		.amdhsa_fp16_overflow 0
		.amdhsa_exception_fp_ieee_invalid_op 0
		.amdhsa_exception_fp_denorm_src 0
		.amdhsa_exception_fp_ieee_div_zero 0
		.amdhsa_exception_fp_ieee_overflow 0
		.amdhsa_exception_fp_ieee_underflow 0
		.amdhsa_exception_fp_ieee_inexact 0
		.amdhsa_exception_int_div_zero 0
	.end_amdhsa_kernel
	.section	.text._ZN9rocsparseL20bsrxmvn_17_32_kernelILj29EiliaaiEEvT2_20rocsparse_direction_NS_24const_host_device_scalarIT0_EES1_PKS1_PKT1_SA_S7_PKT3_PKT4_S5_PT5_21rocsparse_index_base_b,"axG",@progbits,_ZN9rocsparseL20bsrxmvn_17_32_kernelILj29EiliaaiEEvT2_20rocsparse_direction_NS_24const_host_device_scalarIT0_EES1_PKS1_PKT1_SA_S7_PKT3_PKT4_S5_PT5_21rocsparse_index_base_b,comdat
.Lfunc_end220:
	.size	_ZN9rocsparseL20bsrxmvn_17_32_kernelILj29EiliaaiEEvT2_20rocsparse_direction_NS_24const_host_device_scalarIT0_EES1_PKS1_PKT1_SA_S7_PKT3_PKT4_S5_PT5_21rocsparse_index_base_b, .Lfunc_end220-_ZN9rocsparseL20bsrxmvn_17_32_kernelILj29EiliaaiEEvT2_20rocsparse_direction_NS_24const_host_device_scalarIT0_EES1_PKS1_PKT1_SA_S7_PKT3_PKT4_S5_PT5_21rocsparse_index_base_b
                                        ; -- End function
	.set _ZN9rocsparseL20bsrxmvn_17_32_kernelILj29EiliaaiEEvT2_20rocsparse_direction_NS_24const_host_device_scalarIT0_EES1_PKS1_PKT1_SA_S7_PKT3_PKT4_S5_PT5_21rocsparse_index_base_b.num_vgpr, 15
	.set _ZN9rocsparseL20bsrxmvn_17_32_kernelILj29EiliaaiEEvT2_20rocsparse_direction_NS_24const_host_device_scalarIT0_EES1_PKS1_PKT1_SA_S7_PKT3_PKT4_S5_PT5_21rocsparse_index_base_b.num_agpr, 0
	.set _ZN9rocsparseL20bsrxmvn_17_32_kernelILj29EiliaaiEEvT2_20rocsparse_direction_NS_24const_host_device_scalarIT0_EES1_PKS1_PKT1_SA_S7_PKT3_PKT4_S5_PT5_21rocsparse_index_base_b.numbered_sgpr, 23
	.set _ZN9rocsparseL20bsrxmvn_17_32_kernelILj29EiliaaiEEvT2_20rocsparse_direction_NS_24const_host_device_scalarIT0_EES1_PKS1_PKT1_SA_S7_PKT3_PKT4_S5_PT5_21rocsparse_index_base_b.num_named_barrier, 0
	.set _ZN9rocsparseL20bsrxmvn_17_32_kernelILj29EiliaaiEEvT2_20rocsparse_direction_NS_24const_host_device_scalarIT0_EES1_PKS1_PKT1_SA_S7_PKT3_PKT4_S5_PT5_21rocsparse_index_base_b.private_seg_size, 0
	.set _ZN9rocsparseL20bsrxmvn_17_32_kernelILj29EiliaaiEEvT2_20rocsparse_direction_NS_24const_host_device_scalarIT0_EES1_PKS1_PKT1_SA_S7_PKT3_PKT4_S5_PT5_21rocsparse_index_base_b.uses_vcc, 1
	.set _ZN9rocsparseL20bsrxmvn_17_32_kernelILj29EiliaaiEEvT2_20rocsparse_direction_NS_24const_host_device_scalarIT0_EES1_PKS1_PKT1_SA_S7_PKT3_PKT4_S5_PT5_21rocsparse_index_base_b.uses_flat_scratch, 0
	.set _ZN9rocsparseL20bsrxmvn_17_32_kernelILj29EiliaaiEEvT2_20rocsparse_direction_NS_24const_host_device_scalarIT0_EES1_PKS1_PKT1_SA_S7_PKT3_PKT4_S5_PT5_21rocsparse_index_base_b.has_dyn_sized_stack, 0
	.set _ZN9rocsparseL20bsrxmvn_17_32_kernelILj29EiliaaiEEvT2_20rocsparse_direction_NS_24const_host_device_scalarIT0_EES1_PKS1_PKT1_SA_S7_PKT3_PKT4_S5_PT5_21rocsparse_index_base_b.has_recursion, 0
	.set _ZN9rocsparseL20bsrxmvn_17_32_kernelILj29EiliaaiEEvT2_20rocsparse_direction_NS_24const_host_device_scalarIT0_EES1_PKS1_PKT1_SA_S7_PKT3_PKT4_S5_PT5_21rocsparse_index_base_b.has_indirect_call, 0
	.section	.AMDGPU.csdata,"",@progbits
; Kernel info:
; codeLenInByte = 1368
; TotalNumSgprs: 27
; NumVgprs: 15
; ScratchSize: 0
; MemoryBound: 0
; FloatMode: 240
; IeeeMode: 1
; LDSByteSize: 3364 bytes/workgroup (compile time only)
; SGPRBlocks: 10
; VGPRBlocks: 8
; NumSGPRsForWavesPerEU: 81
; NumVGPRsForWavesPerEU: 33
; Occupancy: 7
; WaveLimiterHint : 1
; COMPUTE_PGM_RSRC2:SCRATCH_EN: 0
; COMPUTE_PGM_RSRC2:USER_SGPR: 6
; COMPUTE_PGM_RSRC2:TRAP_HANDLER: 0
; COMPUTE_PGM_RSRC2:TGID_X_EN: 1
; COMPUTE_PGM_RSRC2:TGID_Y_EN: 0
; COMPUTE_PGM_RSRC2:TGID_Z_EN: 0
; COMPUTE_PGM_RSRC2:TIDIG_COMP_CNT: 0
	.section	.text._ZN9rocsparseL20bsrxmvn_17_32_kernelILj30EiliaaiEEvT2_20rocsparse_direction_NS_24const_host_device_scalarIT0_EES1_PKS1_PKT1_SA_S7_PKT3_PKT4_S5_PT5_21rocsparse_index_base_b,"axG",@progbits,_ZN9rocsparseL20bsrxmvn_17_32_kernelILj30EiliaaiEEvT2_20rocsparse_direction_NS_24const_host_device_scalarIT0_EES1_PKS1_PKT1_SA_S7_PKT3_PKT4_S5_PT5_21rocsparse_index_base_b,comdat
	.globl	_ZN9rocsparseL20bsrxmvn_17_32_kernelILj30EiliaaiEEvT2_20rocsparse_direction_NS_24const_host_device_scalarIT0_EES1_PKS1_PKT1_SA_S7_PKT3_PKT4_S5_PT5_21rocsparse_index_base_b ; -- Begin function _ZN9rocsparseL20bsrxmvn_17_32_kernelILj30EiliaaiEEvT2_20rocsparse_direction_NS_24const_host_device_scalarIT0_EES1_PKS1_PKT1_SA_S7_PKT3_PKT4_S5_PT5_21rocsparse_index_base_b
	.p2align	8
	.type	_ZN9rocsparseL20bsrxmvn_17_32_kernelILj30EiliaaiEEvT2_20rocsparse_direction_NS_24const_host_device_scalarIT0_EES1_PKS1_PKT1_SA_S7_PKT3_PKT4_S5_PT5_21rocsparse_index_base_b,@function
_ZN9rocsparseL20bsrxmvn_17_32_kernelILj30EiliaaiEEvT2_20rocsparse_direction_NS_24const_host_device_scalarIT0_EES1_PKS1_PKT1_SA_S7_PKT3_PKT4_S5_PT5_21rocsparse_index_base_b: ; @_ZN9rocsparseL20bsrxmvn_17_32_kernelILj30EiliaaiEEvT2_20rocsparse_direction_NS_24const_host_device_scalarIT0_EES1_PKS1_PKT1_SA_S7_PKT3_PKT4_S5_PT5_21rocsparse_index_base_b
; %bb.0:
	s_load_dwordx2 s[14:15], s[4:5], 0x58
	s_load_dwordx2 s[8:9], s[4:5], 0x8
	s_mov_b64 s[10:11], -1
	s_waitcnt lgkmcnt(0)
	s_bitcmp1_b32 s15, 0
	s_cselect_b64 s[0:1], -1, 0
	s_xor_b64 s[2:3], s[0:1], -1
	s_and_b64 vcc, exec, s[2:3]
                                        ; implicit-def: $sgpr15
	s_cbranch_vccnz .LBB221_4
; %bb.1:
	s_load_dwordx2 s[0:1], s[4:5], 0x48
	s_andn2_b64 vcc, exec, s[10:11]
	s_cbranch_vccz .LBB221_5
.LBB221_2:
	s_and_b64 vcc, exec, s[2:3]
	s_cbranch_vccz .LBB221_6
.LBB221_3:
	s_waitcnt lgkmcnt(0)
	s_load_dword s22, s[0:1], 0x0
	s_cbranch_execz .LBB221_7
	s_branch .LBB221_8
.LBB221_4:
	s_load_dword s15, s[8:9], 0x0
	s_load_dwordx2 s[0:1], s[4:5], 0x48
	s_cbranch_execnz .LBB221_2
.LBB221_5:
	s_waitcnt lgkmcnt(0)
	s_mov_b32 s15, s8
	s_and_b64 vcc, exec, s[2:3]
	s_cbranch_vccnz .LBB221_3
.LBB221_6:
                                        ; implicit-def: $sgpr22
.LBB221_7:
	s_waitcnt lgkmcnt(0)
	s_mov_b32 s22, s0
.LBB221_8:
	s_waitcnt lgkmcnt(0)
	s_cmp_lg_u32 s15, 0
	s_cselect_b64 s[0:1], -1, 0
	s_cmp_lg_u32 s22, 1
	s_cselect_b64 s[2:3], -1, 0
	s_or_b64 s[0:1], s[0:1], s[2:3]
	s_andn2_b64 vcc, exec, s[0:1]
	s_cbranch_vccnz .LBB221_44
; %bb.9:
	s_load_dwordx4 s[0:3], s[4:5], 0x18
	s_load_dwordx2 s[8:9], s[4:5], 0x28
	s_waitcnt lgkmcnt(0)
	s_cmp_eq_u64 s[0:1], 0
	s_cbranch_scc1 .LBB221_11
; %bb.10:
	s_ashr_i32 s7, s6, 31
	s_lshl_b64 s[6:7], s[6:7], 2
	s_add_u32 s0, s0, s6
	s_addc_u32 s1, s1, s7
	s_load_dword s0, s[0:1], 0x0
	s_waitcnt lgkmcnt(0)
	s_sub_i32 s6, s0, s14
.LBB221_11:
	s_load_dword s7, s[4:5], 0x4
	s_load_dwordx2 s[12:13], s[4:5], 0x50
	v_mul_u32_u24_e32 v1, 0x889, v0
	v_mov_b32_e32 v2, 30
	v_mul_lo_u16_sdwa v2, v1, v2 dst_sel:DWORD dst_unused:UNUSED_PAD src0_sel:WORD_1 src1_sel:DWORD
	s_waitcnt lgkmcnt(0)
	s_cmp_eq_u32 s7, 1
	s_cselect_b64 s[0:1], -1, 0
	s_cmp_lg_u32 s7, 1
	s_cselect_b64 s[16:17], -1, 0
	s_ashr_i32 s7, s6, 31
	s_lshl_b64 s[10:11], s[6:7], 3
	s_add_u32 s2, s2, s10
	s_addc_u32 s3, s3, s11
	s_add_u32 s7, s2, 8
	s_addc_u32 s18, s3, 0
	;; [unrolled: 2-line block ×3, first 2 shown]
	s_cmp_eq_u64 s[8:9], 0
	s_cselect_b32 s9, s18, s11
	s_cselect_b32 s8, s7, s10
	s_load_dwordx2 s[18:19], s[8:9], 0x0
	s_load_dwordx2 s[20:21], s[2:3], 0x0
	v_sub_u16_e32 v9, v0, v2
	v_mov_b32_e32 v8, 0
	s_waitcnt lgkmcnt(0)
	v_mov_b32_e32 v2, s18
	v_mov_b32_e32 v3, s19
	v_cmp_ge_i64_e32 vcc, s[20:21], v[2:3]
	s_cbranch_vccnz .LBB221_16
; %bb.12:
	s_load_dwordx4 s[8:11], s[4:5], 0x30
	s_load_dwordx2 s[2:3], s[4:5], 0x40
	s_sub_u32 s4, s18, s14
	s_mov_b32 s7, 0xffff
	s_subb_u32 s5, s19, 0
	s_movk_i32 s18, 0x384
	v_and_b32_sdwa v1, s7, v1 dst_sel:DWORD dst_unused:UNUSED_PAD src0_sel:DWORD src1_sel:WORD_1
	v_subrev_u32_e32 v2, 30, v1
	v_cmp_gt_u32_e32 vcc, s18, v0
	s_sub_u32 s18, s20, s14
	v_cndmask_b32_e32 v1, v2, v1, vcc
	s_subb_u32 s19, s21, 0
	v_cndmask_b32_e64 v1, v9, v1, s[0:1]
	s_mul_i32 s0, s19, 0x384
	s_mul_hi_u32 s1, s18, 0x384
	s_add_i32 s1, s1, s0
	s_mul_i32 s0, s18, 0x384
	s_waitcnt lgkmcnt(0)
	s_add_u32 s0, s10, s0
	s_addc_u32 s1, s11, s1
	v_mov_b32_e32 v3, s1
	v_add_co_u32_e32 v2, vcc, s0, v0
	v_addc_co_u32_e32 v3, vcc, 0, v3, vcc
	s_movk_i32 s0, 0x383
	v_cmp_lt_u32_e32 vcc, s0, v0
	v_cndmask_b32_e64 v10, 0, 1, vcc
	v_mov_b32_e32 v4, s21
	v_add_co_u32_e32 v5, vcc, s20, v10
	v_addc_co_u32_e32 v6, vcc, 0, v4, vcc
	v_subrev_co_u32_e32 v4, vcc, s14, v5
	v_subbrev_co_u32_e32 v5, vcc, 0, v6, vcc
	v_lshlrev_b64 v[4:5], 2, v[4:5]
	v_mov_b32_e32 v6, s9
	v_add_co_u32_e32 v4, vcc, s8, v4
	v_addc_co_u32_e32 v5, vcc, v6, v5, vcc
	v_mov_b32_e32 v7, s5
	v_mov_b32_e32 v8, 0
	;; [unrolled: 1-line block ×3, first 2 shown]
	s_branch .LBB221_14
.LBB221_13:                             ;   in Loop: Header=BB221_14 Depth=1
	s_or_b64 exec, exec, s[0:1]
	s_add_u32 s18, s18, 1
	s_addc_u32 s19, s19, 0
	v_cmp_lt_i64_e32 vcc, s[18:19], v[6:7]
	v_add_co_u32_e64 v4, s[0:1], 4, v4
	v_addc_co_u32_e64 v5, s[0:1], 0, v5, s[0:1]
	s_cbranch_vccz .LBB221_16
.LBB221_14:                             ; =>This Inner Loop Header: Depth=1
	v_mov_b32_e32 v12, s19
	v_add_co_u32_e32 v11, vcc, s18, v10
	v_addc_co_u32_e32 v12, vcc, 0, v12, vcc
	v_cmp_gt_i64_e32 vcc, s[4:5], v[11:12]
	s_and_saveexec_b64 s[0:1], vcc
	s_cbranch_execz .LBB221_13
; %bb.15:                               ;   in Loop: Header=BB221_14 Depth=1
	global_load_dword v11, v[4:5], off
	global_load_sbyte v13, v[2:3], off
	s_waitcnt vmcnt(1)
	v_subrev_u32_e32 v11, s14, v11
	v_mad_u64_u32 v[11:12], s[8:9], v11, 30, v[1:2]
	v_mov_b32_e32 v12, s3
	v_ashrrev_i32_e32 v14, 31, v11
	v_add_co_u32_e32 v11, vcc, s2, v11
	v_addc_co_u32_e32 v12, vcc, v12, v14, vcc
	global_load_sbyte v11, v[11:12], off
	v_add_co_u32_e32 v2, vcc, 0x384, v2
	v_addc_co_u32_e32 v3, vcc, 0, v3, vcc
	s_waitcnt vmcnt(0)
	v_mad_i32_i24 v8, v11, v13, v8
	s_branch .LBB221_13
.LBB221_16:
	v_lshlrev_b32_e32 v1, 2, v0
	s_and_b64 vcc, exec, s[16:17]
	ds_write_b32 v1, v8
	s_waitcnt lgkmcnt(0)
	s_barrier
	s_cbranch_vccz .LBB221_28
; %bb.17:
	v_cmp_gt_u16_e32 vcc, 14, v9
	s_and_saveexec_b64 s[0:1], vcc
	s_cbranch_execz .LBB221_19
; %bb.18:
	ds_read2_b32 v[2:3], v1 offset1:16
	s_waitcnt lgkmcnt(0)
	v_add_u32_e32 v2, v2, v3
	ds_write_b32 v1, v2
.LBB221_19:
	s_or_b64 exec, exec, s[0:1]
	v_cmp_gt_u16_e32 vcc, 8, v9
	s_waitcnt lgkmcnt(0)
	s_barrier
	s_and_saveexec_b64 s[0:1], vcc
	s_cbranch_execz .LBB221_21
; %bb.20:
	ds_read2_b32 v[2:3], v1 offset1:8
	s_waitcnt lgkmcnt(0)
	v_add_u32_e32 v2, v2, v3
	ds_write_b32 v1, v2
.LBB221_21:
	s_or_b64 exec, exec, s[0:1]
	v_cmp_gt_u16_e32 vcc, 4, v9
	s_waitcnt lgkmcnt(0)
	s_barrier
	;; [unrolled: 12-line block ×3, first 2 shown]
	s_and_saveexec_b64 s[0:1], vcc
	s_cbranch_execz .LBB221_25
; %bb.24:
	ds_read2_b32 v[2:3], v1 offset1:2
	s_waitcnt lgkmcnt(0)
	v_add_u32_e32 v2, v2, v3
	ds_write_b32 v1, v2
.LBB221_25:
	s_or_b64 exec, exec, s[0:1]
	v_cmp_gt_u32_e32 vcc, 30, v0
	v_mov_b32_e32 v2, v8
	s_waitcnt lgkmcnt(0)
	s_barrier
	s_and_saveexec_b64 s[0:1], vcc
	s_cbranch_execz .LBB221_27
; %bb.26:
	s_movk_i32 s2, 0x74
	v_mad_u32_u24 v2, v0, s2, v1
	ds_read_b64 v[2:3], v2
	s_waitcnt lgkmcnt(0)
	v_add_u32_e32 v2, v3, v2
.LBB221_27:
	s_or_b64 exec, exec, s[0:1]
	s_branch .LBB221_40
.LBB221_28:
                                        ; implicit-def: $vgpr2
	s_cbranch_execz .LBB221_40
; %bb.29:
	s_movk_i32 s0, 0x1a4
	v_cmp_gt_u32_e32 vcc, s0, v0
	s_and_saveexec_b64 s[0:1], vcc
	s_cbranch_execz .LBB221_31
; %bb.30:
	ds_read_b32 v2, v1 offset:1920
	ds_read_b32 v3, v1
	s_waitcnt lgkmcnt(0)
	v_add_u32_e32 v2, v3, v2
	ds_write_b32 v1, v2
.LBB221_31:
	s_or_b64 exec, exec, s[0:1]
	s_movk_i32 s0, 0xf0
	v_cmp_gt_u32_e32 vcc, s0, v0
	s_waitcnt lgkmcnt(0)
	s_barrier
	s_and_saveexec_b64 s[0:1], vcc
	s_cbranch_execz .LBB221_33
; %bb.32:
	ds_read2_b32 v[2:3], v1 offset1:240
	s_waitcnt lgkmcnt(0)
	v_add_u32_e32 v2, v2, v3
	ds_write_b32 v1, v2
.LBB221_33:
	s_or_b64 exec, exec, s[0:1]
	s_movk_i32 s0, 0x78
	v_cmp_gt_u32_e32 vcc, s0, v0
	s_waitcnt lgkmcnt(0)
	s_barrier
	s_and_saveexec_b64 s[0:1], vcc
	s_cbranch_execz .LBB221_35
; %bb.34:
	ds_read2_b32 v[2:3], v1 offset1:120
	s_waitcnt lgkmcnt(0)
	v_add_u32_e32 v2, v2, v3
	ds_write_b32 v1, v2
.LBB221_35:
	s_or_b64 exec, exec, s[0:1]
	v_cmp_gt_u32_e32 vcc, 60, v0
	s_waitcnt lgkmcnt(0)
	s_barrier
	s_and_saveexec_b64 s[0:1], vcc
	s_cbranch_execz .LBB221_37
; %bb.36:
	ds_read2_b32 v[2:3], v1 offset1:60
	s_waitcnt lgkmcnt(0)
	v_add_u32_e32 v2, v2, v3
	ds_write_b32 v1, v2
.LBB221_37:
	s_or_b64 exec, exec, s[0:1]
	v_cmp_gt_u32_e32 vcc, 30, v0
	s_waitcnt lgkmcnt(0)
	s_and_saveexec_b64 s[0:1], vcc
	s_cbranch_execz .LBB221_39
; %bb.38:
	ds_read2_b32 v[1:2], v1 offset1:30
	s_waitcnt lgkmcnt(0)
	v_add_u32_e32 v8, v2, v1
.LBB221_39:
	s_or_b64 exec, exec, s[0:1]
	v_mov_b32_e32 v2, v8
.LBB221_40:
	v_cmp_gt_u32_e32 vcc, 30, v0
	s_and_saveexec_b64 s[0:1], vcc
	s_cbranch_execz .LBB221_44
; %bb.41:
	v_mul_lo_u32 v1, v2, s15
	s_cmp_eq_u32 s22, 0
	s_cbranch_scc1 .LBB221_45
; %bb.42:
	v_mad_u64_u32 v[2:3], s[0:1], s6, 30, v[0:1]
	v_mov_b32_e32 v3, 0
	v_mov_b32_e32 v4, s13
	v_lshlrev_b64 v[2:3], 2, v[2:3]
	v_add_co_u32_e32 v2, vcc, s12, v2
	v_addc_co_u32_e32 v3, vcc, v4, v3, vcc
	global_load_dword v4, v[2:3], off
	s_waitcnt vmcnt(0)
	v_mad_u64_u32 v[4:5], s[0:1], v4, s22, v[1:2]
	global_store_dword v[2:3], v4, off
	s_cbranch_execnz .LBB221_44
.LBB221_43:
	v_mad_u64_u32 v[2:3], s[0:1], s6, 30, v[0:1]
	v_mov_b32_e32 v3, 0
	v_mov_b32_e32 v0, s13
	v_lshlrev_b64 v[2:3], 2, v[2:3]
	v_add_co_u32_e32 v2, vcc, s12, v2
	v_addc_co_u32_e32 v3, vcc, v0, v3, vcc
	global_store_dword v[2:3], v1, off
.LBB221_44:
	s_endpgm
.LBB221_45:
	s_branch .LBB221_43
	.section	.rodata,"a",@progbits
	.p2align	6, 0x0
	.amdhsa_kernel _ZN9rocsparseL20bsrxmvn_17_32_kernelILj30EiliaaiEEvT2_20rocsparse_direction_NS_24const_host_device_scalarIT0_EES1_PKS1_PKT1_SA_S7_PKT3_PKT4_S5_PT5_21rocsparse_index_base_b
		.amdhsa_group_segment_fixed_size 3600
		.amdhsa_private_segment_fixed_size 0
		.amdhsa_kernarg_size 96
		.amdhsa_user_sgpr_count 6
		.amdhsa_user_sgpr_private_segment_buffer 1
		.amdhsa_user_sgpr_dispatch_ptr 0
		.amdhsa_user_sgpr_queue_ptr 0
		.amdhsa_user_sgpr_kernarg_segment_ptr 1
		.amdhsa_user_sgpr_dispatch_id 0
		.amdhsa_user_sgpr_flat_scratch_init 0
		.amdhsa_user_sgpr_private_segment_size 0
		.amdhsa_uses_dynamic_stack 0
		.amdhsa_system_sgpr_private_segment_wavefront_offset 0
		.amdhsa_system_sgpr_workgroup_id_x 1
		.amdhsa_system_sgpr_workgroup_id_y 0
		.amdhsa_system_sgpr_workgroup_id_z 0
		.amdhsa_system_sgpr_workgroup_info 0
		.amdhsa_system_vgpr_workitem_id 0
		.amdhsa_next_free_vgpr 29
		.amdhsa_next_free_sgpr 61
		.amdhsa_reserve_vcc 1
		.amdhsa_reserve_flat_scratch 0
		.amdhsa_float_round_mode_32 0
		.amdhsa_float_round_mode_16_64 0
		.amdhsa_float_denorm_mode_32 3
		.amdhsa_float_denorm_mode_16_64 3
		.amdhsa_dx10_clamp 1
		.amdhsa_ieee_mode 1
		.amdhsa_fp16_overflow 0
		.amdhsa_exception_fp_ieee_invalid_op 0
		.amdhsa_exception_fp_denorm_src 0
		.amdhsa_exception_fp_ieee_div_zero 0
		.amdhsa_exception_fp_ieee_overflow 0
		.amdhsa_exception_fp_ieee_underflow 0
		.amdhsa_exception_fp_ieee_inexact 0
		.amdhsa_exception_int_div_zero 0
	.end_amdhsa_kernel
	.section	.text._ZN9rocsparseL20bsrxmvn_17_32_kernelILj30EiliaaiEEvT2_20rocsparse_direction_NS_24const_host_device_scalarIT0_EES1_PKS1_PKT1_SA_S7_PKT3_PKT4_S5_PT5_21rocsparse_index_base_b,"axG",@progbits,_ZN9rocsparseL20bsrxmvn_17_32_kernelILj30EiliaaiEEvT2_20rocsparse_direction_NS_24const_host_device_scalarIT0_EES1_PKS1_PKT1_SA_S7_PKT3_PKT4_S5_PT5_21rocsparse_index_base_b,comdat
.Lfunc_end221:
	.size	_ZN9rocsparseL20bsrxmvn_17_32_kernelILj30EiliaaiEEvT2_20rocsparse_direction_NS_24const_host_device_scalarIT0_EES1_PKS1_PKT1_SA_S7_PKT3_PKT4_S5_PT5_21rocsparse_index_base_b, .Lfunc_end221-_ZN9rocsparseL20bsrxmvn_17_32_kernelILj30EiliaaiEEvT2_20rocsparse_direction_NS_24const_host_device_scalarIT0_EES1_PKS1_PKT1_SA_S7_PKT3_PKT4_S5_PT5_21rocsparse_index_base_b
                                        ; -- End function
	.set _ZN9rocsparseL20bsrxmvn_17_32_kernelILj30EiliaaiEEvT2_20rocsparse_direction_NS_24const_host_device_scalarIT0_EES1_PKS1_PKT1_SA_S7_PKT3_PKT4_S5_PT5_21rocsparse_index_base_b.num_vgpr, 15
	.set _ZN9rocsparseL20bsrxmvn_17_32_kernelILj30EiliaaiEEvT2_20rocsparse_direction_NS_24const_host_device_scalarIT0_EES1_PKS1_PKT1_SA_S7_PKT3_PKT4_S5_PT5_21rocsparse_index_base_b.num_agpr, 0
	.set _ZN9rocsparseL20bsrxmvn_17_32_kernelILj30EiliaaiEEvT2_20rocsparse_direction_NS_24const_host_device_scalarIT0_EES1_PKS1_PKT1_SA_S7_PKT3_PKT4_S5_PT5_21rocsparse_index_base_b.numbered_sgpr, 23
	.set _ZN9rocsparseL20bsrxmvn_17_32_kernelILj30EiliaaiEEvT2_20rocsparse_direction_NS_24const_host_device_scalarIT0_EES1_PKS1_PKT1_SA_S7_PKT3_PKT4_S5_PT5_21rocsparse_index_base_b.num_named_barrier, 0
	.set _ZN9rocsparseL20bsrxmvn_17_32_kernelILj30EiliaaiEEvT2_20rocsparse_direction_NS_24const_host_device_scalarIT0_EES1_PKS1_PKT1_SA_S7_PKT3_PKT4_S5_PT5_21rocsparse_index_base_b.private_seg_size, 0
	.set _ZN9rocsparseL20bsrxmvn_17_32_kernelILj30EiliaaiEEvT2_20rocsparse_direction_NS_24const_host_device_scalarIT0_EES1_PKS1_PKT1_SA_S7_PKT3_PKT4_S5_PT5_21rocsparse_index_base_b.uses_vcc, 1
	.set _ZN9rocsparseL20bsrxmvn_17_32_kernelILj30EiliaaiEEvT2_20rocsparse_direction_NS_24const_host_device_scalarIT0_EES1_PKS1_PKT1_SA_S7_PKT3_PKT4_S5_PT5_21rocsparse_index_base_b.uses_flat_scratch, 0
	.set _ZN9rocsparseL20bsrxmvn_17_32_kernelILj30EiliaaiEEvT2_20rocsparse_direction_NS_24const_host_device_scalarIT0_EES1_PKS1_PKT1_SA_S7_PKT3_PKT4_S5_PT5_21rocsparse_index_base_b.has_dyn_sized_stack, 0
	.set _ZN9rocsparseL20bsrxmvn_17_32_kernelILj30EiliaaiEEvT2_20rocsparse_direction_NS_24const_host_device_scalarIT0_EES1_PKS1_PKT1_SA_S7_PKT3_PKT4_S5_PT5_21rocsparse_index_base_b.has_recursion, 0
	.set _ZN9rocsparseL20bsrxmvn_17_32_kernelILj30EiliaaiEEvT2_20rocsparse_direction_NS_24const_host_device_scalarIT0_EES1_PKS1_PKT1_SA_S7_PKT3_PKT4_S5_PT5_21rocsparse_index_base_b.has_indirect_call, 0
	.section	.AMDGPU.csdata,"",@progbits
; Kernel info:
; codeLenInByte = 1368
; TotalNumSgprs: 27
; NumVgprs: 15
; ScratchSize: 0
; MemoryBound: 0
; FloatMode: 240
; IeeeMode: 1
; LDSByteSize: 3600 bytes/workgroup (compile time only)
; SGPRBlocks: 8
; VGPRBlocks: 7
; NumSGPRsForWavesPerEU: 65
; NumVGPRsForWavesPerEU: 29
; Occupancy: 8
; WaveLimiterHint : 1
; COMPUTE_PGM_RSRC2:SCRATCH_EN: 0
; COMPUTE_PGM_RSRC2:USER_SGPR: 6
; COMPUTE_PGM_RSRC2:TRAP_HANDLER: 0
; COMPUTE_PGM_RSRC2:TGID_X_EN: 1
; COMPUTE_PGM_RSRC2:TGID_Y_EN: 0
; COMPUTE_PGM_RSRC2:TGID_Z_EN: 0
; COMPUTE_PGM_RSRC2:TIDIG_COMP_CNT: 0
	.section	.text._ZN9rocsparseL20bsrxmvn_17_32_kernelILj31EiliaaiEEvT2_20rocsparse_direction_NS_24const_host_device_scalarIT0_EES1_PKS1_PKT1_SA_S7_PKT3_PKT4_S5_PT5_21rocsparse_index_base_b,"axG",@progbits,_ZN9rocsparseL20bsrxmvn_17_32_kernelILj31EiliaaiEEvT2_20rocsparse_direction_NS_24const_host_device_scalarIT0_EES1_PKS1_PKT1_SA_S7_PKT3_PKT4_S5_PT5_21rocsparse_index_base_b,comdat
	.globl	_ZN9rocsparseL20bsrxmvn_17_32_kernelILj31EiliaaiEEvT2_20rocsparse_direction_NS_24const_host_device_scalarIT0_EES1_PKS1_PKT1_SA_S7_PKT3_PKT4_S5_PT5_21rocsparse_index_base_b ; -- Begin function _ZN9rocsparseL20bsrxmvn_17_32_kernelILj31EiliaaiEEvT2_20rocsparse_direction_NS_24const_host_device_scalarIT0_EES1_PKS1_PKT1_SA_S7_PKT3_PKT4_S5_PT5_21rocsparse_index_base_b
	.p2align	8
	.type	_ZN9rocsparseL20bsrxmvn_17_32_kernelILj31EiliaaiEEvT2_20rocsparse_direction_NS_24const_host_device_scalarIT0_EES1_PKS1_PKT1_SA_S7_PKT3_PKT4_S5_PT5_21rocsparse_index_base_b,@function
_ZN9rocsparseL20bsrxmvn_17_32_kernelILj31EiliaaiEEvT2_20rocsparse_direction_NS_24const_host_device_scalarIT0_EES1_PKS1_PKT1_SA_S7_PKT3_PKT4_S5_PT5_21rocsparse_index_base_b: ; @_ZN9rocsparseL20bsrxmvn_17_32_kernelILj31EiliaaiEEvT2_20rocsparse_direction_NS_24const_host_device_scalarIT0_EES1_PKS1_PKT1_SA_S7_PKT3_PKT4_S5_PT5_21rocsparse_index_base_b
; %bb.0:
	s_load_dwordx2 s[14:15], s[4:5], 0x58
	s_load_dwordx2 s[8:9], s[4:5], 0x8
	s_mov_b64 s[10:11], -1
	s_waitcnt lgkmcnt(0)
	s_bitcmp1_b32 s15, 0
	s_cselect_b64 s[0:1], -1, 0
	s_xor_b64 s[2:3], s[0:1], -1
	s_and_b64 vcc, exec, s[2:3]
                                        ; implicit-def: $sgpr15
	s_cbranch_vccnz .LBB222_4
; %bb.1:
	s_load_dwordx2 s[0:1], s[4:5], 0x48
	s_andn2_b64 vcc, exec, s[10:11]
	s_cbranch_vccz .LBB222_5
.LBB222_2:
	s_and_b64 vcc, exec, s[2:3]
	s_cbranch_vccz .LBB222_6
.LBB222_3:
	s_waitcnt lgkmcnt(0)
	s_load_dword s22, s[0:1], 0x0
	s_cbranch_execz .LBB222_7
	s_branch .LBB222_8
.LBB222_4:
	s_load_dword s15, s[8:9], 0x0
	s_load_dwordx2 s[0:1], s[4:5], 0x48
	s_cbranch_execnz .LBB222_2
.LBB222_5:
	s_waitcnt lgkmcnt(0)
	s_mov_b32 s15, s8
	s_and_b64 vcc, exec, s[2:3]
	s_cbranch_vccnz .LBB222_3
.LBB222_6:
                                        ; implicit-def: $sgpr22
.LBB222_7:
	s_waitcnt lgkmcnt(0)
	s_mov_b32 s22, s0
.LBB222_8:
	s_waitcnt lgkmcnt(0)
	s_cmp_lg_u32 s15, 0
	s_cselect_b64 s[0:1], -1, 0
	s_cmp_lg_u32 s22, 1
	s_cselect_b64 s[2:3], -1, 0
	s_or_b64 s[0:1], s[0:1], s[2:3]
	s_andn2_b64 vcc, exec, s[0:1]
	s_cbranch_vccnz .LBB222_44
; %bb.9:
	s_load_dwordx4 s[0:3], s[4:5], 0x18
	s_load_dwordx2 s[8:9], s[4:5], 0x28
	s_waitcnt lgkmcnt(0)
	s_cmp_eq_u64 s[0:1], 0
	s_cbranch_scc1 .LBB222_11
; %bb.10:
	s_ashr_i32 s7, s6, 31
	s_lshl_b64 s[6:7], s[6:7], 2
	s_add_u32 s0, s0, s6
	s_addc_u32 s1, s1, s7
	s_load_dword s0, s[0:1], 0x0
	s_waitcnt lgkmcnt(0)
	s_sub_i32 s6, s0, s14
.LBB222_11:
	s_load_dword s7, s[4:5], 0x4
	s_load_dwordx2 s[12:13], s[4:5], 0x50
	v_mul_u32_u24_e32 v1, 0x843, v0
	v_mov_b32_e32 v2, 31
	v_mul_lo_u16_sdwa v2, v1, v2 dst_sel:DWORD dst_unused:UNUSED_PAD src0_sel:WORD_1 src1_sel:DWORD
	s_waitcnt lgkmcnt(0)
	s_cmp_eq_u32 s7, 1
	s_cselect_b64 s[0:1], -1, 0
	s_cmp_lg_u32 s7, 1
	s_cselect_b64 s[16:17], -1, 0
	s_ashr_i32 s7, s6, 31
	s_lshl_b64 s[10:11], s[6:7], 3
	s_add_u32 s2, s2, s10
	s_addc_u32 s3, s3, s11
	s_add_u32 s7, s2, 8
	s_addc_u32 s18, s3, 0
	s_add_u32 s10, s8, s10
	s_addc_u32 s11, s9, s11
	s_cmp_eq_u64 s[8:9], 0
	s_cselect_b32 s9, s18, s11
	s_cselect_b32 s8, s7, s10
	s_load_dwordx2 s[18:19], s[8:9], 0x0
	s_load_dwordx2 s[20:21], s[2:3], 0x0
	v_sub_u16_e32 v9, v0, v2
	v_mov_b32_e32 v8, 0
	s_waitcnt lgkmcnt(0)
	v_mov_b32_e32 v2, s18
	v_mov_b32_e32 v3, s19
	v_cmp_ge_i64_e32 vcc, s[20:21], v[2:3]
	s_cbranch_vccnz .LBB222_16
; %bb.12:
	s_load_dwordx4 s[8:11], s[4:5], 0x30
	s_load_dwordx2 s[2:3], s[4:5], 0x40
	s_sub_u32 s4, s18, s14
	s_mov_b32 s7, 0xffff
	s_subb_u32 s5, s19, 0
	s_movk_i32 s18, 0x3c1
	v_and_b32_sdwa v1, s7, v1 dst_sel:DWORD dst_unused:UNUSED_PAD src0_sel:DWORD src1_sel:WORD_1
	v_subrev_u32_e32 v2, 31, v1
	v_cmp_gt_u32_e32 vcc, s18, v0
	s_sub_u32 s18, s20, s14
	v_cndmask_b32_e32 v1, v2, v1, vcc
	s_subb_u32 s19, s21, 0
	v_cndmask_b32_e64 v1, v9, v1, s[0:1]
	s_mul_i32 s0, s19, 0x3c1
	s_mul_hi_u32 s1, s18, 0x3c1
	s_add_i32 s1, s1, s0
	s_mul_i32 s0, s18, 0x3c1
	s_waitcnt lgkmcnt(0)
	s_add_u32 s0, s10, s0
	s_addc_u32 s1, s11, s1
	v_mov_b32_e32 v3, s1
	v_add_co_u32_e32 v2, vcc, s0, v0
	v_addc_co_u32_e32 v3, vcc, 0, v3, vcc
	s_movk_i32 s0, 0x3c0
	v_cmp_lt_u32_e32 vcc, s0, v0
	v_cndmask_b32_e64 v10, 0, 1, vcc
	v_mov_b32_e32 v4, s21
	v_add_co_u32_e32 v5, vcc, s20, v10
	v_addc_co_u32_e32 v6, vcc, 0, v4, vcc
	v_subrev_co_u32_e32 v4, vcc, s14, v5
	v_subbrev_co_u32_e32 v5, vcc, 0, v6, vcc
	v_lshlrev_b64 v[4:5], 2, v[4:5]
	v_mov_b32_e32 v6, s9
	v_add_co_u32_e32 v4, vcc, s8, v4
	v_addc_co_u32_e32 v5, vcc, v6, v5, vcc
	v_mov_b32_e32 v7, s5
	v_mov_b32_e32 v8, 0
	;; [unrolled: 1-line block ×3, first 2 shown]
	s_branch .LBB222_14
.LBB222_13:                             ;   in Loop: Header=BB222_14 Depth=1
	s_or_b64 exec, exec, s[0:1]
	s_add_u32 s18, s18, 1
	s_addc_u32 s19, s19, 0
	v_cmp_lt_i64_e32 vcc, s[18:19], v[6:7]
	v_add_co_u32_e64 v4, s[0:1], 4, v4
	v_addc_co_u32_e64 v5, s[0:1], 0, v5, s[0:1]
	s_cbranch_vccz .LBB222_16
.LBB222_14:                             ; =>This Inner Loop Header: Depth=1
	v_mov_b32_e32 v12, s19
	v_add_co_u32_e32 v11, vcc, s18, v10
	v_addc_co_u32_e32 v12, vcc, 0, v12, vcc
	v_cmp_gt_i64_e32 vcc, s[4:5], v[11:12]
	s_and_saveexec_b64 s[0:1], vcc
	s_cbranch_execz .LBB222_13
; %bb.15:                               ;   in Loop: Header=BB222_14 Depth=1
	global_load_dword v11, v[4:5], off
	global_load_sbyte v13, v[2:3], off
	s_waitcnt vmcnt(1)
	v_subrev_u32_e32 v11, s14, v11
	v_mad_u64_u32 v[11:12], s[8:9], v11, 31, v[1:2]
	v_mov_b32_e32 v12, s3
	v_ashrrev_i32_e32 v14, 31, v11
	v_add_co_u32_e32 v11, vcc, s2, v11
	v_addc_co_u32_e32 v12, vcc, v12, v14, vcc
	global_load_sbyte v11, v[11:12], off
	v_add_co_u32_e32 v2, vcc, 0x3c1, v2
	v_addc_co_u32_e32 v3, vcc, 0, v3, vcc
	s_waitcnt vmcnt(0)
	v_mad_i32_i24 v8, v11, v13, v8
	s_branch .LBB222_13
.LBB222_16:
	v_lshlrev_b32_e32 v1, 2, v0
	s_and_b64 vcc, exec, s[16:17]
	ds_write_b32 v1, v8
	s_waitcnt lgkmcnt(0)
	s_barrier
	s_cbranch_vccz .LBB222_28
; %bb.17:
	v_cmp_gt_u16_e32 vcc, 15, v9
	s_and_saveexec_b64 s[0:1], vcc
	s_cbranch_execz .LBB222_19
; %bb.18:
	ds_read2_b32 v[2:3], v1 offset1:16
	s_waitcnt lgkmcnt(0)
	v_add_u32_e32 v2, v2, v3
	ds_write_b32 v1, v2
.LBB222_19:
	s_or_b64 exec, exec, s[0:1]
	v_cmp_gt_u16_e32 vcc, 8, v9
	s_waitcnt lgkmcnt(0)
	s_barrier
	s_and_saveexec_b64 s[0:1], vcc
	s_cbranch_execz .LBB222_21
; %bb.20:
	ds_read2_b32 v[2:3], v1 offset1:8
	s_waitcnt lgkmcnt(0)
	v_add_u32_e32 v2, v2, v3
	ds_write_b32 v1, v2
.LBB222_21:
	s_or_b64 exec, exec, s[0:1]
	v_cmp_gt_u16_e32 vcc, 4, v9
	s_waitcnt lgkmcnt(0)
	s_barrier
	;; [unrolled: 12-line block ×3, first 2 shown]
	s_and_saveexec_b64 s[0:1], vcc
	s_cbranch_execz .LBB222_25
; %bb.24:
	ds_read2_b32 v[2:3], v1 offset1:2
	s_waitcnt lgkmcnt(0)
	v_add_u32_e32 v2, v2, v3
	ds_write_b32 v1, v2
.LBB222_25:
	s_or_b64 exec, exec, s[0:1]
	v_cmp_gt_u32_e32 vcc, 31, v0
	v_mov_b32_e32 v2, v8
	s_waitcnt lgkmcnt(0)
	s_barrier
	s_and_saveexec_b64 s[0:1], vcc
	s_cbranch_execz .LBB222_27
; %bb.26:
	s_movk_i32 s2, 0x78
	v_mad_u32_u24 v2, v0, s2, v1
	ds_read2_b32 v[2:3], v2 offset1:1
	s_waitcnt lgkmcnt(0)
	v_add_u32_e32 v2, v3, v2
.LBB222_27:
	s_or_b64 exec, exec, s[0:1]
	s_branch .LBB222_40
.LBB222_28:
                                        ; implicit-def: $vgpr2
	s_cbranch_execz .LBB222_40
; %bb.29:
	s_movk_i32 s0, 0x1d1
	v_cmp_gt_u32_e32 vcc, s0, v0
	s_and_saveexec_b64 s[0:1], vcc
	s_cbranch_execz .LBB222_31
; %bb.30:
	ds_read_b32 v2, v1 offset:1984
	ds_read_b32 v3, v1
	s_waitcnt lgkmcnt(0)
	v_add_u32_e32 v2, v3, v2
	ds_write_b32 v1, v2
.LBB222_31:
	s_or_b64 exec, exec, s[0:1]
	s_movk_i32 s0, 0xf8
	v_cmp_gt_u32_e32 vcc, s0, v0
	s_waitcnt lgkmcnt(0)
	s_barrier
	s_and_saveexec_b64 s[0:1], vcc
	s_cbranch_execz .LBB222_33
; %bb.32:
	ds_read2_b32 v[2:3], v1 offset1:248
	s_waitcnt lgkmcnt(0)
	v_add_u32_e32 v2, v2, v3
	ds_write_b32 v1, v2
.LBB222_33:
	s_or_b64 exec, exec, s[0:1]
	s_movk_i32 s0, 0x7c
	v_cmp_gt_u32_e32 vcc, s0, v0
	s_waitcnt lgkmcnt(0)
	s_barrier
	s_and_saveexec_b64 s[0:1], vcc
	s_cbranch_execz .LBB222_35
; %bb.34:
	ds_read2_b32 v[2:3], v1 offset1:124
	s_waitcnt lgkmcnt(0)
	v_add_u32_e32 v2, v2, v3
	ds_write_b32 v1, v2
.LBB222_35:
	s_or_b64 exec, exec, s[0:1]
	v_cmp_gt_u32_e32 vcc, 62, v0
	s_waitcnt lgkmcnt(0)
	s_barrier
	s_and_saveexec_b64 s[0:1], vcc
	s_cbranch_execz .LBB222_37
; %bb.36:
	ds_read2_b32 v[2:3], v1 offset1:62
	s_waitcnt lgkmcnt(0)
	v_add_u32_e32 v2, v2, v3
	ds_write_b32 v1, v2
.LBB222_37:
	s_or_b64 exec, exec, s[0:1]
	v_cmp_gt_u32_e32 vcc, 31, v0
	s_waitcnt lgkmcnt(0)
	s_and_saveexec_b64 s[0:1], vcc
	s_cbranch_execz .LBB222_39
; %bb.38:
	ds_read2_b32 v[1:2], v1 offset1:31
	s_waitcnt lgkmcnt(0)
	v_add_u32_e32 v8, v2, v1
.LBB222_39:
	s_or_b64 exec, exec, s[0:1]
	v_mov_b32_e32 v2, v8
.LBB222_40:
	v_cmp_gt_u32_e32 vcc, 31, v0
	s_and_saveexec_b64 s[0:1], vcc
	s_cbranch_execz .LBB222_44
; %bb.41:
	v_mul_lo_u32 v1, v2, s15
	s_cmp_eq_u32 s22, 0
	s_cbranch_scc1 .LBB222_45
; %bb.42:
	v_mad_u64_u32 v[2:3], s[0:1], s6, 31, v[0:1]
	v_mov_b32_e32 v3, 0
	v_mov_b32_e32 v4, s13
	v_lshlrev_b64 v[2:3], 2, v[2:3]
	v_add_co_u32_e32 v2, vcc, s12, v2
	v_addc_co_u32_e32 v3, vcc, v4, v3, vcc
	global_load_dword v4, v[2:3], off
	s_waitcnt vmcnt(0)
	v_mad_u64_u32 v[4:5], s[0:1], v4, s22, v[1:2]
	global_store_dword v[2:3], v4, off
	s_cbranch_execnz .LBB222_44
.LBB222_43:
	v_mad_u64_u32 v[2:3], s[0:1], s6, 31, v[0:1]
	v_mov_b32_e32 v3, 0
	v_mov_b32_e32 v0, s13
	v_lshlrev_b64 v[2:3], 2, v[2:3]
	v_add_co_u32_e32 v2, vcc, s12, v2
	v_addc_co_u32_e32 v3, vcc, v0, v3, vcc
	global_store_dword v[2:3], v1, off
.LBB222_44:
	s_endpgm
.LBB222_45:
	s_branch .LBB222_43
	.section	.rodata,"a",@progbits
	.p2align	6, 0x0
	.amdhsa_kernel _ZN9rocsparseL20bsrxmvn_17_32_kernelILj31EiliaaiEEvT2_20rocsparse_direction_NS_24const_host_device_scalarIT0_EES1_PKS1_PKT1_SA_S7_PKT3_PKT4_S5_PT5_21rocsparse_index_base_b
		.amdhsa_group_segment_fixed_size 3844
		.amdhsa_private_segment_fixed_size 0
		.amdhsa_kernarg_size 96
		.amdhsa_user_sgpr_count 6
		.amdhsa_user_sgpr_private_segment_buffer 1
		.amdhsa_user_sgpr_dispatch_ptr 0
		.amdhsa_user_sgpr_queue_ptr 0
		.amdhsa_user_sgpr_kernarg_segment_ptr 1
		.amdhsa_user_sgpr_dispatch_id 0
		.amdhsa_user_sgpr_flat_scratch_init 0
		.amdhsa_user_sgpr_private_segment_size 0
		.amdhsa_uses_dynamic_stack 0
		.amdhsa_system_sgpr_private_segment_wavefront_offset 0
		.amdhsa_system_sgpr_workgroup_id_x 1
		.amdhsa_system_sgpr_workgroup_id_y 0
		.amdhsa_system_sgpr_workgroup_id_z 0
		.amdhsa_system_sgpr_workgroup_info 0
		.amdhsa_system_vgpr_workitem_id 0
		.amdhsa_next_free_vgpr 29
		.amdhsa_next_free_sgpr 61
		.amdhsa_reserve_vcc 1
		.amdhsa_reserve_flat_scratch 0
		.amdhsa_float_round_mode_32 0
		.amdhsa_float_round_mode_16_64 0
		.amdhsa_float_denorm_mode_32 3
		.amdhsa_float_denorm_mode_16_64 3
		.amdhsa_dx10_clamp 1
		.amdhsa_ieee_mode 1
		.amdhsa_fp16_overflow 0
		.amdhsa_exception_fp_ieee_invalid_op 0
		.amdhsa_exception_fp_denorm_src 0
		.amdhsa_exception_fp_ieee_div_zero 0
		.amdhsa_exception_fp_ieee_overflow 0
		.amdhsa_exception_fp_ieee_underflow 0
		.amdhsa_exception_fp_ieee_inexact 0
		.amdhsa_exception_int_div_zero 0
	.end_amdhsa_kernel
	.section	.text._ZN9rocsparseL20bsrxmvn_17_32_kernelILj31EiliaaiEEvT2_20rocsparse_direction_NS_24const_host_device_scalarIT0_EES1_PKS1_PKT1_SA_S7_PKT3_PKT4_S5_PT5_21rocsparse_index_base_b,"axG",@progbits,_ZN9rocsparseL20bsrxmvn_17_32_kernelILj31EiliaaiEEvT2_20rocsparse_direction_NS_24const_host_device_scalarIT0_EES1_PKS1_PKT1_SA_S7_PKT3_PKT4_S5_PT5_21rocsparse_index_base_b,comdat
.Lfunc_end222:
	.size	_ZN9rocsparseL20bsrxmvn_17_32_kernelILj31EiliaaiEEvT2_20rocsparse_direction_NS_24const_host_device_scalarIT0_EES1_PKS1_PKT1_SA_S7_PKT3_PKT4_S5_PT5_21rocsparse_index_base_b, .Lfunc_end222-_ZN9rocsparseL20bsrxmvn_17_32_kernelILj31EiliaaiEEvT2_20rocsparse_direction_NS_24const_host_device_scalarIT0_EES1_PKS1_PKT1_SA_S7_PKT3_PKT4_S5_PT5_21rocsparse_index_base_b
                                        ; -- End function
	.set _ZN9rocsparseL20bsrxmvn_17_32_kernelILj31EiliaaiEEvT2_20rocsparse_direction_NS_24const_host_device_scalarIT0_EES1_PKS1_PKT1_SA_S7_PKT3_PKT4_S5_PT5_21rocsparse_index_base_b.num_vgpr, 15
	.set _ZN9rocsparseL20bsrxmvn_17_32_kernelILj31EiliaaiEEvT2_20rocsparse_direction_NS_24const_host_device_scalarIT0_EES1_PKS1_PKT1_SA_S7_PKT3_PKT4_S5_PT5_21rocsparse_index_base_b.num_agpr, 0
	.set _ZN9rocsparseL20bsrxmvn_17_32_kernelILj31EiliaaiEEvT2_20rocsparse_direction_NS_24const_host_device_scalarIT0_EES1_PKS1_PKT1_SA_S7_PKT3_PKT4_S5_PT5_21rocsparse_index_base_b.numbered_sgpr, 23
	.set _ZN9rocsparseL20bsrxmvn_17_32_kernelILj31EiliaaiEEvT2_20rocsparse_direction_NS_24const_host_device_scalarIT0_EES1_PKS1_PKT1_SA_S7_PKT3_PKT4_S5_PT5_21rocsparse_index_base_b.num_named_barrier, 0
	.set _ZN9rocsparseL20bsrxmvn_17_32_kernelILj31EiliaaiEEvT2_20rocsparse_direction_NS_24const_host_device_scalarIT0_EES1_PKS1_PKT1_SA_S7_PKT3_PKT4_S5_PT5_21rocsparse_index_base_b.private_seg_size, 0
	.set _ZN9rocsparseL20bsrxmvn_17_32_kernelILj31EiliaaiEEvT2_20rocsparse_direction_NS_24const_host_device_scalarIT0_EES1_PKS1_PKT1_SA_S7_PKT3_PKT4_S5_PT5_21rocsparse_index_base_b.uses_vcc, 1
	.set _ZN9rocsparseL20bsrxmvn_17_32_kernelILj31EiliaaiEEvT2_20rocsparse_direction_NS_24const_host_device_scalarIT0_EES1_PKS1_PKT1_SA_S7_PKT3_PKT4_S5_PT5_21rocsparse_index_base_b.uses_flat_scratch, 0
	.set _ZN9rocsparseL20bsrxmvn_17_32_kernelILj31EiliaaiEEvT2_20rocsparse_direction_NS_24const_host_device_scalarIT0_EES1_PKS1_PKT1_SA_S7_PKT3_PKT4_S5_PT5_21rocsparse_index_base_b.has_dyn_sized_stack, 0
	.set _ZN9rocsparseL20bsrxmvn_17_32_kernelILj31EiliaaiEEvT2_20rocsparse_direction_NS_24const_host_device_scalarIT0_EES1_PKS1_PKT1_SA_S7_PKT3_PKT4_S5_PT5_21rocsparse_index_base_b.has_recursion, 0
	.set _ZN9rocsparseL20bsrxmvn_17_32_kernelILj31EiliaaiEEvT2_20rocsparse_direction_NS_24const_host_device_scalarIT0_EES1_PKS1_PKT1_SA_S7_PKT3_PKT4_S5_PT5_21rocsparse_index_base_b.has_indirect_call, 0
	.section	.AMDGPU.csdata,"",@progbits
; Kernel info:
; codeLenInByte = 1368
; TotalNumSgprs: 27
; NumVgprs: 15
; ScratchSize: 0
; MemoryBound: 0
; FloatMode: 240
; IeeeMode: 1
; LDSByteSize: 3844 bytes/workgroup (compile time only)
; SGPRBlocks: 8
; VGPRBlocks: 7
; NumSGPRsForWavesPerEU: 65
; NumVGPRsForWavesPerEU: 29
; Occupancy: 8
; WaveLimiterHint : 1
; COMPUTE_PGM_RSRC2:SCRATCH_EN: 0
; COMPUTE_PGM_RSRC2:USER_SGPR: 6
; COMPUTE_PGM_RSRC2:TRAP_HANDLER: 0
; COMPUTE_PGM_RSRC2:TGID_X_EN: 1
; COMPUTE_PGM_RSRC2:TGID_Y_EN: 0
; COMPUTE_PGM_RSRC2:TGID_Z_EN: 0
; COMPUTE_PGM_RSRC2:TIDIG_COMP_CNT: 0
	.section	.text._ZN9rocsparseL20bsrxmvn_17_32_kernelILj32EiliaaiEEvT2_20rocsparse_direction_NS_24const_host_device_scalarIT0_EES1_PKS1_PKT1_SA_S7_PKT3_PKT4_S5_PT5_21rocsparse_index_base_b,"axG",@progbits,_ZN9rocsparseL20bsrxmvn_17_32_kernelILj32EiliaaiEEvT2_20rocsparse_direction_NS_24const_host_device_scalarIT0_EES1_PKS1_PKT1_SA_S7_PKT3_PKT4_S5_PT5_21rocsparse_index_base_b,comdat
	.globl	_ZN9rocsparseL20bsrxmvn_17_32_kernelILj32EiliaaiEEvT2_20rocsparse_direction_NS_24const_host_device_scalarIT0_EES1_PKS1_PKT1_SA_S7_PKT3_PKT4_S5_PT5_21rocsparse_index_base_b ; -- Begin function _ZN9rocsparseL20bsrxmvn_17_32_kernelILj32EiliaaiEEvT2_20rocsparse_direction_NS_24const_host_device_scalarIT0_EES1_PKS1_PKT1_SA_S7_PKT3_PKT4_S5_PT5_21rocsparse_index_base_b
	.p2align	8
	.type	_ZN9rocsparseL20bsrxmvn_17_32_kernelILj32EiliaaiEEvT2_20rocsparse_direction_NS_24const_host_device_scalarIT0_EES1_PKS1_PKT1_SA_S7_PKT3_PKT4_S5_PT5_21rocsparse_index_base_b,@function
_ZN9rocsparseL20bsrxmvn_17_32_kernelILj32EiliaaiEEvT2_20rocsparse_direction_NS_24const_host_device_scalarIT0_EES1_PKS1_PKT1_SA_S7_PKT3_PKT4_S5_PT5_21rocsparse_index_base_b: ; @_ZN9rocsparseL20bsrxmvn_17_32_kernelILj32EiliaaiEEvT2_20rocsparse_direction_NS_24const_host_device_scalarIT0_EES1_PKS1_PKT1_SA_S7_PKT3_PKT4_S5_PT5_21rocsparse_index_base_b
; %bb.0:
	s_load_dwordx2 s[8:9], s[4:5], 0x58
	s_load_dwordx2 s[10:11], s[4:5], 0x8
	s_mov_b64 s[12:13], -1
                                        ; implicit-def: $sgpr18
	s_waitcnt lgkmcnt(0)
	s_bitcmp1_b32 s9, 0
	s_cselect_b64 s[0:1], -1, 0
	s_xor_b64 s[2:3], s[0:1], -1
	s_and_b64 vcc, exec, s[2:3]
	s_cbranch_vccnz .LBB223_4
; %bb.1:
	s_load_dwordx2 s[0:1], s[4:5], 0x48
	s_andn2_b64 vcc, exec, s[12:13]
	s_cbranch_vccz .LBB223_5
.LBB223_2:
	s_and_b64 vcc, exec, s[2:3]
	s_cbranch_vccz .LBB223_6
.LBB223_3:
	s_waitcnt lgkmcnt(0)
	s_load_dword s19, s[0:1], 0x0
	s_cbranch_execz .LBB223_7
	s_branch .LBB223_8
.LBB223_4:
	s_load_dword s18, s[10:11], 0x0
	s_load_dwordx2 s[0:1], s[4:5], 0x48
	s_cbranch_execnz .LBB223_2
.LBB223_5:
	s_waitcnt lgkmcnt(0)
	s_mov_b32 s18, s10
	s_and_b64 vcc, exec, s[2:3]
	s_cbranch_vccnz .LBB223_3
.LBB223_6:
                                        ; implicit-def: $sgpr19
.LBB223_7:
	s_waitcnt lgkmcnt(0)
	s_mov_b32 s19, s0
.LBB223_8:
	s_waitcnt lgkmcnt(0)
	s_cmp_lg_u32 s18, 0
	s_cselect_b64 s[0:1], -1, 0
	s_cmp_lg_u32 s19, 1
	s_cselect_b64 s[2:3], -1, 0
	s_or_b64 s[0:1], s[0:1], s[2:3]
	s_andn2_b64 vcc, exec, s[0:1]
	s_cbranch_vccnz .LBB223_42
; %bb.9:
	s_load_dwordx4 s[0:3], s[4:5], 0x18
	s_load_dwordx2 s[12:13], s[4:5], 0x28
	s_waitcnt lgkmcnt(0)
	s_cmp_eq_u64 s[0:1], 0
	s_cbranch_scc1 .LBB223_11
; %bb.10:
	s_ashr_i32 s7, s6, 31
	s_lshl_b64 s[6:7], s[6:7], 2
	s_add_u32 s0, s0, s6
	s_addc_u32 s1, s1, s7
	s_load_dword s0, s[0:1], 0x0
	s_waitcnt lgkmcnt(0)
	s_sub_i32 s6, s0, s8
.LBB223_11:
	s_load_dword s7, s[4:5], 0x4
	v_and_b32_e32 v6, 31, v0
	v_mov_b32_e32 v5, 0
	s_waitcnt lgkmcnt(0)
	s_cmp_eq_u32 s7, 1
	s_cselect_b64 s[0:1], -1, 0
	s_cmp_lg_u32 s7, 1
	s_cselect_b64 s[10:11], -1, 0
	s_ashr_i32 s7, s6, 31
	s_lshl_b64 s[14:15], s[6:7], 3
	s_add_u32 s20, s2, s14
	s_addc_u32 s21, s3, s15
	s_add_u32 s2, s20, 8
	s_addc_u32 s3, s21, 0
	;; [unrolled: 2-line block ×3, first 2 shown]
	s_cmp_eq_u64 s[12:13], 0
	s_cselect_b32 s13, s3, s9
	s_cselect_b32 s12, s2, s7
	s_load_dwordx2 s[16:17], s[12:13], 0x0
	s_load_dwordx2 s[14:15], s[20:21], 0x0
	;; [unrolled: 1-line block ×3, first 2 shown]
	s_waitcnt lgkmcnt(0)
	v_mov_b32_e32 v1, s16
	v_mov_b32_e32 v2, s17
	v_cmp_ge_i64_e32 vcc, s[14:15], v[1:2]
	s_cbranch_vccnz .LBB223_14
; %bb.12:
	s_sub_u32 s16, s16, s8
	s_load_dwordx4 s[20:23], s[4:5], 0x30
	s_load_dwordx2 s[12:13], s[4:5], 0x40
	s_subb_u32 s17, s17, 0
	v_lshrrev_b32_e32 v1, 5, v0
	v_cndmask_b32_e64 v7, v6, v1, s[0:1]
	s_sub_u32 s0, s14, s8
	s_subb_u32 s1, s15, 0
	s_lshl_b64 s[4:5], s[0:1], 10
	s_waitcnt lgkmcnt(0)
	s_add_u32 s4, s22, s4
	s_mov_b32 s9, 0
	s_addc_u32 s5, s23, s5
	v_mov_b32_e32 v2, s5
	v_add_co_u32_e32 v1, vcc, s4, v0
	s_lshl_b64 s[4:5], s[14:15], 2
	s_lshl_b64 s[14:15], s[8:9], 2
	s_sub_u32 s4, s4, s14
	s_subb_u32 s5, s5, s15
	s_add_u32 s4, s20, s4
	v_mov_b32_e32 v3, s16
	v_mov_b32_e32 v5, 0
	v_addc_co_u32_e32 v2, vcc, 0, v2, vcc
	s_addc_u32 s5, s21, s5
	v_mov_b32_e32 v8, s13
	v_mov_b32_e32 v4, s17
.LBB223_13:                             ; =>This Inner Loop Header: Depth=1
	s_load_dword s7, s[4:5], 0x0
	global_load_sbyte v11, v[1:2], off
	s_waitcnt lgkmcnt(0)
	s_sub_i32 s7, s7, s8
	v_lshl_or_b32 v9, s7, 5, v7
	v_ashrrev_i32_e32 v10, 31, v9
	v_add_co_u32_e32 v9, vcc, s12, v9
	v_addc_co_u32_e32 v10, vcc, v8, v10, vcc
	global_load_sbyte v9, v[9:10], off
	v_add_co_u32_e32 v1, vcc, 0x400, v1
	s_add_u32 s0, s0, 1
	v_addc_co_u32_e32 v2, vcc, 0, v2, vcc
	s_addc_u32 s1, s1, 0
	v_cmp_lt_i64_e32 vcc, s[0:1], v[3:4]
	s_add_u32 s4, s4, 4
	s_addc_u32 s5, s5, 0
	s_waitcnt vmcnt(0)
	v_mad_i32_i24 v5, v9, v11, v5
	s_cbranch_vccnz .LBB223_13
.LBB223_14:
	v_lshlrev_b32_e32 v1, 2, v0
	s_and_b64 vcc, exec, s[10:11]
	ds_write_b32 v1, v5
	s_waitcnt lgkmcnt(0)
	s_barrier
	s_cbranch_vccz .LBB223_26
; %bb.15:
	v_cmp_gt_u32_e32 vcc, 16, v6
	s_and_saveexec_b64 s[0:1], vcc
	s_cbranch_execz .LBB223_17
; %bb.16:
	ds_read2_b32 v[2:3], v1 offset1:16
	s_waitcnt lgkmcnt(0)
	v_add_u32_e32 v2, v2, v3
	ds_write_b32 v1, v2
.LBB223_17:
	s_or_b64 exec, exec, s[0:1]
	v_cmp_gt_u32_e32 vcc, 8, v6
	s_waitcnt lgkmcnt(0)
	s_barrier
	s_and_saveexec_b64 s[0:1], vcc
	s_cbranch_execz .LBB223_19
; %bb.18:
	ds_read2_b32 v[2:3], v1 offset1:8
	s_waitcnt lgkmcnt(0)
	v_add_u32_e32 v2, v2, v3
	ds_write_b32 v1, v2
.LBB223_19:
	s_or_b64 exec, exec, s[0:1]
	v_cmp_gt_u32_e32 vcc, 4, v6
	s_waitcnt lgkmcnt(0)
	s_barrier
	;; [unrolled: 12-line block ×3, first 2 shown]
	s_and_saveexec_b64 s[0:1], vcc
	s_cbranch_execz .LBB223_23
; %bb.22:
	ds_read2_b32 v[2:3], v1 offset1:2
	s_waitcnt lgkmcnt(0)
	v_add_u32_e32 v2, v2, v3
	ds_write_b32 v1, v2
.LBB223_23:
	s_or_b64 exec, exec, s[0:1]
	v_cmp_gt_u32_e32 vcc, 32, v0
	v_mov_b32_e32 v2, v5
	s_waitcnt lgkmcnt(0)
	s_barrier
	s_and_saveexec_b64 s[0:1], vcc
	s_cbranch_execz .LBB223_25
; %bb.24:
	s_movk_i32 s4, 0x7c
	v_mad_u32_u24 v2, v0, s4, v1
	ds_read_b64 v[2:3], v2
	s_waitcnt lgkmcnt(0)
	v_add_u32_e32 v2, v3, v2
.LBB223_25:
	s_or_b64 exec, exec, s[0:1]
	s_branch .LBB223_38
.LBB223_26:
                                        ; implicit-def: $vgpr2
	s_cbranch_execz .LBB223_38
; %bb.27:
	s_movk_i32 s0, 0x200
	v_cmp_gt_u32_e32 vcc, s0, v0
	s_and_saveexec_b64 s[0:1], vcc
	s_cbranch_execz .LBB223_29
; %bb.28:
	ds_read2st64_b32 v[2:3], v1 offset1:8
	s_waitcnt lgkmcnt(0)
	v_add_u32_e32 v2, v2, v3
	ds_write_b32 v1, v2
.LBB223_29:
	s_or_b64 exec, exec, s[0:1]
	s_movk_i32 s0, 0x100
	v_cmp_gt_u32_e32 vcc, s0, v0
	s_waitcnt lgkmcnt(0)
	s_barrier
	s_and_saveexec_b64 s[0:1], vcc
	s_cbranch_execz .LBB223_31
; %bb.30:
	ds_read2st64_b32 v[2:3], v1 offset1:4
	s_waitcnt lgkmcnt(0)
	v_add_u32_e32 v2, v2, v3
	ds_write_b32 v1, v2
.LBB223_31:
	s_or_b64 exec, exec, s[0:1]
	s_movk_i32 s0, 0x80
	v_cmp_gt_u32_e32 vcc, s0, v0
	s_waitcnt lgkmcnt(0)
	s_barrier
	s_and_saveexec_b64 s[0:1], vcc
	s_cbranch_execz .LBB223_33
; %bb.32:
	ds_read2st64_b32 v[2:3], v1 offset1:2
	s_waitcnt lgkmcnt(0)
	v_add_u32_e32 v2, v2, v3
	ds_write_b32 v1, v2
.LBB223_33:
	s_or_b64 exec, exec, s[0:1]
	v_cmp_gt_u32_e32 vcc, 64, v0
	s_waitcnt lgkmcnt(0)
	s_barrier
	s_and_saveexec_b64 s[0:1], vcc
	s_cbranch_execz .LBB223_35
; %bb.34:
	ds_read2st64_b32 v[2:3], v1 offset1:1
	s_waitcnt lgkmcnt(0)
	v_add_u32_e32 v2, v2, v3
	ds_write_b32 v1, v2
.LBB223_35:
	s_or_b64 exec, exec, s[0:1]
	v_cmp_gt_u32_e32 vcc, 32, v0
	s_waitcnt lgkmcnt(0)
	s_and_saveexec_b64 s[0:1], vcc
	s_cbranch_execz .LBB223_37
; %bb.36:
	ds_read2_b32 v[1:2], v1 offset1:32
	s_waitcnt lgkmcnt(0)
	v_add_u32_e32 v5, v2, v1
.LBB223_37:
	s_or_b64 exec, exec, s[0:1]
	v_mov_b32_e32 v2, v5
.LBB223_38:
	v_cmp_gt_u32_e32 vcc, 32, v0
	s_and_saveexec_b64 s[0:1], vcc
	s_cbranch_execz .LBB223_42
; %bb.39:
	v_mul_lo_u32 v1, v2, s18
	s_cmp_eq_u32 s19, 0
	v_lshl_or_b32 v2, s6, 5, v0
	s_cbranch_scc1 .LBB223_43
; %bb.40:
	v_mov_b32_e32 v3, 0
	v_lshlrev_b64 v[3:4], 2, v[2:3]
	v_mov_b32_e32 v0, s3
	v_add_co_u32_e32 v3, vcc, s2, v3
	v_addc_co_u32_e32 v4, vcc, v0, v4, vcc
	global_load_dword v0, v[3:4], off
	s_waitcnt vmcnt(0)
	v_mad_u64_u32 v[5:6], s[0:1], v0, s19, v[1:2]
	global_store_dword v[3:4], v5, off
	s_cbranch_execnz .LBB223_42
.LBB223_41:
	v_mov_b32_e32 v3, 0
	v_lshlrev_b64 v[2:3], 2, v[2:3]
	v_mov_b32_e32 v0, s3
	v_add_co_u32_e32 v2, vcc, s2, v2
	v_addc_co_u32_e32 v3, vcc, v0, v3, vcc
	global_store_dword v[2:3], v1, off
.LBB223_42:
	s_endpgm
.LBB223_43:
	s_branch .LBB223_41
	.section	.rodata,"a",@progbits
	.p2align	6, 0x0
	.amdhsa_kernel _ZN9rocsparseL20bsrxmvn_17_32_kernelILj32EiliaaiEEvT2_20rocsparse_direction_NS_24const_host_device_scalarIT0_EES1_PKS1_PKT1_SA_S7_PKT3_PKT4_S5_PT5_21rocsparse_index_base_b
		.amdhsa_group_segment_fixed_size 4096
		.amdhsa_private_segment_fixed_size 0
		.amdhsa_kernarg_size 96
		.amdhsa_user_sgpr_count 6
		.amdhsa_user_sgpr_private_segment_buffer 1
		.amdhsa_user_sgpr_dispatch_ptr 0
		.amdhsa_user_sgpr_queue_ptr 0
		.amdhsa_user_sgpr_kernarg_segment_ptr 1
		.amdhsa_user_sgpr_dispatch_id 0
		.amdhsa_user_sgpr_flat_scratch_init 0
		.amdhsa_user_sgpr_private_segment_size 0
		.amdhsa_uses_dynamic_stack 0
		.amdhsa_system_sgpr_private_segment_wavefront_offset 0
		.amdhsa_system_sgpr_workgroup_id_x 1
		.amdhsa_system_sgpr_workgroup_id_y 0
		.amdhsa_system_sgpr_workgroup_id_z 0
		.amdhsa_system_sgpr_workgroup_info 0
		.amdhsa_system_vgpr_workitem_id 0
		.amdhsa_next_free_vgpr 29
		.amdhsa_next_free_sgpr 61
		.amdhsa_reserve_vcc 1
		.amdhsa_reserve_flat_scratch 0
		.amdhsa_float_round_mode_32 0
		.amdhsa_float_round_mode_16_64 0
		.amdhsa_float_denorm_mode_32 3
		.amdhsa_float_denorm_mode_16_64 3
		.amdhsa_dx10_clamp 1
		.amdhsa_ieee_mode 1
		.amdhsa_fp16_overflow 0
		.amdhsa_exception_fp_ieee_invalid_op 0
		.amdhsa_exception_fp_denorm_src 0
		.amdhsa_exception_fp_ieee_div_zero 0
		.amdhsa_exception_fp_ieee_overflow 0
		.amdhsa_exception_fp_ieee_underflow 0
		.amdhsa_exception_fp_ieee_inexact 0
		.amdhsa_exception_int_div_zero 0
	.end_amdhsa_kernel
	.section	.text._ZN9rocsparseL20bsrxmvn_17_32_kernelILj32EiliaaiEEvT2_20rocsparse_direction_NS_24const_host_device_scalarIT0_EES1_PKS1_PKT1_SA_S7_PKT3_PKT4_S5_PT5_21rocsparse_index_base_b,"axG",@progbits,_ZN9rocsparseL20bsrxmvn_17_32_kernelILj32EiliaaiEEvT2_20rocsparse_direction_NS_24const_host_device_scalarIT0_EES1_PKS1_PKT1_SA_S7_PKT3_PKT4_S5_PT5_21rocsparse_index_base_b,comdat
.Lfunc_end223:
	.size	_ZN9rocsparseL20bsrxmvn_17_32_kernelILj32EiliaaiEEvT2_20rocsparse_direction_NS_24const_host_device_scalarIT0_EES1_PKS1_PKT1_SA_S7_PKT3_PKT4_S5_PT5_21rocsparse_index_base_b, .Lfunc_end223-_ZN9rocsparseL20bsrxmvn_17_32_kernelILj32EiliaaiEEvT2_20rocsparse_direction_NS_24const_host_device_scalarIT0_EES1_PKS1_PKT1_SA_S7_PKT3_PKT4_S5_PT5_21rocsparse_index_base_b
                                        ; -- End function
	.set _ZN9rocsparseL20bsrxmvn_17_32_kernelILj32EiliaaiEEvT2_20rocsparse_direction_NS_24const_host_device_scalarIT0_EES1_PKS1_PKT1_SA_S7_PKT3_PKT4_S5_PT5_21rocsparse_index_base_b.num_vgpr, 12
	.set _ZN9rocsparseL20bsrxmvn_17_32_kernelILj32EiliaaiEEvT2_20rocsparse_direction_NS_24const_host_device_scalarIT0_EES1_PKS1_PKT1_SA_S7_PKT3_PKT4_S5_PT5_21rocsparse_index_base_b.num_agpr, 0
	.set _ZN9rocsparseL20bsrxmvn_17_32_kernelILj32EiliaaiEEvT2_20rocsparse_direction_NS_24const_host_device_scalarIT0_EES1_PKS1_PKT1_SA_S7_PKT3_PKT4_S5_PT5_21rocsparse_index_base_b.numbered_sgpr, 24
	.set _ZN9rocsparseL20bsrxmvn_17_32_kernelILj32EiliaaiEEvT2_20rocsparse_direction_NS_24const_host_device_scalarIT0_EES1_PKS1_PKT1_SA_S7_PKT3_PKT4_S5_PT5_21rocsparse_index_base_b.num_named_barrier, 0
	.set _ZN9rocsparseL20bsrxmvn_17_32_kernelILj32EiliaaiEEvT2_20rocsparse_direction_NS_24const_host_device_scalarIT0_EES1_PKS1_PKT1_SA_S7_PKT3_PKT4_S5_PT5_21rocsparse_index_base_b.private_seg_size, 0
	.set _ZN9rocsparseL20bsrxmvn_17_32_kernelILj32EiliaaiEEvT2_20rocsparse_direction_NS_24const_host_device_scalarIT0_EES1_PKS1_PKT1_SA_S7_PKT3_PKT4_S5_PT5_21rocsparse_index_base_b.uses_vcc, 1
	.set _ZN9rocsparseL20bsrxmvn_17_32_kernelILj32EiliaaiEEvT2_20rocsparse_direction_NS_24const_host_device_scalarIT0_EES1_PKS1_PKT1_SA_S7_PKT3_PKT4_S5_PT5_21rocsparse_index_base_b.uses_flat_scratch, 0
	.set _ZN9rocsparseL20bsrxmvn_17_32_kernelILj32EiliaaiEEvT2_20rocsparse_direction_NS_24const_host_device_scalarIT0_EES1_PKS1_PKT1_SA_S7_PKT3_PKT4_S5_PT5_21rocsparse_index_base_b.has_dyn_sized_stack, 0
	.set _ZN9rocsparseL20bsrxmvn_17_32_kernelILj32EiliaaiEEvT2_20rocsparse_direction_NS_24const_host_device_scalarIT0_EES1_PKS1_PKT1_SA_S7_PKT3_PKT4_S5_PT5_21rocsparse_index_base_b.has_recursion, 0
	.set _ZN9rocsparseL20bsrxmvn_17_32_kernelILj32EiliaaiEEvT2_20rocsparse_direction_NS_24const_host_device_scalarIT0_EES1_PKS1_PKT1_SA_S7_PKT3_PKT4_S5_PT5_21rocsparse_index_base_b.has_indirect_call, 0
	.section	.AMDGPU.csdata,"",@progbits
; Kernel info:
; codeLenInByte = 1208
; TotalNumSgprs: 28
; NumVgprs: 12
; ScratchSize: 0
; MemoryBound: 0
; FloatMode: 240
; IeeeMode: 1
; LDSByteSize: 4096 bytes/workgroup (compile time only)
; SGPRBlocks: 8
; VGPRBlocks: 7
; NumSGPRsForWavesPerEU: 65
; NumVGPRsForWavesPerEU: 29
; Occupancy: 8
; WaveLimiterHint : 1
; COMPUTE_PGM_RSRC2:SCRATCH_EN: 0
; COMPUTE_PGM_RSRC2:USER_SGPR: 6
; COMPUTE_PGM_RSRC2:TRAP_HANDLER: 0
; COMPUTE_PGM_RSRC2:TGID_X_EN: 1
; COMPUTE_PGM_RSRC2:TGID_Y_EN: 0
; COMPUTE_PGM_RSRC2:TGID_Z_EN: 0
; COMPUTE_PGM_RSRC2:TIDIG_COMP_CNT: 0
	.section	.text._ZN9rocsparseL20bsrxmvn_17_32_kernelILj17EillaaiEEvT2_20rocsparse_direction_NS_24const_host_device_scalarIT0_EES1_PKS1_PKT1_SA_S7_PKT3_PKT4_S5_PT5_21rocsparse_index_base_b,"axG",@progbits,_ZN9rocsparseL20bsrxmvn_17_32_kernelILj17EillaaiEEvT2_20rocsparse_direction_NS_24const_host_device_scalarIT0_EES1_PKS1_PKT1_SA_S7_PKT3_PKT4_S5_PT5_21rocsparse_index_base_b,comdat
	.globl	_ZN9rocsparseL20bsrxmvn_17_32_kernelILj17EillaaiEEvT2_20rocsparse_direction_NS_24const_host_device_scalarIT0_EES1_PKS1_PKT1_SA_S7_PKT3_PKT4_S5_PT5_21rocsparse_index_base_b ; -- Begin function _ZN9rocsparseL20bsrxmvn_17_32_kernelILj17EillaaiEEvT2_20rocsparse_direction_NS_24const_host_device_scalarIT0_EES1_PKS1_PKT1_SA_S7_PKT3_PKT4_S5_PT5_21rocsparse_index_base_b
	.p2align	8
	.type	_ZN9rocsparseL20bsrxmvn_17_32_kernelILj17EillaaiEEvT2_20rocsparse_direction_NS_24const_host_device_scalarIT0_EES1_PKS1_PKT1_SA_S7_PKT3_PKT4_S5_PT5_21rocsparse_index_base_b,@function
_ZN9rocsparseL20bsrxmvn_17_32_kernelILj17EillaaiEEvT2_20rocsparse_direction_NS_24const_host_device_scalarIT0_EES1_PKS1_PKT1_SA_S7_PKT3_PKT4_S5_PT5_21rocsparse_index_base_b: ; @_ZN9rocsparseL20bsrxmvn_17_32_kernelILj17EillaaiEEvT2_20rocsparse_direction_NS_24const_host_device_scalarIT0_EES1_PKS1_PKT1_SA_S7_PKT3_PKT4_S5_PT5_21rocsparse_index_base_b
; %bb.0:
	s_load_dwordx2 s[14:15], s[4:5], 0x60
	s_load_dwordx2 s[8:9], s[4:5], 0x10
	s_mov_b64 s[10:11], -1
	s_waitcnt lgkmcnt(0)
	s_bitcmp1_b32 s15, 0
	s_cselect_b64 s[0:1], -1, 0
	s_xor_b64 s[2:3], s[0:1], -1
	s_and_b64 vcc, exec, s[2:3]
                                        ; implicit-def: $sgpr15
	s_cbranch_vccnz .LBB224_4
; %bb.1:
	s_load_dwordx2 s[0:1], s[4:5], 0x50
	s_andn2_b64 vcc, exec, s[10:11]
	s_cbranch_vccz .LBB224_5
.LBB224_2:
	s_and_b64 vcc, exec, s[2:3]
	s_cbranch_vccz .LBB224_6
.LBB224_3:
	s_waitcnt lgkmcnt(0)
	s_load_dword s20, s[0:1], 0x0
	s_cbranch_execz .LBB224_7
	s_branch .LBB224_8
.LBB224_4:
	s_load_dword s15, s[8:9], 0x0
	s_load_dwordx2 s[0:1], s[4:5], 0x50
	s_cbranch_execnz .LBB224_2
.LBB224_5:
	s_waitcnt lgkmcnt(0)
	s_mov_b32 s15, s8
	s_and_b64 vcc, exec, s[2:3]
	s_cbranch_vccnz .LBB224_3
.LBB224_6:
                                        ; implicit-def: $sgpr20
.LBB224_7:
	s_waitcnt lgkmcnt(0)
	s_mov_b32 s20, s0
.LBB224_8:
	s_waitcnt lgkmcnt(0)
	s_cmp_lg_u32 s15, 0
	s_cselect_b64 s[0:1], -1, 0
	s_cmp_lg_u32 s20, 1
	s_cselect_b64 s[2:3], -1, 0
	s_or_b64 s[0:1], s[0:1], s[2:3]
	s_andn2_b64 vcc, exec, s[0:1]
	s_mov_b32 s7, 0
	s_cbranch_vccnz .LBB224_44
; %bb.9:
	s_load_dwordx4 s[0:3], s[4:5], 0x20
	s_load_dwordx2 s[8:9], s[4:5], 0x30
	s_waitcnt lgkmcnt(0)
	s_cmp_eq_u64 s[0:1], 0
	s_cbranch_scc1 .LBB224_11
; %bb.10:
	s_lshl_b64 s[6:7], s[6:7], 3
	s_add_u32 s0, s0, s6
	s_addc_u32 s1, s1, s7
	s_load_dwordx2 s[0:1], s[0:1], 0x0
	s_waitcnt lgkmcnt(0)
	s_sub_u32 s6, s0, s14
	s_subb_u32 s7, s1, 0
.LBB224_11:
	s_load_dword s10, s[4:5], 0x8
	s_load_dwordx2 s[12:13], s[4:5], 0x58
	v_mul_u32_u24_e32 v1, 0xf10, v0
	v_mov_b32_e32 v2, 17
	v_mul_lo_u16_sdwa v2, v1, v2 dst_sel:DWORD dst_unused:UNUSED_PAD src0_sel:WORD_1 src1_sel:DWORD
	s_waitcnt lgkmcnt(0)
	s_cmp_eq_u32 s10, 1
	s_cselect_b64 s[0:1], -1, 0
	s_cmp_lg_u32 s10, 1
	s_cselect_b64 s[16:17], -1, 0
	s_lshl_b64 s[10:11], s[6:7], 3
	s_add_u32 s22, s2, s10
	s_addc_u32 s23, s3, s11
	s_add_u32 s2, s22, 8
	s_addc_u32 s3, s23, 0
	;; [unrolled: 2-line block ×3, first 2 shown]
	s_cmp_eq_u64 s[8:9], 0
	s_cselect_b32 s9, s3, s11
	s_cselect_b32 s8, s2, s10
	s_load_dwordx2 s[2:3], s[8:9], 0x0
	s_load_dwordx2 s[18:19], s[22:23], 0x0
	v_sub_u16_e32 v8, v0, v2
	v_mov_b32_e32 v7, 0
	s_waitcnt lgkmcnt(0)
	v_mov_b32_e32 v2, s2
	v_mov_b32_e32 v3, s3
	v_cmp_ge_i64_e32 vcc, s[18:19], v[2:3]
	s_cbranch_vccnz .LBB224_16
; %bb.12:
	v_mov_b32_e32 v2, 31
	v_mul_lo_u16_sdwa v2, v1, v2 dst_sel:DWORD dst_unused:UNUSED_PAD src0_sel:WORD_1 src1_sel:DWORD
	s_load_dwordx4 s[8:11], s[4:5], 0x38
	s_load_dwordx2 s[22:23], s[4:5], 0x48
	v_lshrrev_b16_e32 v2, 9, v2
	s_sub_u32 s2, s2, s14
	v_mul_lo_u16_e32 v2, 17, v2
	s_subb_u32 s3, s3, 0
	v_sub_u16_sdwa v1, v1, v2 dst_sel:DWORD dst_unused:UNUSED_PAD src0_sel:WORD_1 src1_sel:DWORD
	s_sub_u32 s4, s18, s14
	v_and_b32_e32 v1, 0xff, v1
	s_subb_u32 s5, s19, 0
	v_cndmask_b32_e64 v1, v8, v1, s[0:1]
	s_mul_i32 s0, s5, 0x121
	s_mul_hi_u32 s1, s4, 0x121
	s_waitcnt lgkmcnt(0)
	v_mov_b32_e32 v2, s23
	v_add_co_u32_e32 v1, vcc, s22, v1
	s_add_i32 s1, s1, s0
	s_mul_i32 s0, s4, 0x121
	v_addc_co_u32_e32 v2, vcc, 0, v2, vcc
	s_add_u32 s0, s10, s0
	s_addc_u32 s1, s11, s1
	v_add_co_u32_e32 v3, vcc, s0, v0
	s_movk_i32 s0, 0xe3
	v_mov_b32_e32 v4, s1
	v_mul_u32_u24_sdwa v5, v0, s0 dst_sel:DWORD dst_unused:UNUSED_PAD src0_sel:WORD_0 src1_sel:DWORD
	v_addc_co_u32_e32 v4, vcc, 0, v4, vcc
	v_lshrrev_b32_e32 v9, 16, v5
	v_mov_b32_e32 v5, s19
	v_add_co_u32_e32 v6, vcc, s18, v9
	v_addc_co_u32_e32 v10, vcc, 0, v5, vcc
	v_subrev_co_u32_e32 v5, vcc, s14, v6
	v_subbrev_co_u32_e32 v6, vcc, 0, v10, vcc
	v_lshlrev_b64 v[5:6], 3, v[5:6]
	v_mov_b32_e32 v10, s9
	v_add_co_u32_e32 v5, vcc, s8, v5
	v_mov_b32_e32 v7, 0
	v_addc_co_u32_e32 v6, vcc, v10, v6, vcc
	s_branch .LBB224_14
.LBB224_13:                             ;   in Loop: Header=BB224_14 Depth=1
	s_or_b64 exec, exec, s[0:1]
	s_add_u32 s4, s4, 1
	v_mov_b32_e32 v11, s3
	s_addc_u32 s5, s5, 0
	v_mov_b32_e32 v10, s2
	v_cmp_lt_i64_e32 vcc, s[4:5], v[10:11]
	v_add_co_u32_e64 v5, s[0:1], 8, v5
	v_addc_co_u32_e64 v6, s[0:1], 0, v6, s[0:1]
	s_cbranch_vccz .LBB224_16
.LBB224_14:                             ; =>This Inner Loop Header: Depth=1
	v_mov_b32_e32 v11, s5
	v_add_co_u32_e32 v10, vcc, s4, v9
	v_addc_co_u32_e32 v11, vcc, 0, v11, vcc
	v_cmp_gt_i64_e32 vcc, s[2:3], v[10:11]
	s_and_saveexec_b64 s[0:1], vcc
	s_cbranch_execz .LBB224_13
; %bb.15:                               ;   in Loop: Header=BB224_14 Depth=1
	global_load_dwordx2 v[10:11], v[5:6], off
	s_waitcnt vmcnt(0)
	v_subrev_co_u32_e32 v10, vcc, s14, v10
	v_subbrev_co_u32_e32 v12, vcc, 0, v11, vcc
	v_mad_u64_u32 v[10:11], s[8:9], v10, 17, v[1:2]
	v_mad_u64_u32 v[11:12], s[8:9], v12, 17, v[11:12]
	global_load_sbyte v12, v[3:4], off
	s_nop 0
	global_load_sbyte v10, v[10:11], off
	v_add_co_u32_e32 v3, vcc, 0x121, v3
	v_addc_co_u32_e32 v4, vcc, 0, v4, vcc
	s_waitcnt vmcnt(0)
	v_mad_i32_i24 v7, v10, v12, v7
	s_branch .LBB224_13
.LBB224_16:
	v_lshlrev_b32_e32 v1, 2, v0
	s_and_b64 vcc, exec, s[16:17]
	ds_write_b32 v1, v7
	s_waitcnt lgkmcnt(0)
	s_barrier
	s_cbranch_vccz .LBB224_28
; %bb.17:
	v_cmp_eq_u16_e32 vcc, 0, v8
	s_and_saveexec_b64 s[0:1], vcc
	s_cbranch_execz .LBB224_19
; %bb.18:
	ds_read2_b32 v[2:3], v1 offset1:16
	s_waitcnt lgkmcnt(0)
	v_add_u32_e32 v2, v2, v3
	ds_write_b32 v1, v2
.LBB224_19:
	s_or_b64 exec, exec, s[0:1]
	v_cmp_gt_u16_e32 vcc, 8, v8
	s_waitcnt lgkmcnt(0)
	s_barrier
	s_and_saveexec_b64 s[0:1], vcc
	s_cbranch_execz .LBB224_21
; %bb.20:
	ds_read2_b32 v[2:3], v1 offset1:8
	s_waitcnt lgkmcnt(0)
	v_add_u32_e32 v2, v2, v3
	ds_write_b32 v1, v2
.LBB224_21:
	s_or_b64 exec, exec, s[0:1]
	v_cmp_gt_u16_e32 vcc, 4, v8
	s_waitcnt lgkmcnt(0)
	s_barrier
	;; [unrolled: 12-line block ×3, first 2 shown]
	s_and_saveexec_b64 s[0:1], vcc
	s_cbranch_execz .LBB224_25
; %bb.24:
	ds_read2_b32 v[2:3], v1 offset1:2
	s_waitcnt lgkmcnt(0)
	v_add_u32_e32 v2, v2, v3
	ds_write_b32 v1, v2
.LBB224_25:
	s_or_b64 exec, exec, s[0:1]
	v_cmp_gt_u32_e32 vcc, 17, v0
	v_mov_b32_e32 v2, v7
	s_waitcnt lgkmcnt(0)
	s_barrier
	s_and_saveexec_b64 s[0:1], vcc
	s_cbranch_execz .LBB224_27
; %bb.26:
	v_lshl_add_u32 v2, v0, 6, v1
	ds_read2_b32 v[2:3], v2 offset1:1
	s_waitcnt lgkmcnt(0)
	v_add_u32_e32 v2, v3, v2
.LBB224_27:
	s_or_b64 exec, exec, s[0:1]
	v_cmp_gt_u32_e64 s[0:1], 17, v0
	s_branch .LBB224_40
.LBB224_28:
                                        ; implicit-def: $vgpr2
	v_cmp_gt_u32_e64 s[0:1], 17, v0
	s_cbranch_execz .LBB224_40
; %bb.29:
	s_and_saveexec_b64 s[2:3], s[0:1]
	s_cbranch_execz .LBB224_31
; %bb.30:
	ds_read_b32 v2, v1 offset:1088
	ds_read_b32 v3, v1
	s_waitcnt lgkmcnt(0)
	v_add_u32_e32 v2, v3, v2
	ds_write_b32 v1, v2
.LBB224_31:
	s_or_b64 exec, exec, s[2:3]
	s_movk_i32 s2, 0x88
	v_cmp_gt_u32_e32 vcc, s2, v0
	s_waitcnt lgkmcnt(0)
	s_barrier
	s_and_saveexec_b64 s[2:3], vcc
	s_cbranch_execz .LBB224_33
; %bb.32:
	ds_read2_b32 v[2:3], v1 offset1:136
	s_waitcnt lgkmcnt(0)
	v_add_u32_e32 v2, v2, v3
	ds_write_b32 v1, v2
.LBB224_33:
	s_or_b64 exec, exec, s[2:3]
	s_movk_i32 s2, 0x44
	v_cmp_gt_u32_e32 vcc, s2, v0
	s_waitcnt lgkmcnt(0)
	s_barrier
	s_and_saveexec_b64 s[2:3], vcc
	s_cbranch_execz .LBB224_35
; %bb.34:
	ds_read2_b32 v[2:3], v1 offset1:68
	s_waitcnt lgkmcnt(0)
	v_add_u32_e32 v2, v2, v3
	ds_write_b32 v1, v2
.LBB224_35:
	s_or_b64 exec, exec, s[2:3]
	v_cmp_gt_u32_e32 vcc, 34, v0
	s_waitcnt lgkmcnt(0)
	s_barrier
	s_and_saveexec_b64 s[2:3], vcc
	s_cbranch_execz .LBB224_37
; %bb.36:
	ds_read2_b32 v[2:3], v1 offset1:34
	s_waitcnt lgkmcnt(0)
	v_add_u32_e32 v2, v2, v3
	ds_write_b32 v1, v2
.LBB224_37:
	s_or_b64 exec, exec, s[2:3]
	s_waitcnt lgkmcnt(0)
	s_and_saveexec_b64 s[2:3], s[0:1]
	s_cbranch_execz .LBB224_39
; %bb.38:
	ds_read2_b32 v[2:3], v1 offset1:17
	s_waitcnt lgkmcnt(0)
	v_add_u32_e32 v7, v3, v2
.LBB224_39:
	s_or_b64 exec, exec, s[2:3]
	v_mov_b32_e32 v2, v7
.LBB224_40:
	v_cmp_gt_u32_e32 vcc, 17, v0
	s_and_saveexec_b64 s[0:1], vcc
	s_cbranch_execz .LBB224_44
; %bb.41:
	v_mul_lo_u32 v0, v2, s15
	s_cmp_eq_u32 s20, 0
	s_mul_i32 s2, s7, 0x44
	s_mul_hi_u32 s3, s6, 0x44
	s_mul_i32 s4, s6, 0x44
	s_cbranch_scc1 .LBB224_45
; %bb.42:
	s_add_i32 s1, s3, s2
	s_add_u32 s0, s12, s4
	s_addc_u32 s1, s13, s1
	global_load_dword v2, v1, s[0:1]
	s_waitcnt vmcnt(0)
	v_mad_u64_u32 v[2:3], s[6:7], v2, s20, v[0:1]
	global_store_dword v1, v2, s[0:1]
	s_cbranch_execnz .LBB224_44
.LBB224_43:
	s_add_i32 s3, s3, s2
	s_add_u32 s0, s12, s4
	s_addc_u32 s1, s13, s3
	global_store_dword v1, v0, s[0:1]
.LBB224_44:
	s_endpgm
.LBB224_45:
	s_branch .LBB224_43
	.section	.rodata,"a",@progbits
	.p2align	6, 0x0
	.amdhsa_kernel _ZN9rocsparseL20bsrxmvn_17_32_kernelILj17EillaaiEEvT2_20rocsparse_direction_NS_24const_host_device_scalarIT0_EES1_PKS1_PKT1_SA_S7_PKT3_PKT4_S5_PT5_21rocsparse_index_base_b
		.amdhsa_group_segment_fixed_size 1156
		.amdhsa_private_segment_fixed_size 0
		.amdhsa_kernarg_size 104
		.amdhsa_user_sgpr_count 6
		.amdhsa_user_sgpr_private_segment_buffer 1
		.amdhsa_user_sgpr_dispatch_ptr 0
		.amdhsa_user_sgpr_queue_ptr 0
		.amdhsa_user_sgpr_kernarg_segment_ptr 1
		.amdhsa_user_sgpr_dispatch_id 0
		.amdhsa_user_sgpr_flat_scratch_init 0
		.amdhsa_user_sgpr_private_segment_size 0
		.amdhsa_uses_dynamic_stack 0
		.amdhsa_system_sgpr_private_segment_wavefront_offset 0
		.amdhsa_system_sgpr_workgroup_id_x 1
		.amdhsa_system_sgpr_workgroup_id_y 0
		.amdhsa_system_sgpr_workgroup_id_z 0
		.amdhsa_system_sgpr_workgroup_info 0
		.amdhsa_system_vgpr_workitem_id 0
		.amdhsa_next_free_vgpr 13
		.amdhsa_next_free_sgpr 24
		.amdhsa_reserve_vcc 1
		.amdhsa_reserve_flat_scratch 0
		.amdhsa_float_round_mode_32 0
		.amdhsa_float_round_mode_16_64 0
		.amdhsa_float_denorm_mode_32 3
		.amdhsa_float_denorm_mode_16_64 3
		.amdhsa_dx10_clamp 1
		.amdhsa_ieee_mode 1
		.amdhsa_fp16_overflow 0
		.amdhsa_exception_fp_ieee_invalid_op 0
		.amdhsa_exception_fp_denorm_src 0
		.amdhsa_exception_fp_ieee_div_zero 0
		.amdhsa_exception_fp_ieee_overflow 0
		.amdhsa_exception_fp_ieee_underflow 0
		.amdhsa_exception_fp_ieee_inexact 0
		.amdhsa_exception_int_div_zero 0
	.end_amdhsa_kernel
	.section	.text._ZN9rocsparseL20bsrxmvn_17_32_kernelILj17EillaaiEEvT2_20rocsparse_direction_NS_24const_host_device_scalarIT0_EES1_PKS1_PKT1_SA_S7_PKT3_PKT4_S5_PT5_21rocsparse_index_base_b,"axG",@progbits,_ZN9rocsparseL20bsrxmvn_17_32_kernelILj17EillaaiEEvT2_20rocsparse_direction_NS_24const_host_device_scalarIT0_EES1_PKS1_PKT1_SA_S7_PKT3_PKT4_S5_PT5_21rocsparse_index_base_b,comdat
.Lfunc_end224:
	.size	_ZN9rocsparseL20bsrxmvn_17_32_kernelILj17EillaaiEEvT2_20rocsparse_direction_NS_24const_host_device_scalarIT0_EES1_PKS1_PKT1_SA_S7_PKT3_PKT4_S5_PT5_21rocsparse_index_base_b, .Lfunc_end224-_ZN9rocsparseL20bsrxmvn_17_32_kernelILj17EillaaiEEvT2_20rocsparse_direction_NS_24const_host_device_scalarIT0_EES1_PKS1_PKT1_SA_S7_PKT3_PKT4_S5_PT5_21rocsparse_index_base_b
                                        ; -- End function
	.set _ZN9rocsparseL20bsrxmvn_17_32_kernelILj17EillaaiEEvT2_20rocsparse_direction_NS_24const_host_device_scalarIT0_EES1_PKS1_PKT1_SA_S7_PKT3_PKT4_S5_PT5_21rocsparse_index_base_b.num_vgpr, 13
	.set _ZN9rocsparseL20bsrxmvn_17_32_kernelILj17EillaaiEEvT2_20rocsparse_direction_NS_24const_host_device_scalarIT0_EES1_PKS1_PKT1_SA_S7_PKT3_PKT4_S5_PT5_21rocsparse_index_base_b.num_agpr, 0
	.set _ZN9rocsparseL20bsrxmvn_17_32_kernelILj17EillaaiEEvT2_20rocsparse_direction_NS_24const_host_device_scalarIT0_EES1_PKS1_PKT1_SA_S7_PKT3_PKT4_S5_PT5_21rocsparse_index_base_b.numbered_sgpr, 24
	.set _ZN9rocsparseL20bsrxmvn_17_32_kernelILj17EillaaiEEvT2_20rocsparse_direction_NS_24const_host_device_scalarIT0_EES1_PKS1_PKT1_SA_S7_PKT3_PKT4_S5_PT5_21rocsparse_index_base_b.num_named_barrier, 0
	.set _ZN9rocsparseL20bsrxmvn_17_32_kernelILj17EillaaiEEvT2_20rocsparse_direction_NS_24const_host_device_scalarIT0_EES1_PKS1_PKT1_SA_S7_PKT3_PKT4_S5_PT5_21rocsparse_index_base_b.private_seg_size, 0
	.set _ZN9rocsparseL20bsrxmvn_17_32_kernelILj17EillaaiEEvT2_20rocsparse_direction_NS_24const_host_device_scalarIT0_EES1_PKS1_PKT1_SA_S7_PKT3_PKT4_S5_PT5_21rocsparse_index_base_b.uses_vcc, 1
	.set _ZN9rocsparseL20bsrxmvn_17_32_kernelILj17EillaaiEEvT2_20rocsparse_direction_NS_24const_host_device_scalarIT0_EES1_PKS1_PKT1_SA_S7_PKT3_PKT4_S5_PT5_21rocsparse_index_base_b.uses_flat_scratch, 0
	.set _ZN9rocsparseL20bsrxmvn_17_32_kernelILj17EillaaiEEvT2_20rocsparse_direction_NS_24const_host_device_scalarIT0_EES1_PKS1_PKT1_SA_S7_PKT3_PKT4_S5_PT5_21rocsparse_index_base_b.has_dyn_sized_stack, 0
	.set _ZN9rocsparseL20bsrxmvn_17_32_kernelILj17EillaaiEEvT2_20rocsparse_direction_NS_24const_host_device_scalarIT0_EES1_PKS1_PKT1_SA_S7_PKT3_PKT4_S5_PT5_21rocsparse_index_base_b.has_recursion, 0
	.set _ZN9rocsparseL20bsrxmvn_17_32_kernelILj17EillaaiEEvT2_20rocsparse_direction_NS_24const_host_device_scalarIT0_EES1_PKS1_PKT1_SA_S7_PKT3_PKT4_S5_PT5_21rocsparse_index_base_b.has_indirect_call, 0
	.section	.AMDGPU.csdata,"",@progbits
; Kernel info:
; codeLenInByte = 1368
; TotalNumSgprs: 28
; NumVgprs: 13
; ScratchSize: 0
; MemoryBound: 0
; FloatMode: 240
; IeeeMode: 1
; LDSByteSize: 1156 bytes/workgroup (compile time only)
; SGPRBlocks: 3
; VGPRBlocks: 3
; NumSGPRsForWavesPerEU: 28
; NumVGPRsForWavesPerEU: 13
; Occupancy: 10
; WaveLimiterHint : 1
; COMPUTE_PGM_RSRC2:SCRATCH_EN: 0
; COMPUTE_PGM_RSRC2:USER_SGPR: 6
; COMPUTE_PGM_RSRC2:TRAP_HANDLER: 0
; COMPUTE_PGM_RSRC2:TGID_X_EN: 1
; COMPUTE_PGM_RSRC2:TGID_Y_EN: 0
; COMPUTE_PGM_RSRC2:TGID_Z_EN: 0
; COMPUTE_PGM_RSRC2:TIDIG_COMP_CNT: 0
	.section	.text._ZN9rocsparseL20bsrxmvn_17_32_kernelILj18EillaaiEEvT2_20rocsparse_direction_NS_24const_host_device_scalarIT0_EES1_PKS1_PKT1_SA_S7_PKT3_PKT4_S5_PT5_21rocsparse_index_base_b,"axG",@progbits,_ZN9rocsparseL20bsrxmvn_17_32_kernelILj18EillaaiEEvT2_20rocsparse_direction_NS_24const_host_device_scalarIT0_EES1_PKS1_PKT1_SA_S7_PKT3_PKT4_S5_PT5_21rocsparse_index_base_b,comdat
	.globl	_ZN9rocsparseL20bsrxmvn_17_32_kernelILj18EillaaiEEvT2_20rocsparse_direction_NS_24const_host_device_scalarIT0_EES1_PKS1_PKT1_SA_S7_PKT3_PKT4_S5_PT5_21rocsparse_index_base_b ; -- Begin function _ZN9rocsparseL20bsrxmvn_17_32_kernelILj18EillaaiEEvT2_20rocsparse_direction_NS_24const_host_device_scalarIT0_EES1_PKS1_PKT1_SA_S7_PKT3_PKT4_S5_PT5_21rocsparse_index_base_b
	.p2align	8
	.type	_ZN9rocsparseL20bsrxmvn_17_32_kernelILj18EillaaiEEvT2_20rocsparse_direction_NS_24const_host_device_scalarIT0_EES1_PKS1_PKT1_SA_S7_PKT3_PKT4_S5_PT5_21rocsparse_index_base_b,@function
_ZN9rocsparseL20bsrxmvn_17_32_kernelILj18EillaaiEEvT2_20rocsparse_direction_NS_24const_host_device_scalarIT0_EES1_PKS1_PKT1_SA_S7_PKT3_PKT4_S5_PT5_21rocsparse_index_base_b: ; @_ZN9rocsparseL20bsrxmvn_17_32_kernelILj18EillaaiEEvT2_20rocsparse_direction_NS_24const_host_device_scalarIT0_EES1_PKS1_PKT1_SA_S7_PKT3_PKT4_S5_PT5_21rocsparse_index_base_b
; %bb.0:
	s_load_dwordx2 s[14:15], s[4:5], 0x60
	s_load_dwordx2 s[8:9], s[4:5], 0x10
	s_mov_b64 s[10:11], -1
	s_waitcnt lgkmcnt(0)
	s_bitcmp1_b32 s15, 0
	s_cselect_b64 s[0:1], -1, 0
	s_xor_b64 s[2:3], s[0:1], -1
	s_and_b64 vcc, exec, s[2:3]
                                        ; implicit-def: $sgpr15
	s_cbranch_vccnz .LBB225_4
; %bb.1:
	s_load_dwordx2 s[0:1], s[4:5], 0x50
	s_andn2_b64 vcc, exec, s[10:11]
	s_cbranch_vccz .LBB225_5
.LBB225_2:
	s_and_b64 vcc, exec, s[2:3]
	s_cbranch_vccz .LBB225_6
.LBB225_3:
	s_waitcnt lgkmcnt(0)
	s_load_dword s20, s[0:1], 0x0
	s_cbranch_execz .LBB225_7
	s_branch .LBB225_8
.LBB225_4:
	s_load_dword s15, s[8:9], 0x0
	s_load_dwordx2 s[0:1], s[4:5], 0x50
	s_cbranch_execnz .LBB225_2
.LBB225_5:
	s_waitcnt lgkmcnt(0)
	s_mov_b32 s15, s8
	s_and_b64 vcc, exec, s[2:3]
	s_cbranch_vccnz .LBB225_3
.LBB225_6:
                                        ; implicit-def: $sgpr20
.LBB225_7:
	s_waitcnt lgkmcnt(0)
	s_mov_b32 s20, s0
.LBB225_8:
	s_waitcnt lgkmcnt(0)
	s_cmp_lg_u32 s15, 0
	s_cselect_b64 s[0:1], -1, 0
	s_cmp_lg_u32 s20, 1
	s_cselect_b64 s[2:3], -1, 0
	s_or_b64 s[0:1], s[0:1], s[2:3]
	s_andn2_b64 vcc, exec, s[0:1]
	s_mov_b32 s7, 0
	s_cbranch_vccnz .LBB225_44
; %bb.9:
	s_load_dwordx4 s[0:3], s[4:5], 0x20
	s_load_dwordx2 s[8:9], s[4:5], 0x30
	s_waitcnt lgkmcnt(0)
	s_cmp_eq_u64 s[0:1], 0
	s_cbranch_scc1 .LBB225_11
; %bb.10:
	s_lshl_b64 s[6:7], s[6:7], 3
	s_add_u32 s0, s0, s6
	s_addc_u32 s1, s1, s7
	s_load_dwordx2 s[0:1], s[0:1], 0x0
	s_waitcnt lgkmcnt(0)
	s_sub_u32 s6, s0, s14
	s_subb_u32 s7, s1, 0
.LBB225_11:
	s_load_dword s10, s[4:5], 0x8
	s_load_dwordx2 s[12:13], s[4:5], 0x58
	v_mul_u32_u24_e32 v1, 0xe39, v0
	v_mov_b32_e32 v2, 18
	v_mul_lo_u16_sdwa v3, v1, v2 dst_sel:DWORD dst_unused:UNUSED_PAD src0_sel:WORD_1 src1_sel:DWORD
	s_waitcnt lgkmcnt(0)
	s_cmp_eq_u32 s10, 1
	s_cselect_b64 s[0:1], -1, 0
	s_cmp_lg_u32 s10, 1
	s_cselect_b64 s[16:17], -1, 0
	s_lshl_b64 s[10:11], s[6:7], 3
	s_add_u32 s22, s2, s10
	s_addc_u32 s23, s3, s11
	s_add_u32 s2, s22, 8
	s_addc_u32 s3, s23, 0
	;; [unrolled: 2-line block ×3, first 2 shown]
	s_cmp_eq_u64 s[8:9], 0
	s_cselect_b32 s9, s3, s11
	s_cselect_b32 s8, s2, s10
	s_load_dwordx2 s[2:3], s[8:9], 0x0
	s_load_dwordx2 s[18:19], s[22:23], 0x0
	v_sub_u16_e32 v8, v0, v3
	v_mov_b32_e32 v7, 0
	s_waitcnt lgkmcnt(0)
	v_mov_b32_e32 v4, s3
	v_mov_b32_e32 v3, s2
	v_cmp_ge_i64_e32 vcc, s[18:19], v[3:4]
	s_cbranch_vccnz .LBB225_16
; %bb.12:
	v_mov_b32_e32 v3, 15
	s_load_dwordx4 s[8:11], s[4:5], 0x38
	s_load_dwordx2 s[22:23], s[4:5], 0x48
	v_mul_lo_u16_sdwa v3, v1, v3 dst_sel:DWORD dst_unused:UNUSED_PAD src0_sel:WORD_1 src1_sel:DWORD
	s_sub_u32 s2, s2, s14
	v_mul_lo_u16_sdwa v2, v3, v2 dst_sel:DWORD dst_unused:UNUSED_PAD src0_sel:BYTE_1 src1_sel:DWORD
	s_subb_u32 s3, s3, 0
	v_sub_u16_sdwa v1, v1, v2 dst_sel:DWORD dst_unused:UNUSED_PAD src0_sel:WORD_1 src1_sel:DWORD
	s_sub_u32 s4, s18, s14
	v_and_b32_e32 v1, 0xff, v1
	s_subb_u32 s5, s19, 0
	v_cndmask_b32_e64 v1, v8, v1, s[0:1]
	s_mul_i32 s0, s5, 0x144
	s_mul_hi_u32 s1, s4, 0x144
	s_waitcnt lgkmcnt(0)
	v_mov_b32_e32 v2, s23
	v_add_co_u32_e32 v1, vcc, s22, v1
	s_add_i32 s1, s1, s0
	s_mul_i32 s0, s4, 0x144
	v_addc_co_u32_e32 v2, vcc, 0, v2, vcc
	s_add_u32 s0, s10, s0
	s_addc_u32 s1, s11, s1
	v_add_co_u32_e32 v3, vcc, s0, v0
	s_movk_i32 s0, 0x195
	v_mov_b32_e32 v4, s1
	v_mul_u32_u24_sdwa v5, v0, s0 dst_sel:DWORD dst_unused:UNUSED_PAD src0_sel:WORD_0 src1_sel:DWORD
	v_addc_co_u32_e32 v4, vcc, 0, v4, vcc
	v_lshrrev_b32_e32 v9, 17, v5
	v_mov_b32_e32 v5, s19
	v_add_co_u32_e32 v6, vcc, s18, v9
	v_addc_co_u32_e32 v10, vcc, 0, v5, vcc
	v_subrev_co_u32_e32 v5, vcc, s14, v6
	v_subbrev_co_u32_e32 v6, vcc, 0, v10, vcc
	v_lshlrev_b64 v[5:6], 3, v[5:6]
	v_mov_b32_e32 v10, s9
	v_add_co_u32_e32 v5, vcc, s8, v5
	v_mov_b32_e32 v7, 0
	v_addc_co_u32_e32 v6, vcc, v10, v6, vcc
	s_branch .LBB225_14
.LBB225_13:                             ;   in Loop: Header=BB225_14 Depth=1
	s_or_b64 exec, exec, s[0:1]
	s_add_u32 s4, s4, 1
	v_mov_b32_e32 v11, s3
	s_addc_u32 s5, s5, 0
	v_mov_b32_e32 v10, s2
	v_cmp_lt_i64_e32 vcc, s[4:5], v[10:11]
	v_add_co_u32_e64 v5, s[0:1], 8, v5
	v_addc_co_u32_e64 v6, s[0:1], 0, v6, s[0:1]
	s_cbranch_vccz .LBB225_16
.LBB225_14:                             ; =>This Inner Loop Header: Depth=1
	v_mov_b32_e32 v11, s5
	v_add_co_u32_e32 v10, vcc, s4, v9
	v_addc_co_u32_e32 v11, vcc, 0, v11, vcc
	v_cmp_gt_i64_e32 vcc, s[2:3], v[10:11]
	s_and_saveexec_b64 s[0:1], vcc
	s_cbranch_execz .LBB225_13
; %bb.15:                               ;   in Loop: Header=BB225_14 Depth=1
	global_load_dwordx2 v[10:11], v[5:6], off
	s_waitcnt vmcnt(0)
	v_subrev_co_u32_e32 v10, vcc, s14, v10
	v_subbrev_co_u32_e32 v12, vcc, 0, v11, vcc
	v_mad_u64_u32 v[10:11], s[8:9], v10, 18, v[1:2]
	v_mad_u64_u32 v[11:12], s[8:9], v12, 18, v[11:12]
	global_load_sbyte v12, v[3:4], off
	s_nop 0
	global_load_sbyte v10, v[10:11], off
	v_add_co_u32_e32 v3, vcc, 0x144, v3
	v_addc_co_u32_e32 v4, vcc, 0, v4, vcc
	s_waitcnt vmcnt(0)
	v_mad_i32_i24 v7, v10, v12, v7
	s_branch .LBB225_13
.LBB225_16:
	v_lshlrev_b32_e32 v1, 2, v0
	s_and_b64 vcc, exec, s[16:17]
	ds_write_b32 v1, v7
	s_waitcnt lgkmcnt(0)
	s_barrier
	s_cbranch_vccz .LBB225_28
; %bb.17:
	v_cmp_gt_u16_e32 vcc, 2, v8
	s_and_saveexec_b64 s[0:1], vcc
	s_cbranch_execz .LBB225_19
; %bb.18:
	ds_read2_b32 v[2:3], v1 offset1:16
	s_waitcnt lgkmcnt(0)
	v_add_u32_e32 v2, v2, v3
	ds_write_b32 v1, v2
.LBB225_19:
	s_or_b64 exec, exec, s[0:1]
	v_cmp_gt_u16_e64 s[0:1], 8, v8
	s_waitcnt lgkmcnt(0)
	s_barrier
	s_and_saveexec_b64 s[2:3], s[0:1]
	s_cbranch_execz .LBB225_21
; %bb.20:
	ds_read2_b32 v[2:3], v1 offset1:8
	s_waitcnt lgkmcnt(0)
	v_add_u32_e32 v2, v2, v3
	ds_write_b32 v1, v2
.LBB225_21:
	s_or_b64 exec, exec, s[2:3]
	v_cmp_gt_u16_e64 s[0:1], 4, v8
	s_waitcnt lgkmcnt(0)
	s_barrier
	s_and_saveexec_b64 s[2:3], s[0:1]
	s_cbranch_execz .LBB225_23
; %bb.22:
	ds_read2_b32 v[2:3], v1 offset1:4
	s_waitcnt lgkmcnt(0)
	v_add_u32_e32 v2, v2, v3
	ds_write_b32 v1, v2
.LBB225_23:
	s_or_b64 exec, exec, s[2:3]
	s_waitcnt lgkmcnt(0)
	s_barrier
	s_and_saveexec_b64 s[0:1], vcc
	s_cbranch_execz .LBB225_25
; %bb.24:
	ds_read2_b32 v[2:3], v1 offset1:2
	s_waitcnt lgkmcnt(0)
	v_add_u32_e32 v2, v2, v3
	ds_write_b32 v1, v2
.LBB225_25:
	s_or_b64 exec, exec, s[0:1]
	v_cmp_gt_u32_e32 vcc, 18, v0
	v_mov_b32_e32 v2, v7
	s_waitcnt lgkmcnt(0)
	s_barrier
	s_and_saveexec_b64 s[0:1], vcc
	s_cbranch_execz .LBB225_27
; %bb.26:
	s_movk_i32 s2, 0x44
	v_mad_u32_u24 v2, v0, s2, v1
	ds_read_b64 v[2:3], v2
	s_waitcnt lgkmcnt(0)
	v_add_u32_e32 v2, v3, v2
.LBB225_27:
	s_or_b64 exec, exec, s[0:1]
	s_branch .LBB225_40
.LBB225_28:
                                        ; implicit-def: $vgpr2
	s_cbranch_execz .LBB225_40
; %bb.29:
	v_cmp_gt_u32_e32 vcc, 36, v0
	s_and_saveexec_b64 s[0:1], vcc
	s_cbranch_execz .LBB225_31
; %bb.30:
	ds_read_b32 v2, v1 offset:1152
	ds_read_b32 v3, v1
	s_waitcnt lgkmcnt(0)
	v_add_u32_e32 v2, v3, v2
	ds_write_b32 v1, v2
.LBB225_31:
	s_or_b64 exec, exec, s[0:1]
	s_movk_i32 s0, 0x90
	v_cmp_gt_u32_e64 s[0:1], s0, v0
	s_waitcnt lgkmcnt(0)
	s_barrier
	s_and_saveexec_b64 s[2:3], s[0:1]
	s_cbranch_execz .LBB225_33
; %bb.32:
	ds_read2_b32 v[2:3], v1 offset1:144
	s_waitcnt lgkmcnt(0)
	v_add_u32_e32 v2, v2, v3
	ds_write_b32 v1, v2
.LBB225_33:
	s_or_b64 exec, exec, s[2:3]
	s_movk_i32 s0, 0x48
	v_cmp_gt_u32_e64 s[0:1], s0, v0
	s_waitcnt lgkmcnt(0)
	s_barrier
	s_and_saveexec_b64 s[2:3], s[0:1]
	s_cbranch_execz .LBB225_35
; %bb.34:
	ds_read2_b32 v[2:3], v1 offset1:72
	s_waitcnt lgkmcnt(0)
	v_add_u32_e32 v2, v2, v3
	ds_write_b32 v1, v2
.LBB225_35:
	s_or_b64 exec, exec, s[2:3]
	s_waitcnt lgkmcnt(0)
	s_barrier
	s_and_saveexec_b64 s[0:1], vcc
	s_cbranch_execz .LBB225_37
; %bb.36:
	ds_read2_b32 v[2:3], v1 offset1:36
	s_waitcnt lgkmcnt(0)
	v_add_u32_e32 v2, v2, v3
	ds_write_b32 v1, v2
.LBB225_37:
	s_or_b64 exec, exec, s[0:1]
	v_cmp_gt_u32_e32 vcc, 18, v0
	s_waitcnt lgkmcnt(0)
	s_and_saveexec_b64 s[0:1], vcc
	s_cbranch_execz .LBB225_39
; %bb.38:
	ds_read2_b32 v[2:3], v1 offset1:18
	s_waitcnt lgkmcnt(0)
	v_add_u32_e32 v7, v3, v2
.LBB225_39:
	s_or_b64 exec, exec, s[0:1]
	v_mov_b32_e32 v2, v7
.LBB225_40:
	v_cmp_gt_u32_e32 vcc, 18, v0
	s_and_saveexec_b64 s[0:1], vcc
	s_cbranch_execz .LBB225_44
; %bb.41:
	v_mul_lo_u32 v0, v2, s15
	s_cmp_eq_u32 s20, 0
	s_mul_i32 s2, s7, 0x48
	s_mul_hi_u32 s3, s6, 0x48
	s_mul_i32 s4, s6, 0x48
	s_cbranch_scc1 .LBB225_45
; %bb.42:
	s_add_i32 s1, s3, s2
	s_add_u32 s0, s12, s4
	s_addc_u32 s1, s13, s1
	global_load_dword v2, v1, s[0:1]
	s_waitcnt vmcnt(0)
	v_mad_u64_u32 v[2:3], s[6:7], v2, s20, v[0:1]
	global_store_dword v1, v2, s[0:1]
	s_cbranch_execnz .LBB225_44
.LBB225_43:
	s_add_i32 s3, s3, s2
	s_add_u32 s0, s12, s4
	s_addc_u32 s1, s13, s3
	global_store_dword v1, v0, s[0:1]
.LBB225_44:
	s_endpgm
.LBB225_45:
	s_branch .LBB225_43
	.section	.rodata,"a",@progbits
	.p2align	6, 0x0
	.amdhsa_kernel _ZN9rocsparseL20bsrxmvn_17_32_kernelILj18EillaaiEEvT2_20rocsparse_direction_NS_24const_host_device_scalarIT0_EES1_PKS1_PKT1_SA_S7_PKT3_PKT4_S5_PT5_21rocsparse_index_base_b
		.amdhsa_group_segment_fixed_size 1296
		.amdhsa_private_segment_fixed_size 0
		.amdhsa_kernarg_size 104
		.amdhsa_user_sgpr_count 6
		.amdhsa_user_sgpr_private_segment_buffer 1
		.amdhsa_user_sgpr_dispatch_ptr 0
		.amdhsa_user_sgpr_queue_ptr 0
		.amdhsa_user_sgpr_kernarg_segment_ptr 1
		.amdhsa_user_sgpr_dispatch_id 0
		.amdhsa_user_sgpr_flat_scratch_init 0
		.amdhsa_user_sgpr_private_segment_size 0
		.amdhsa_uses_dynamic_stack 0
		.amdhsa_system_sgpr_private_segment_wavefront_offset 0
		.amdhsa_system_sgpr_workgroup_id_x 1
		.amdhsa_system_sgpr_workgroup_id_y 0
		.amdhsa_system_sgpr_workgroup_id_z 0
		.amdhsa_system_sgpr_workgroup_info 0
		.amdhsa_system_vgpr_workitem_id 0
		.amdhsa_next_free_vgpr 13
		.amdhsa_next_free_sgpr 24
		.amdhsa_reserve_vcc 1
		.amdhsa_reserve_flat_scratch 0
		.amdhsa_float_round_mode_32 0
		.amdhsa_float_round_mode_16_64 0
		.amdhsa_float_denorm_mode_32 3
		.amdhsa_float_denorm_mode_16_64 3
		.amdhsa_dx10_clamp 1
		.amdhsa_ieee_mode 1
		.amdhsa_fp16_overflow 0
		.amdhsa_exception_fp_ieee_invalid_op 0
		.amdhsa_exception_fp_denorm_src 0
		.amdhsa_exception_fp_ieee_div_zero 0
		.amdhsa_exception_fp_ieee_overflow 0
		.amdhsa_exception_fp_ieee_underflow 0
		.amdhsa_exception_fp_ieee_inexact 0
		.amdhsa_exception_int_div_zero 0
	.end_amdhsa_kernel
	.section	.text._ZN9rocsparseL20bsrxmvn_17_32_kernelILj18EillaaiEEvT2_20rocsparse_direction_NS_24const_host_device_scalarIT0_EES1_PKS1_PKT1_SA_S7_PKT3_PKT4_S5_PT5_21rocsparse_index_base_b,"axG",@progbits,_ZN9rocsparseL20bsrxmvn_17_32_kernelILj18EillaaiEEvT2_20rocsparse_direction_NS_24const_host_device_scalarIT0_EES1_PKS1_PKT1_SA_S7_PKT3_PKT4_S5_PT5_21rocsparse_index_base_b,comdat
.Lfunc_end225:
	.size	_ZN9rocsparseL20bsrxmvn_17_32_kernelILj18EillaaiEEvT2_20rocsparse_direction_NS_24const_host_device_scalarIT0_EES1_PKS1_PKT1_SA_S7_PKT3_PKT4_S5_PT5_21rocsparse_index_base_b, .Lfunc_end225-_ZN9rocsparseL20bsrxmvn_17_32_kernelILj18EillaaiEEvT2_20rocsparse_direction_NS_24const_host_device_scalarIT0_EES1_PKS1_PKT1_SA_S7_PKT3_PKT4_S5_PT5_21rocsparse_index_base_b
                                        ; -- End function
	.set _ZN9rocsparseL20bsrxmvn_17_32_kernelILj18EillaaiEEvT2_20rocsparse_direction_NS_24const_host_device_scalarIT0_EES1_PKS1_PKT1_SA_S7_PKT3_PKT4_S5_PT5_21rocsparse_index_base_b.num_vgpr, 13
	.set _ZN9rocsparseL20bsrxmvn_17_32_kernelILj18EillaaiEEvT2_20rocsparse_direction_NS_24const_host_device_scalarIT0_EES1_PKS1_PKT1_SA_S7_PKT3_PKT4_S5_PT5_21rocsparse_index_base_b.num_agpr, 0
	.set _ZN9rocsparseL20bsrxmvn_17_32_kernelILj18EillaaiEEvT2_20rocsparse_direction_NS_24const_host_device_scalarIT0_EES1_PKS1_PKT1_SA_S7_PKT3_PKT4_S5_PT5_21rocsparse_index_base_b.numbered_sgpr, 24
	.set _ZN9rocsparseL20bsrxmvn_17_32_kernelILj18EillaaiEEvT2_20rocsparse_direction_NS_24const_host_device_scalarIT0_EES1_PKS1_PKT1_SA_S7_PKT3_PKT4_S5_PT5_21rocsparse_index_base_b.num_named_barrier, 0
	.set _ZN9rocsparseL20bsrxmvn_17_32_kernelILj18EillaaiEEvT2_20rocsparse_direction_NS_24const_host_device_scalarIT0_EES1_PKS1_PKT1_SA_S7_PKT3_PKT4_S5_PT5_21rocsparse_index_base_b.private_seg_size, 0
	.set _ZN9rocsparseL20bsrxmvn_17_32_kernelILj18EillaaiEEvT2_20rocsparse_direction_NS_24const_host_device_scalarIT0_EES1_PKS1_PKT1_SA_S7_PKT3_PKT4_S5_PT5_21rocsparse_index_base_b.uses_vcc, 1
	.set _ZN9rocsparseL20bsrxmvn_17_32_kernelILj18EillaaiEEvT2_20rocsparse_direction_NS_24const_host_device_scalarIT0_EES1_PKS1_PKT1_SA_S7_PKT3_PKT4_S5_PT5_21rocsparse_index_base_b.uses_flat_scratch, 0
	.set _ZN9rocsparseL20bsrxmvn_17_32_kernelILj18EillaaiEEvT2_20rocsparse_direction_NS_24const_host_device_scalarIT0_EES1_PKS1_PKT1_SA_S7_PKT3_PKT4_S5_PT5_21rocsparse_index_base_b.has_dyn_sized_stack, 0
	.set _ZN9rocsparseL20bsrxmvn_17_32_kernelILj18EillaaiEEvT2_20rocsparse_direction_NS_24const_host_device_scalarIT0_EES1_PKS1_PKT1_SA_S7_PKT3_PKT4_S5_PT5_21rocsparse_index_base_b.has_recursion, 0
	.set _ZN9rocsparseL20bsrxmvn_17_32_kernelILj18EillaaiEEvT2_20rocsparse_direction_NS_24const_host_device_scalarIT0_EES1_PKS1_PKT1_SA_S7_PKT3_PKT4_S5_PT5_21rocsparse_index_base_b.has_indirect_call, 0
	.section	.AMDGPU.csdata,"",@progbits
; Kernel info:
; codeLenInByte = 1372
; TotalNumSgprs: 28
; NumVgprs: 13
; ScratchSize: 0
; MemoryBound: 0
; FloatMode: 240
; IeeeMode: 1
; LDSByteSize: 1296 bytes/workgroup (compile time only)
; SGPRBlocks: 3
; VGPRBlocks: 3
; NumSGPRsForWavesPerEU: 28
; NumVGPRsForWavesPerEU: 13
; Occupancy: 10
; WaveLimiterHint : 1
; COMPUTE_PGM_RSRC2:SCRATCH_EN: 0
; COMPUTE_PGM_RSRC2:USER_SGPR: 6
; COMPUTE_PGM_RSRC2:TRAP_HANDLER: 0
; COMPUTE_PGM_RSRC2:TGID_X_EN: 1
; COMPUTE_PGM_RSRC2:TGID_Y_EN: 0
; COMPUTE_PGM_RSRC2:TGID_Z_EN: 0
; COMPUTE_PGM_RSRC2:TIDIG_COMP_CNT: 0
	.section	.text._ZN9rocsparseL20bsrxmvn_17_32_kernelILj19EillaaiEEvT2_20rocsparse_direction_NS_24const_host_device_scalarIT0_EES1_PKS1_PKT1_SA_S7_PKT3_PKT4_S5_PT5_21rocsparse_index_base_b,"axG",@progbits,_ZN9rocsparseL20bsrxmvn_17_32_kernelILj19EillaaiEEvT2_20rocsparse_direction_NS_24const_host_device_scalarIT0_EES1_PKS1_PKT1_SA_S7_PKT3_PKT4_S5_PT5_21rocsparse_index_base_b,comdat
	.globl	_ZN9rocsparseL20bsrxmvn_17_32_kernelILj19EillaaiEEvT2_20rocsparse_direction_NS_24const_host_device_scalarIT0_EES1_PKS1_PKT1_SA_S7_PKT3_PKT4_S5_PT5_21rocsparse_index_base_b ; -- Begin function _ZN9rocsparseL20bsrxmvn_17_32_kernelILj19EillaaiEEvT2_20rocsparse_direction_NS_24const_host_device_scalarIT0_EES1_PKS1_PKT1_SA_S7_PKT3_PKT4_S5_PT5_21rocsparse_index_base_b
	.p2align	8
	.type	_ZN9rocsparseL20bsrxmvn_17_32_kernelILj19EillaaiEEvT2_20rocsparse_direction_NS_24const_host_device_scalarIT0_EES1_PKS1_PKT1_SA_S7_PKT3_PKT4_S5_PT5_21rocsparse_index_base_b,@function
_ZN9rocsparseL20bsrxmvn_17_32_kernelILj19EillaaiEEvT2_20rocsparse_direction_NS_24const_host_device_scalarIT0_EES1_PKS1_PKT1_SA_S7_PKT3_PKT4_S5_PT5_21rocsparse_index_base_b: ; @_ZN9rocsparseL20bsrxmvn_17_32_kernelILj19EillaaiEEvT2_20rocsparse_direction_NS_24const_host_device_scalarIT0_EES1_PKS1_PKT1_SA_S7_PKT3_PKT4_S5_PT5_21rocsparse_index_base_b
; %bb.0:
	s_load_dwordx2 s[14:15], s[4:5], 0x60
	s_load_dwordx2 s[8:9], s[4:5], 0x10
	s_mov_b64 s[10:11], -1
	s_waitcnt lgkmcnt(0)
	s_bitcmp1_b32 s15, 0
	s_cselect_b64 s[0:1], -1, 0
	s_xor_b64 s[2:3], s[0:1], -1
	s_and_b64 vcc, exec, s[2:3]
                                        ; implicit-def: $sgpr15
	s_cbranch_vccnz .LBB226_4
; %bb.1:
	s_load_dwordx2 s[0:1], s[4:5], 0x50
	s_andn2_b64 vcc, exec, s[10:11]
	s_cbranch_vccz .LBB226_5
.LBB226_2:
	s_and_b64 vcc, exec, s[2:3]
	s_cbranch_vccz .LBB226_6
.LBB226_3:
	s_waitcnt lgkmcnt(0)
	s_load_dword s20, s[0:1], 0x0
	s_cbranch_execz .LBB226_7
	s_branch .LBB226_8
.LBB226_4:
	s_load_dword s15, s[8:9], 0x0
	s_load_dwordx2 s[0:1], s[4:5], 0x50
	s_cbranch_execnz .LBB226_2
.LBB226_5:
	s_waitcnt lgkmcnt(0)
	s_mov_b32 s15, s8
	s_and_b64 vcc, exec, s[2:3]
	s_cbranch_vccnz .LBB226_3
.LBB226_6:
                                        ; implicit-def: $sgpr20
.LBB226_7:
	s_waitcnt lgkmcnt(0)
	s_mov_b32 s20, s0
.LBB226_8:
	s_waitcnt lgkmcnt(0)
	s_cmp_lg_u32 s15, 0
	s_cselect_b64 s[0:1], -1, 0
	s_cmp_lg_u32 s20, 1
	s_cselect_b64 s[2:3], -1, 0
	s_or_b64 s[0:1], s[0:1], s[2:3]
	s_andn2_b64 vcc, exec, s[0:1]
	s_mov_b32 s7, 0
	s_cbranch_vccnz .LBB226_44
; %bb.9:
	s_load_dwordx4 s[0:3], s[4:5], 0x20
	s_load_dwordx2 s[8:9], s[4:5], 0x30
	s_waitcnt lgkmcnt(0)
	s_cmp_eq_u64 s[0:1], 0
	s_cbranch_scc1 .LBB226_11
; %bb.10:
	s_lshl_b64 s[6:7], s[6:7], 3
	s_add_u32 s0, s0, s6
	s_addc_u32 s1, s1, s7
	s_load_dwordx2 s[0:1], s[0:1], 0x0
	s_waitcnt lgkmcnt(0)
	s_sub_u32 s6, s0, s14
	s_subb_u32 s7, s1, 0
.LBB226_11:
	s_load_dword s10, s[4:5], 0x8
	s_load_dwordx2 s[12:13], s[4:5], 0x58
	v_mul_u32_u24_e32 v1, 0xd7a, v0
	v_mov_b32_e32 v2, 19
	v_mul_lo_u16_sdwa v3, v1, v2 dst_sel:DWORD dst_unused:UNUSED_PAD src0_sel:WORD_1 src1_sel:DWORD
	s_waitcnt lgkmcnt(0)
	s_cmp_eq_u32 s10, 1
	s_cselect_b64 s[0:1], -1, 0
	s_cmp_lg_u32 s10, 1
	s_cselect_b64 s[16:17], -1, 0
	s_lshl_b64 s[10:11], s[6:7], 3
	s_add_u32 s22, s2, s10
	s_addc_u32 s23, s3, s11
	s_add_u32 s2, s22, 8
	s_addc_u32 s3, s23, 0
	;; [unrolled: 2-line block ×3, first 2 shown]
	s_cmp_eq_u64 s[8:9], 0
	s_cselect_b32 s9, s3, s11
	s_cselect_b32 s8, s2, s10
	s_load_dwordx2 s[2:3], s[8:9], 0x0
	s_load_dwordx2 s[18:19], s[22:23], 0x0
	v_sub_u16_e32 v8, v0, v3
	v_mov_b32_e32 v7, 0
	s_waitcnt lgkmcnt(0)
	v_mov_b32_e32 v4, s3
	v_mov_b32_e32 v3, s2
	v_cmp_ge_i64_e32 vcc, s[18:19], v[3:4]
	s_cbranch_vccnz .LBB226_16
; %bb.12:
	v_mov_b32_e32 v3, 14
	s_load_dwordx4 s[8:11], s[4:5], 0x38
	s_load_dwordx2 s[22:23], s[4:5], 0x48
	v_mul_lo_u16_sdwa v3, v1, v3 dst_sel:DWORD dst_unused:UNUSED_PAD src0_sel:WORD_1 src1_sel:DWORD
	s_sub_u32 s2, s2, s14
	v_mul_lo_u16_sdwa v2, v3, v2 dst_sel:DWORD dst_unused:UNUSED_PAD src0_sel:BYTE_1 src1_sel:DWORD
	s_subb_u32 s3, s3, 0
	v_sub_u16_sdwa v1, v1, v2 dst_sel:DWORD dst_unused:UNUSED_PAD src0_sel:WORD_1 src1_sel:DWORD
	s_sub_u32 s4, s18, s14
	v_and_b32_e32 v1, 0xff, v1
	s_subb_u32 s5, s19, 0
	v_cndmask_b32_e64 v1, v8, v1, s[0:1]
	s_mul_i32 s0, s5, 0x169
	s_mul_hi_u32 s1, s4, 0x169
	s_waitcnt lgkmcnt(0)
	v_mov_b32_e32 v2, s23
	v_add_co_u32_e32 v1, vcc, s22, v1
	s_add_i32 s1, s1, s0
	s_mul_i32 s0, s4, 0x169
	v_addc_co_u32_e32 v2, vcc, 0, v2, vcc
	s_add_u32 s0, s10, s0
	s_addc_u32 s1, s11, s1
	v_add_co_u32_e32 v3, vcc, s0, v0
	s_movk_i32 s0, 0xb6
	v_mov_b32_e32 v4, s1
	v_mul_u32_u24_sdwa v5, v0, s0 dst_sel:DWORD dst_unused:UNUSED_PAD src0_sel:WORD_0 src1_sel:DWORD
	v_addc_co_u32_e32 v4, vcc, 0, v4, vcc
	v_lshrrev_b32_e32 v9, 16, v5
	v_mov_b32_e32 v5, s19
	v_add_co_u32_e32 v6, vcc, s18, v9
	v_addc_co_u32_e32 v10, vcc, 0, v5, vcc
	v_subrev_co_u32_e32 v5, vcc, s14, v6
	v_subbrev_co_u32_e32 v6, vcc, 0, v10, vcc
	v_lshlrev_b64 v[5:6], 3, v[5:6]
	v_mov_b32_e32 v10, s9
	v_add_co_u32_e32 v5, vcc, s8, v5
	v_mov_b32_e32 v7, 0
	v_addc_co_u32_e32 v6, vcc, v10, v6, vcc
	s_branch .LBB226_14
.LBB226_13:                             ;   in Loop: Header=BB226_14 Depth=1
	s_or_b64 exec, exec, s[0:1]
	s_add_u32 s4, s4, 1
	v_mov_b32_e32 v11, s3
	s_addc_u32 s5, s5, 0
	v_mov_b32_e32 v10, s2
	v_cmp_lt_i64_e32 vcc, s[4:5], v[10:11]
	v_add_co_u32_e64 v5, s[0:1], 8, v5
	v_addc_co_u32_e64 v6, s[0:1], 0, v6, s[0:1]
	s_cbranch_vccz .LBB226_16
.LBB226_14:                             ; =>This Inner Loop Header: Depth=1
	v_mov_b32_e32 v11, s5
	v_add_co_u32_e32 v10, vcc, s4, v9
	v_addc_co_u32_e32 v11, vcc, 0, v11, vcc
	v_cmp_gt_i64_e32 vcc, s[2:3], v[10:11]
	s_and_saveexec_b64 s[0:1], vcc
	s_cbranch_execz .LBB226_13
; %bb.15:                               ;   in Loop: Header=BB226_14 Depth=1
	global_load_dwordx2 v[10:11], v[5:6], off
	s_waitcnt vmcnt(0)
	v_subrev_co_u32_e32 v10, vcc, s14, v10
	v_subbrev_co_u32_e32 v12, vcc, 0, v11, vcc
	v_mad_u64_u32 v[10:11], s[8:9], v10, 19, v[1:2]
	v_mad_u64_u32 v[11:12], s[8:9], v12, 19, v[11:12]
	global_load_sbyte v12, v[3:4], off
	s_nop 0
	global_load_sbyte v10, v[10:11], off
	v_add_co_u32_e32 v3, vcc, 0x169, v3
	v_addc_co_u32_e32 v4, vcc, 0, v4, vcc
	s_waitcnt vmcnt(0)
	v_mad_i32_i24 v7, v10, v12, v7
	s_branch .LBB226_13
.LBB226_16:
	v_lshlrev_b32_e32 v1, 2, v0
	s_and_b64 vcc, exec, s[16:17]
	ds_write_b32 v1, v7
	s_waitcnt lgkmcnt(0)
	s_barrier
	s_cbranch_vccz .LBB226_28
; %bb.17:
	v_cmp_gt_u16_e32 vcc, 3, v8
	s_and_saveexec_b64 s[0:1], vcc
	s_cbranch_execz .LBB226_19
; %bb.18:
	ds_read2_b32 v[2:3], v1 offset1:16
	s_waitcnt lgkmcnt(0)
	v_add_u32_e32 v2, v2, v3
	ds_write_b32 v1, v2
.LBB226_19:
	s_or_b64 exec, exec, s[0:1]
	v_cmp_gt_u16_e32 vcc, 8, v8
	s_waitcnt lgkmcnt(0)
	s_barrier
	s_and_saveexec_b64 s[0:1], vcc
	s_cbranch_execz .LBB226_21
; %bb.20:
	ds_read2_b32 v[2:3], v1 offset1:8
	s_waitcnt lgkmcnt(0)
	v_add_u32_e32 v2, v2, v3
	ds_write_b32 v1, v2
.LBB226_21:
	s_or_b64 exec, exec, s[0:1]
	v_cmp_gt_u16_e32 vcc, 4, v8
	s_waitcnt lgkmcnt(0)
	s_barrier
	;; [unrolled: 12-line block ×3, first 2 shown]
	s_and_saveexec_b64 s[0:1], vcc
	s_cbranch_execz .LBB226_25
; %bb.24:
	ds_read2_b32 v[2:3], v1 offset1:2
	s_waitcnt lgkmcnt(0)
	v_add_u32_e32 v2, v2, v3
	ds_write_b32 v1, v2
.LBB226_25:
	s_or_b64 exec, exec, s[0:1]
	v_cmp_gt_u32_e32 vcc, 19, v0
	v_mov_b32_e32 v2, v7
	s_waitcnt lgkmcnt(0)
	s_barrier
	s_and_saveexec_b64 s[0:1], vcc
	s_cbranch_execz .LBB226_27
; %bb.26:
	s_movk_i32 s2, 0x48
	v_mad_u32_u24 v2, v0, s2, v1
	ds_read2_b32 v[2:3], v2 offset1:1
	s_waitcnt lgkmcnt(0)
	v_add_u32_e32 v2, v3, v2
.LBB226_27:
	s_or_b64 exec, exec, s[0:1]
	s_branch .LBB226_40
.LBB226_28:
                                        ; implicit-def: $vgpr2
	s_cbranch_execz .LBB226_40
; %bb.29:
	v_cmp_gt_u32_e32 vcc, 57, v0
	s_and_saveexec_b64 s[0:1], vcc
	s_cbranch_execz .LBB226_31
; %bb.30:
	ds_read_b32 v2, v1 offset:1216
	ds_read_b32 v3, v1
	s_waitcnt lgkmcnt(0)
	v_add_u32_e32 v2, v3, v2
	ds_write_b32 v1, v2
.LBB226_31:
	s_or_b64 exec, exec, s[0:1]
	s_movk_i32 s0, 0x98
	v_cmp_gt_u32_e32 vcc, s0, v0
	s_waitcnt lgkmcnt(0)
	s_barrier
	s_and_saveexec_b64 s[0:1], vcc
	s_cbranch_execz .LBB226_33
; %bb.32:
	ds_read2_b32 v[2:3], v1 offset1:152
	s_waitcnt lgkmcnt(0)
	v_add_u32_e32 v2, v2, v3
	ds_write_b32 v1, v2
.LBB226_33:
	s_or_b64 exec, exec, s[0:1]
	s_movk_i32 s0, 0x4c
	v_cmp_gt_u32_e32 vcc, s0, v0
	s_waitcnt lgkmcnt(0)
	s_barrier
	s_and_saveexec_b64 s[0:1], vcc
	s_cbranch_execz .LBB226_35
; %bb.34:
	ds_read2_b32 v[2:3], v1 offset1:76
	s_waitcnt lgkmcnt(0)
	v_add_u32_e32 v2, v2, v3
	ds_write_b32 v1, v2
.LBB226_35:
	s_or_b64 exec, exec, s[0:1]
	v_cmp_gt_u32_e32 vcc, 38, v0
	s_waitcnt lgkmcnt(0)
	s_barrier
	s_and_saveexec_b64 s[0:1], vcc
	s_cbranch_execz .LBB226_37
; %bb.36:
	ds_read2_b32 v[2:3], v1 offset1:38
	s_waitcnt lgkmcnt(0)
	v_add_u32_e32 v2, v2, v3
	ds_write_b32 v1, v2
.LBB226_37:
	s_or_b64 exec, exec, s[0:1]
	v_cmp_gt_u32_e32 vcc, 19, v0
	s_waitcnt lgkmcnt(0)
	s_and_saveexec_b64 s[0:1], vcc
	s_cbranch_execz .LBB226_39
; %bb.38:
	ds_read2_b32 v[2:3], v1 offset1:19
	s_waitcnt lgkmcnt(0)
	v_add_u32_e32 v7, v3, v2
.LBB226_39:
	s_or_b64 exec, exec, s[0:1]
	v_mov_b32_e32 v2, v7
.LBB226_40:
	v_cmp_gt_u32_e32 vcc, 19, v0
	s_and_saveexec_b64 s[0:1], vcc
	s_cbranch_execz .LBB226_44
; %bb.41:
	v_mul_lo_u32 v0, v2, s15
	s_cmp_eq_u32 s20, 0
	s_mul_i32 s2, s7, 0x4c
	s_mul_hi_u32 s3, s6, 0x4c
	s_mul_i32 s4, s6, 0x4c
	s_cbranch_scc1 .LBB226_45
; %bb.42:
	s_add_i32 s1, s3, s2
	s_add_u32 s0, s12, s4
	s_addc_u32 s1, s13, s1
	global_load_dword v2, v1, s[0:1]
	s_waitcnt vmcnt(0)
	v_mad_u64_u32 v[2:3], s[6:7], v2, s20, v[0:1]
	global_store_dword v1, v2, s[0:1]
	s_cbranch_execnz .LBB226_44
.LBB226_43:
	s_add_i32 s3, s3, s2
	s_add_u32 s0, s12, s4
	s_addc_u32 s1, s13, s3
	global_store_dword v1, v0, s[0:1]
.LBB226_44:
	s_endpgm
.LBB226_45:
	s_branch .LBB226_43
	.section	.rodata,"a",@progbits
	.p2align	6, 0x0
	.amdhsa_kernel _ZN9rocsparseL20bsrxmvn_17_32_kernelILj19EillaaiEEvT2_20rocsparse_direction_NS_24const_host_device_scalarIT0_EES1_PKS1_PKT1_SA_S7_PKT3_PKT4_S5_PT5_21rocsparse_index_base_b
		.amdhsa_group_segment_fixed_size 1444
		.amdhsa_private_segment_fixed_size 0
		.amdhsa_kernarg_size 104
		.amdhsa_user_sgpr_count 6
		.amdhsa_user_sgpr_private_segment_buffer 1
		.amdhsa_user_sgpr_dispatch_ptr 0
		.amdhsa_user_sgpr_queue_ptr 0
		.amdhsa_user_sgpr_kernarg_segment_ptr 1
		.amdhsa_user_sgpr_dispatch_id 0
		.amdhsa_user_sgpr_flat_scratch_init 0
		.amdhsa_user_sgpr_private_segment_size 0
		.amdhsa_uses_dynamic_stack 0
		.amdhsa_system_sgpr_private_segment_wavefront_offset 0
		.amdhsa_system_sgpr_workgroup_id_x 1
		.amdhsa_system_sgpr_workgroup_id_y 0
		.amdhsa_system_sgpr_workgroup_id_z 0
		.amdhsa_system_sgpr_workgroup_info 0
		.amdhsa_system_vgpr_workitem_id 0
		.amdhsa_next_free_vgpr 13
		.amdhsa_next_free_sgpr 24
		.amdhsa_reserve_vcc 1
		.amdhsa_reserve_flat_scratch 0
		.amdhsa_float_round_mode_32 0
		.amdhsa_float_round_mode_16_64 0
		.amdhsa_float_denorm_mode_32 3
		.amdhsa_float_denorm_mode_16_64 3
		.amdhsa_dx10_clamp 1
		.amdhsa_ieee_mode 1
		.amdhsa_fp16_overflow 0
		.amdhsa_exception_fp_ieee_invalid_op 0
		.amdhsa_exception_fp_denorm_src 0
		.amdhsa_exception_fp_ieee_div_zero 0
		.amdhsa_exception_fp_ieee_overflow 0
		.amdhsa_exception_fp_ieee_underflow 0
		.amdhsa_exception_fp_ieee_inexact 0
		.amdhsa_exception_int_div_zero 0
	.end_amdhsa_kernel
	.section	.text._ZN9rocsparseL20bsrxmvn_17_32_kernelILj19EillaaiEEvT2_20rocsparse_direction_NS_24const_host_device_scalarIT0_EES1_PKS1_PKT1_SA_S7_PKT3_PKT4_S5_PT5_21rocsparse_index_base_b,"axG",@progbits,_ZN9rocsparseL20bsrxmvn_17_32_kernelILj19EillaaiEEvT2_20rocsparse_direction_NS_24const_host_device_scalarIT0_EES1_PKS1_PKT1_SA_S7_PKT3_PKT4_S5_PT5_21rocsparse_index_base_b,comdat
.Lfunc_end226:
	.size	_ZN9rocsparseL20bsrxmvn_17_32_kernelILj19EillaaiEEvT2_20rocsparse_direction_NS_24const_host_device_scalarIT0_EES1_PKS1_PKT1_SA_S7_PKT3_PKT4_S5_PT5_21rocsparse_index_base_b, .Lfunc_end226-_ZN9rocsparseL20bsrxmvn_17_32_kernelILj19EillaaiEEvT2_20rocsparse_direction_NS_24const_host_device_scalarIT0_EES1_PKS1_PKT1_SA_S7_PKT3_PKT4_S5_PT5_21rocsparse_index_base_b
                                        ; -- End function
	.set _ZN9rocsparseL20bsrxmvn_17_32_kernelILj19EillaaiEEvT2_20rocsparse_direction_NS_24const_host_device_scalarIT0_EES1_PKS1_PKT1_SA_S7_PKT3_PKT4_S5_PT5_21rocsparse_index_base_b.num_vgpr, 13
	.set _ZN9rocsparseL20bsrxmvn_17_32_kernelILj19EillaaiEEvT2_20rocsparse_direction_NS_24const_host_device_scalarIT0_EES1_PKS1_PKT1_SA_S7_PKT3_PKT4_S5_PT5_21rocsparse_index_base_b.num_agpr, 0
	.set _ZN9rocsparseL20bsrxmvn_17_32_kernelILj19EillaaiEEvT2_20rocsparse_direction_NS_24const_host_device_scalarIT0_EES1_PKS1_PKT1_SA_S7_PKT3_PKT4_S5_PT5_21rocsparse_index_base_b.numbered_sgpr, 24
	.set _ZN9rocsparseL20bsrxmvn_17_32_kernelILj19EillaaiEEvT2_20rocsparse_direction_NS_24const_host_device_scalarIT0_EES1_PKS1_PKT1_SA_S7_PKT3_PKT4_S5_PT5_21rocsparse_index_base_b.num_named_barrier, 0
	.set _ZN9rocsparseL20bsrxmvn_17_32_kernelILj19EillaaiEEvT2_20rocsparse_direction_NS_24const_host_device_scalarIT0_EES1_PKS1_PKT1_SA_S7_PKT3_PKT4_S5_PT5_21rocsparse_index_base_b.private_seg_size, 0
	.set _ZN9rocsparseL20bsrxmvn_17_32_kernelILj19EillaaiEEvT2_20rocsparse_direction_NS_24const_host_device_scalarIT0_EES1_PKS1_PKT1_SA_S7_PKT3_PKT4_S5_PT5_21rocsparse_index_base_b.uses_vcc, 1
	.set _ZN9rocsparseL20bsrxmvn_17_32_kernelILj19EillaaiEEvT2_20rocsparse_direction_NS_24const_host_device_scalarIT0_EES1_PKS1_PKT1_SA_S7_PKT3_PKT4_S5_PT5_21rocsparse_index_base_b.uses_flat_scratch, 0
	.set _ZN9rocsparseL20bsrxmvn_17_32_kernelILj19EillaaiEEvT2_20rocsparse_direction_NS_24const_host_device_scalarIT0_EES1_PKS1_PKT1_SA_S7_PKT3_PKT4_S5_PT5_21rocsparse_index_base_b.has_dyn_sized_stack, 0
	.set _ZN9rocsparseL20bsrxmvn_17_32_kernelILj19EillaaiEEvT2_20rocsparse_direction_NS_24const_host_device_scalarIT0_EES1_PKS1_PKT1_SA_S7_PKT3_PKT4_S5_PT5_21rocsparse_index_base_b.has_recursion, 0
	.set _ZN9rocsparseL20bsrxmvn_17_32_kernelILj19EillaaiEEvT2_20rocsparse_direction_NS_24const_host_device_scalarIT0_EES1_PKS1_PKT1_SA_S7_PKT3_PKT4_S5_PT5_21rocsparse_index_base_b.has_indirect_call, 0
	.section	.AMDGPU.csdata,"",@progbits
; Kernel info:
; codeLenInByte = 1364
; TotalNumSgprs: 28
; NumVgprs: 13
; ScratchSize: 0
; MemoryBound: 0
; FloatMode: 240
; IeeeMode: 1
; LDSByteSize: 1444 bytes/workgroup (compile time only)
; SGPRBlocks: 3
; VGPRBlocks: 3
; NumSGPRsForWavesPerEU: 28
; NumVGPRsForWavesPerEU: 13
; Occupancy: 10
; WaveLimiterHint : 1
; COMPUTE_PGM_RSRC2:SCRATCH_EN: 0
; COMPUTE_PGM_RSRC2:USER_SGPR: 6
; COMPUTE_PGM_RSRC2:TRAP_HANDLER: 0
; COMPUTE_PGM_RSRC2:TGID_X_EN: 1
; COMPUTE_PGM_RSRC2:TGID_Y_EN: 0
; COMPUTE_PGM_RSRC2:TGID_Z_EN: 0
; COMPUTE_PGM_RSRC2:TIDIG_COMP_CNT: 0
	.section	.text._ZN9rocsparseL20bsrxmvn_17_32_kernelILj20EillaaiEEvT2_20rocsparse_direction_NS_24const_host_device_scalarIT0_EES1_PKS1_PKT1_SA_S7_PKT3_PKT4_S5_PT5_21rocsparse_index_base_b,"axG",@progbits,_ZN9rocsparseL20bsrxmvn_17_32_kernelILj20EillaaiEEvT2_20rocsparse_direction_NS_24const_host_device_scalarIT0_EES1_PKS1_PKT1_SA_S7_PKT3_PKT4_S5_PT5_21rocsparse_index_base_b,comdat
	.globl	_ZN9rocsparseL20bsrxmvn_17_32_kernelILj20EillaaiEEvT2_20rocsparse_direction_NS_24const_host_device_scalarIT0_EES1_PKS1_PKT1_SA_S7_PKT3_PKT4_S5_PT5_21rocsparse_index_base_b ; -- Begin function _ZN9rocsparseL20bsrxmvn_17_32_kernelILj20EillaaiEEvT2_20rocsparse_direction_NS_24const_host_device_scalarIT0_EES1_PKS1_PKT1_SA_S7_PKT3_PKT4_S5_PT5_21rocsparse_index_base_b
	.p2align	8
	.type	_ZN9rocsparseL20bsrxmvn_17_32_kernelILj20EillaaiEEvT2_20rocsparse_direction_NS_24const_host_device_scalarIT0_EES1_PKS1_PKT1_SA_S7_PKT3_PKT4_S5_PT5_21rocsparse_index_base_b,@function
_ZN9rocsparseL20bsrxmvn_17_32_kernelILj20EillaaiEEvT2_20rocsparse_direction_NS_24const_host_device_scalarIT0_EES1_PKS1_PKT1_SA_S7_PKT3_PKT4_S5_PT5_21rocsparse_index_base_b: ; @_ZN9rocsparseL20bsrxmvn_17_32_kernelILj20EillaaiEEvT2_20rocsparse_direction_NS_24const_host_device_scalarIT0_EES1_PKS1_PKT1_SA_S7_PKT3_PKT4_S5_PT5_21rocsparse_index_base_b
; %bb.0:
	s_load_dwordx2 s[14:15], s[4:5], 0x60
	s_load_dwordx2 s[8:9], s[4:5], 0x10
	s_mov_b64 s[10:11], -1
	s_waitcnt lgkmcnt(0)
	s_bitcmp1_b32 s15, 0
	s_cselect_b64 s[0:1], -1, 0
	s_xor_b64 s[2:3], s[0:1], -1
	s_and_b64 vcc, exec, s[2:3]
                                        ; implicit-def: $sgpr15
	s_cbranch_vccnz .LBB227_4
; %bb.1:
	s_load_dwordx2 s[0:1], s[4:5], 0x50
	s_andn2_b64 vcc, exec, s[10:11]
	s_cbranch_vccz .LBB227_5
.LBB227_2:
	s_and_b64 vcc, exec, s[2:3]
	s_cbranch_vccz .LBB227_6
.LBB227_3:
	s_waitcnt lgkmcnt(0)
	s_load_dword s20, s[0:1], 0x0
	s_cbranch_execz .LBB227_7
	s_branch .LBB227_8
.LBB227_4:
	s_load_dword s15, s[8:9], 0x0
	s_load_dwordx2 s[0:1], s[4:5], 0x50
	s_cbranch_execnz .LBB227_2
.LBB227_5:
	s_waitcnt lgkmcnt(0)
	s_mov_b32 s15, s8
	s_and_b64 vcc, exec, s[2:3]
	s_cbranch_vccnz .LBB227_3
.LBB227_6:
                                        ; implicit-def: $sgpr20
.LBB227_7:
	s_waitcnt lgkmcnt(0)
	s_mov_b32 s20, s0
.LBB227_8:
	s_waitcnt lgkmcnt(0)
	s_cmp_lg_u32 s15, 0
	s_cselect_b64 s[0:1], -1, 0
	s_cmp_lg_u32 s20, 1
	s_cselect_b64 s[2:3], -1, 0
	s_or_b64 s[0:1], s[0:1], s[2:3]
	s_andn2_b64 vcc, exec, s[0:1]
	s_mov_b32 s7, 0
	s_cbranch_vccnz .LBB227_44
; %bb.9:
	s_load_dwordx4 s[0:3], s[4:5], 0x20
	s_load_dwordx2 s[8:9], s[4:5], 0x30
	s_waitcnt lgkmcnt(0)
	s_cmp_eq_u64 s[0:1], 0
	s_cbranch_scc1 .LBB227_11
; %bb.10:
	s_lshl_b64 s[6:7], s[6:7], 3
	s_add_u32 s0, s0, s6
	s_addc_u32 s1, s1, s7
	s_load_dwordx2 s[0:1], s[0:1], 0x0
	s_waitcnt lgkmcnt(0)
	s_sub_u32 s6, s0, s14
	s_subb_u32 s7, s1, 0
.LBB227_11:
	s_load_dword s10, s[4:5], 0x8
	s_load_dwordx2 s[12:13], s[4:5], 0x58
	v_mul_u32_u24_e32 v1, 0xccd, v0
	v_mov_b32_e32 v2, 20
	v_mul_lo_u16_sdwa v3, v1, v2 dst_sel:DWORD dst_unused:UNUSED_PAD src0_sel:WORD_1 src1_sel:DWORD
	s_waitcnt lgkmcnt(0)
	s_cmp_eq_u32 s10, 1
	s_cselect_b64 s[0:1], -1, 0
	s_cmp_lg_u32 s10, 1
	s_cselect_b64 s[16:17], -1, 0
	s_lshl_b64 s[10:11], s[6:7], 3
	s_add_u32 s22, s2, s10
	s_addc_u32 s23, s3, s11
	s_add_u32 s2, s22, 8
	s_addc_u32 s3, s23, 0
	;; [unrolled: 2-line block ×3, first 2 shown]
	s_cmp_eq_u64 s[8:9], 0
	s_cselect_b32 s9, s3, s11
	s_cselect_b32 s8, s2, s10
	s_load_dwordx2 s[2:3], s[8:9], 0x0
	s_load_dwordx2 s[18:19], s[22:23], 0x0
	v_sub_u16_e32 v8, v0, v3
	v_mov_b32_e32 v7, 0
	s_waitcnt lgkmcnt(0)
	v_mov_b32_e32 v4, s3
	v_mov_b32_e32 v3, s2
	v_cmp_ge_i64_e32 vcc, s[18:19], v[3:4]
	s_cbranch_vccnz .LBB227_16
; %bb.12:
	v_mov_b32_e32 v3, 13
	s_load_dwordx4 s[8:11], s[4:5], 0x38
	s_load_dwordx2 s[22:23], s[4:5], 0x48
	v_mul_lo_u16_sdwa v3, v1, v3 dst_sel:DWORD dst_unused:UNUSED_PAD src0_sel:WORD_1 src1_sel:DWORD
	s_sub_u32 s2, s2, s14
	v_mul_lo_u16_sdwa v2, v3, v2 dst_sel:DWORD dst_unused:UNUSED_PAD src0_sel:BYTE_1 src1_sel:DWORD
	s_subb_u32 s3, s3, 0
	v_sub_u16_sdwa v1, v1, v2 dst_sel:DWORD dst_unused:UNUSED_PAD src0_sel:WORD_1 src1_sel:DWORD
	s_sub_u32 s4, s18, s14
	v_and_b32_e32 v1, 0xff, v1
	s_subb_u32 s5, s19, 0
	v_cndmask_b32_e64 v1, v8, v1, s[0:1]
	s_mul_i32 s0, s5, 0x190
	s_mul_hi_u32 s1, s4, 0x190
	s_waitcnt lgkmcnt(0)
	v_mov_b32_e32 v2, s23
	v_add_co_u32_e32 v1, vcc, s22, v1
	s_add_i32 s1, s1, s0
	s_mul_i32 s0, s4, 0x190
	v_addc_co_u32_e32 v2, vcc, 0, v2, vcc
	s_add_u32 s0, s10, s0
	s_addc_u32 s1, s11, s1
	v_add_co_u32_e32 v3, vcc, s0, v0
	s_movk_i32 s0, 0xa4
	v_mov_b32_e32 v4, s1
	v_mul_u32_u24_sdwa v5, v0, s0 dst_sel:DWORD dst_unused:UNUSED_PAD src0_sel:WORD_0 src1_sel:DWORD
	v_addc_co_u32_e32 v4, vcc, 0, v4, vcc
	v_lshrrev_b32_e32 v9, 16, v5
	v_mov_b32_e32 v5, s19
	v_add_co_u32_e32 v6, vcc, s18, v9
	v_addc_co_u32_e32 v10, vcc, 0, v5, vcc
	v_subrev_co_u32_e32 v5, vcc, s14, v6
	v_subbrev_co_u32_e32 v6, vcc, 0, v10, vcc
	v_lshlrev_b64 v[5:6], 3, v[5:6]
	v_mov_b32_e32 v10, s9
	v_add_co_u32_e32 v5, vcc, s8, v5
	v_mov_b32_e32 v7, 0
	v_addc_co_u32_e32 v6, vcc, v10, v6, vcc
	s_branch .LBB227_14
.LBB227_13:                             ;   in Loop: Header=BB227_14 Depth=1
	s_or_b64 exec, exec, s[0:1]
	s_add_u32 s4, s4, 1
	v_mov_b32_e32 v11, s3
	s_addc_u32 s5, s5, 0
	v_mov_b32_e32 v10, s2
	v_cmp_lt_i64_e32 vcc, s[4:5], v[10:11]
	v_add_co_u32_e64 v5, s[0:1], 8, v5
	v_addc_co_u32_e64 v6, s[0:1], 0, v6, s[0:1]
	s_cbranch_vccz .LBB227_16
.LBB227_14:                             ; =>This Inner Loop Header: Depth=1
	v_mov_b32_e32 v11, s5
	v_add_co_u32_e32 v10, vcc, s4, v9
	v_addc_co_u32_e32 v11, vcc, 0, v11, vcc
	v_cmp_gt_i64_e32 vcc, s[2:3], v[10:11]
	s_and_saveexec_b64 s[0:1], vcc
	s_cbranch_execz .LBB227_13
; %bb.15:                               ;   in Loop: Header=BB227_14 Depth=1
	global_load_dwordx2 v[10:11], v[5:6], off
	s_waitcnt vmcnt(0)
	v_subrev_co_u32_e32 v10, vcc, s14, v10
	v_subbrev_co_u32_e32 v12, vcc, 0, v11, vcc
	v_mad_u64_u32 v[10:11], s[8:9], v10, 20, v[1:2]
	v_mad_u64_u32 v[11:12], s[8:9], v12, 20, v[11:12]
	global_load_sbyte v12, v[3:4], off
	s_nop 0
	global_load_sbyte v10, v[10:11], off
	v_add_co_u32_e32 v3, vcc, 0x190, v3
	v_addc_co_u32_e32 v4, vcc, 0, v4, vcc
	s_waitcnt vmcnt(0)
	v_mad_i32_i24 v7, v10, v12, v7
	s_branch .LBB227_13
.LBB227_16:
	v_lshlrev_b32_e32 v1, 2, v0
	s_and_b64 vcc, exec, s[16:17]
	ds_write_b32 v1, v7
	s_waitcnt lgkmcnt(0)
	s_barrier
	s_cbranch_vccz .LBB227_28
; %bb.17:
	v_cmp_gt_u16_e32 vcc, 4, v8
	s_and_saveexec_b64 s[0:1], vcc
	s_cbranch_execz .LBB227_19
; %bb.18:
	ds_read2_b32 v[2:3], v1 offset1:16
	s_waitcnt lgkmcnt(0)
	v_add_u32_e32 v2, v2, v3
	ds_write_b32 v1, v2
.LBB227_19:
	s_or_b64 exec, exec, s[0:1]
	v_cmp_gt_u16_e64 s[0:1], 8, v8
	s_waitcnt lgkmcnt(0)
	s_barrier
	s_and_saveexec_b64 s[2:3], s[0:1]
	s_cbranch_execz .LBB227_21
; %bb.20:
	ds_read2_b32 v[2:3], v1 offset1:8
	s_waitcnt lgkmcnt(0)
	v_add_u32_e32 v2, v2, v3
	ds_write_b32 v1, v2
.LBB227_21:
	s_or_b64 exec, exec, s[2:3]
	s_waitcnt lgkmcnt(0)
	s_barrier
	s_and_saveexec_b64 s[0:1], vcc
	s_cbranch_execz .LBB227_23
; %bb.22:
	ds_read2_b32 v[2:3], v1 offset1:4
	s_waitcnt lgkmcnt(0)
	v_add_u32_e32 v2, v2, v3
	ds_write_b32 v1, v2
.LBB227_23:
	s_or_b64 exec, exec, s[0:1]
	v_cmp_gt_u16_e32 vcc, 2, v8
	s_waitcnt lgkmcnt(0)
	s_barrier
	s_and_saveexec_b64 s[0:1], vcc
	s_cbranch_execz .LBB227_25
; %bb.24:
	ds_read2_b32 v[2:3], v1 offset1:2
	s_waitcnt lgkmcnt(0)
	v_add_u32_e32 v2, v2, v3
	ds_write_b32 v1, v2
.LBB227_25:
	s_or_b64 exec, exec, s[0:1]
	v_cmp_gt_u32_e32 vcc, 20, v0
	v_mov_b32_e32 v2, v7
	s_waitcnt lgkmcnt(0)
	s_barrier
	s_and_saveexec_b64 s[0:1], vcc
	s_cbranch_execz .LBB227_27
; %bb.26:
	s_movk_i32 s2, 0x4c
	v_mad_u32_u24 v2, v0, s2, v1
	ds_read_b64 v[2:3], v2
	s_waitcnt lgkmcnt(0)
	v_add_u32_e32 v2, v3, v2
.LBB227_27:
	s_or_b64 exec, exec, s[0:1]
	s_branch .LBB227_40
.LBB227_28:
                                        ; implicit-def: $vgpr2
	s_cbranch_execz .LBB227_40
; %bb.29:
	s_movk_i32 s0, 0x50
	v_cmp_gt_u32_e32 vcc, s0, v0
	s_and_saveexec_b64 s[0:1], vcc
	s_cbranch_execz .LBB227_31
; %bb.30:
	ds_read2st64_b32 v[2:3], v1 offset1:5
	s_waitcnt lgkmcnt(0)
	v_add_u32_e32 v2, v2, v3
	ds_write_b32 v1, v2
.LBB227_31:
	s_or_b64 exec, exec, s[0:1]
	s_movk_i32 s0, 0xa0
	v_cmp_gt_u32_e64 s[0:1], s0, v0
	s_waitcnt lgkmcnt(0)
	s_barrier
	s_and_saveexec_b64 s[2:3], s[0:1]
	s_cbranch_execz .LBB227_33
; %bb.32:
	ds_read2_b32 v[2:3], v1 offset1:160
	s_waitcnt lgkmcnt(0)
	v_add_u32_e32 v2, v2, v3
	ds_write_b32 v1, v2
.LBB227_33:
	s_or_b64 exec, exec, s[2:3]
	s_waitcnt lgkmcnt(0)
	s_barrier
	s_and_saveexec_b64 s[0:1], vcc
	s_cbranch_execz .LBB227_35
; %bb.34:
	ds_read2_b32 v[2:3], v1 offset1:80
	s_waitcnt lgkmcnt(0)
	v_add_u32_e32 v2, v2, v3
	ds_write_b32 v1, v2
.LBB227_35:
	s_or_b64 exec, exec, s[0:1]
	v_cmp_gt_u32_e32 vcc, 40, v0
	s_waitcnt lgkmcnt(0)
	s_barrier
	s_and_saveexec_b64 s[0:1], vcc
	s_cbranch_execz .LBB227_37
; %bb.36:
	ds_read2_b32 v[2:3], v1 offset1:40
	s_waitcnt lgkmcnt(0)
	v_add_u32_e32 v2, v2, v3
	ds_write_b32 v1, v2
.LBB227_37:
	s_or_b64 exec, exec, s[0:1]
	v_cmp_gt_u32_e32 vcc, 20, v0
	s_waitcnt lgkmcnt(0)
	s_and_saveexec_b64 s[0:1], vcc
	s_cbranch_execz .LBB227_39
; %bb.38:
	ds_read2_b32 v[2:3], v1 offset1:20
	s_waitcnt lgkmcnt(0)
	v_add_u32_e32 v7, v3, v2
.LBB227_39:
	s_or_b64 exec, exec, s[0:1]
	v_mov_b32_e32 v2, v7
.LBB227_40:
	v_cmp_gt_u32_e32 vcc, 20, v0
	s_and_saveexec_b64 s[0:1], vcc
	s_cbranch_execz .LBB227_44
; %bb.41:
	v_mul_lo_u32 v0, v2, s15
	s_cmp_eq_u32 s20, 0
	s_mul_i32 s2, s7, 0x50
	s_mul_hi_u32 s3, s6, 0x50
	s_mul_i32 s4, s6, 0x50
	s_cbranch_scc1 .LBB227_45
; %bb.42:
	s_add_i32 s1, s3, s2
	s_add_u32 s0, s12, s4
	s_addc_u32 s1, s13, s1
	global_load_dword v2, v1, s[0:1]
	s_waitcnt vmcnt(0)
	v_mad_u64_u32 v[2:3], s[6:7], v2, s20, v[0:1]
	global_store_dword v1, v2, s[0:1]
	s_cbranch_execnz .LBB227_44
.LBB227_43:
	s_add_i32 s3, s3, s2
	s_add_u32 s0, s12, s4
	s_addc_u32 s1, s13, s3
	global_store_dword v1, v0, s[0:1]
.LBB227_44:
	s_endpgm
.LBB227_45:
	s_branch .LBB227_43
	.section	.rodata,"a",@progbits
	.p2align	6, 0x0
	.amdhsa_kernel _ZN9rocsparseL20bsrxmvn_17_32_kernelILj20EillaaiEEvT2_20rocsparse_direction_NS_24const_host_device_scalarIT0_EES1_PKS1_PKT1_SA_S7_PKT3_PKT4_S5_PT5_21rocsparse_index_base_b
		.amdhsa_group_segment_fixed_size 1600
		.amdhsa_private_segment_fixed_size 0
		.amdhsa_kernarg_size 104
		.amdhsa_user_sgpr_count 6
		.amdhsa_user_sgpr_private_segment_buffer 1
		.amdhsa_user_sgpr_dispatch_ptr 0
		.amdhsa_user_sgpr_queue_ptr 0
		.amdhsa_user_sgpr_kernarg_segment_ptr 1
		.amdhsa_user_sgpr_dispatch_id 0
		.amdhsa_user_sgpr_flat_scratch_init 0
		.amdhsa_user_sgpr_private_segment_size 0
		.amdhsa_uses_dynamic_stack 0
		.amdhsa_system_sgpr_private_segment_wavefront_offset 0
		.amdhsa_system_sgpr_workgroup_id_x 1
		.amdhsa_system_sgpr_workgroup_id_y 0
		.amdhsa_system_sgpr_workgroup_id_z 0
		.amdhsa_system_sgpr_workgroup_info 0
		.amdhsa_system_vgpr_workitem_id 0
		.amdhsa_next_free_vgpr 13
		.amdhsa_next_free_sgpr 24
		.amdhsa_reserve_vcc 1
		.amdhsa_reserve_flat_scratch 0
		.amdhsa_float_round_mode_32 0
		.amdhsa_float_round_mode_16_64 0
		.amdhsa_float_denorm_mode_32 3
		.amdhsa_float_denorm_mode_16_64 3
		.amdhsa_dx10_clamp 1
		.amdhsa_ieee_mode 1
		.amdhsa_fp16_overflow 0
		.amdhsa_exception_fp_ieee_invalid_op 0
		.amdhsa_exception_fp_denorm_src 0
		.amdhsa_exception_fp_ieee_div_zero 0
		.amdhsa_exception_fp_ieee_overflow 0
		.amdhsa_exception_fp_ieee_underflow 0
		.amdhsa_exception_fp_ieee_inexact 0
		.amdhsa_exception_int_div_zero 0
	.end_amdhsa_kernel
	.section	.text._ZN9rocsparseL20bsrxmvn_17_32_kernelILj20EillaaiEEvT2_20rocsparse_direction_NS_24const_host_device_scalarIT0_EES1_PKS1_PKT1_SA_S7_PKT3_PKT4_S5_PT5_21rocsparse_index_base_b,"axG",@progbits,_ZN9rocsparseL20bsrxmvn_17_32_kernelILj20EillaaiEEvT2_20rocsparse_direction_NS_24const_host_device_scalarIT0_EES1_PKS1_PKT1_SA_S7_PKT3_PKT4_S5_PT5_21rocsparse_index_base_b,comdat
.Lfunc_end227:
	.size	_ZN9rocsparseL20bsrxmvn_17_32_kernelILj20EillaaiEEvT2_20rocsparse_direction_NS_24const_host_device_scalarIT0_EES1_PKS1_PKT1_SA_S7_PKT3_PKT4_S5_PT5_21rocsparse_index_base_b, .Lfunc_end227-_ZN9rocsparseL20bsrxmvn_17_32_kernelILj20EillaaiEEvT2_20rocsparse_direction_NS_24const_host_device_scalarIT0_EES1_PKS1_PKT1_SA_S7_PKT3_PKT4_S5_PT5_21rocsparse_index_base_b
                                        ; -- End function
	.set _ZN9rocsparseL20bsrxmvn_17_32_kernelILj20EillaaiEEvT2_20rocsparse_direction_NS_24const_host_device_scalarIT0_EES1_PKS1_PKT1_SA_S7_PKT3_PKT4_S5_PT5_21rocsparse_index_base_b.num_vgpr, 13
	.set _ZN9rocsparseL20bsrxmvn_17_32_kernelILj20EillaaiEEvT2_20rocsparse_direction_NS_24const_host_device_scalarIT0_EES1_PKS1_PKT1_SA_S7_PKT3_PKT4_S5_PT5_21rocsparse_index_base_b.num_agpr, 0
	.set _ZN9rocsparseL20bsrxmvn_17_32_kernelILj20EillaaiEEvT2_20rocsparse_direction_NS_24const_host_device_scalarIT0_EES1_PKS1_PKT1_SA_S7_PKT3_PKT4_S5_PT5_21rocsparse_index_base_b.numbered_sgpr, 24
	.set _ZN9rocsparseL20bsrxmvn_17_32_kernelILj20EillaaiEEvT2_20rocsparse_direction_NS_24const_host_device_scalarIT0_EES1_PKS1_PKT1_SA_S7_PKT3_PKT4_S5_PT5_21rocsparse_index_base_b.num_named_barrier, 0
	.set _ZN9rocsparseL20bsrxmvn_17_32_kernelILj20EillaaiEEvT2_20rocsparse_direction_NS_24const_host_device_scalarIT0_EES1_PKS1_PKT1_SA_S7_PKT3_PKT4_S5_PT5_21rocsparse_index_base_b.private_seg_size, 0
	.set _ZN9rocsparseL20bsrxmvn_17_32_kernelILj20EillaaiEEvT2_20rocsparse_direction_NS_24const_host_device_scalarIT0_EES1_PKS1_PKT1_SA_S7_PKT3_PKT4_S5_PT5_21rocsparse_index_base_b.uses_vcc, 1
	.set _ZN9rocsparseL20bsrxmvn_17_32_kernelILj20EillaaiEEvT2_20rocsparse_direction_NS_24const_host_device_scalarIT0_EES1_PKS1_PKT1_SA_S7_PKT3_PKT4_S5_PT5_21rocsparse_index_base_b.uses_flat_scratch, 0
	.set _ZN9rocsparseL20bsrxmvn_17_32_kernelILj20EillaaiEEvT2_20rocsparse_direction_NS_24const_host_device_scalarIT0_EES1_PKS1_PKT1_SA_S7_PKT3_PKT4_S5_PT5_21rocsparse_index_base_b.has_dyn_sized_stack, 0
	.set _ZN9rocsparseL20bsrxmvn_17_32_kernelILj20EillaaiEEvT2_20rocsparse_direction_NS_24const_host_device_scalarIT0_EES1_PKS1_PKT1_SA_S7_PKT3_PKT4_S5_PT5_21rocsparse_index_base_b.has_recursion, 0
	.set _ZN9rocsparseL20bsrxmvn_17_32_kernelILj20EillaaiEEvT2_20rocsparse_direction_NS_24const_host_device_scalarIT0_EES1_PKS1_PKT1_SA_S7_PKT3_PKT4_S5_PT5_21rocsparse_index_base_b.has_indirect_call, 0
	.section	.AMDGPU.csdata,"",@progbits
; Kernel info:
; codeLenInByte = 1356
; TotalNumSgprs: 28
; NumVgprs: 13
; ScratchSize: 0
; MemoryBound: 0
; FloatMode: 240
; IeeeMode: 1
; LDSByteSize: 1600 bytes/workgroup (compile time only)
; SGPRBlocks: 3
; VGPRBlocks: 3
; NumSGPRsForWavesPerEU: 28
; NumVGPRsForWavesPerEU: 13
; Occupancy: 10
; WaveLimiterHint : 1
; COMPUTE_PGM_RSRC2:SCRATCH_EN: 0
; COMPUTE_PGM_RSRC2:USER_SGPR: 6
; COMPUTE_PGM_RSRC2:TRAP_HANDLER: 0
; COMPUTE_PGM_RSRC2:TGID_X_EN: 1
; COMPUTE_PGM_RSRC2:TGID_Y_EN: 0
; COMPUTE_PGM_RSRC2:TGID_Z_EN: 0
; COMPUTE_PGM_RSRC2:TIDIG_COMP_CNT: 0
	.section	.text._ZN9rocsparseL20bsrxmvn_17_32_kernelILj21EillaaiEEvT2_20rocsparse_direction_NS_24const_host_device_scalarIT0_EES1_PKS1_PKT1_SA_S7_PKT3_PKT4_S5_PT5_21rocsparse_index_base_b,"axG",@progbits,_ZN9rocsparseL20bsrxmvn_17_32_kernelILj21EillaaiEEvT2_20rocsparse_direction_NS_24const_host_device_scalarIT0_EES1_PKS1_PKT1_SA_S7_PKT3_PKT4_S5_PT5_21rocsparse_index_base_b,comdat
	.globl	_ZN9rocsparseL20bsrxmvn_17_32_kernelILj21EillaaiEEvT2_20rocsparse_direction_NS_24const_host_device_scalarIT0_EES1_PKS1_PKT1_SA_S7_PKT3_PKT4_S5_PT5_21rocsparse_index_base_b ; -- Begin function _ZN9rocsparseL20bsrxmvn_17_32_kernelILj21EillaaiEEvT2_20rocsparse_direction_NS_24const_host_device_scalarIT0_EES1_PKS1_PKT1_SA_S7_PKT3_PKT4_S5_PT5_21rocsparse_index_base_b
	.p2align	8
	.type	_ZN9rocsparseL20bsrxmvn_17_32_kernelILj21EillaaiEEvT2_20rocsparse_direction_NS_24const_host_device_scalarIT0_EES1_PKS1_PKT1_SA_S7_PKT3_PKT4_S5_PT5_21rocsparse_index_base_b,@function
_ZN9rocsparseL20bsrxmvn_17_32_kernelILj21EillaaiEEvT2_20rocsparse_direction_NS_24const_host_device_scalarIT0_EES1_PKS1_PKT1_SA_S7_PKT3_PKT4_S5_PT5_21rocsparse_index_base_b: ; @_ZN9rocsparseL20bsrxmvn_17_32_kernelILj21EillaaiEEvT2_20rocsparse_direction_NS_24const_host_device_scalarIT0_EES1_PKS1_PKT1_SA_S7_PKT3_PKT4_S5_PT5_21rocsparse_index_base_b
; %bb.0:
	s_load_dwordx2 s[14:15], s[4:5], 0x60
	s_load_dwordx2 s[8:9], s[4:5], 0x10
	s_mov_b64 s[10:11], -1
	s_waitcnt lgkmcnt(0)
	s_bitcmp1_b32 s15, 0
	s_cselect_b64 s[0:1], -1, 0
	s_xor_b64 s[2:3], s[0:1], -1
	s_and_b64 vcc, exec, s[2:3]
                                        ; implicit-def: $sgpr15
	s_cbranch_vccnz .LBB228_4
; %bb.1:
	s_load_dwordx2 s[0:1], s[4:5], 0x50
	s_andn2_b64 vcc, exec, s[10:11]
	s_cbranch_vccz .LBB228_5
.LBB228_2:
	s_and_b64 vcc, exec, s[2:3]
	s_cbranch_vccz .LBB228_6
.LBB228_3:
	s_waitcnt lgkmcnt(0)
	s_load_dword s20, s[0:1], 0x0
	s_cbranch_execz .LBB228_7
	s_branch .LBB228_8
.LBB228_4:
	s_load_dword s15, s[8:9], 0x0
	s_load_dwordx2 s[0:1], s[4:5], 0x50
	s_cbranch_execnz .LBB228_2
.LBB228_5:
	s_waitcnt lgkmcnt(0)
	s_mov_b32 s15, s8
	s_and_b64 vcc, exec, s[2:3]
	s_cbranch_vccnz .LBB228_3
.LBB228_6:
                                        ; implicit-def: $sgpr20
.LBB228_7:
	s_waitcnt lgkmcnt(0)
	s_mov_b32 s20, s0
.LBB228_8:
	s_waitcnt lgkmcnt(0)
	s_cmp_lg_u32 s15, 0
	s_cselect_b64 s[0:1], -1, 0
	s_cmp_lg_u32 s20, 1
	s_cselect_b64 s[2:3], -1, 0
	s_or_b64 s[0:1], s[0:1], s[2:3]
	s_andn2_b64 vcc, exec, s[0:1]
	s_mov_b32 s7, 0
	s_cbranch_vccnz .LBB228_44
; %bb.9:
	s_load_dwordx4 s[0:3], s[4:5], 0x20
	s_load_dwordx2 s[8:9], s[4:5], 0x30
	s_waitcnt lgkmcnt(0)
	s_cmp_eq_u64 s[0:1], 0
	s_cbranch_scc1 .LBB228_11
; %bb.10:
	s_lshl_b64 s[6:7], s[6:7], 3
	s_add_u32 s0, s0, s6
	s_addc_u32 s1, s1, s7
	s_load_dwordx2 s[0:1], s[0:1], 0x0
	s_waitcnt lgkmcnt(0)
	s_sub_u32 s6, s0, s14
	s_subb_u32 s7, s1, 0
.LBB228_11:
	s_load_dword s10, s[4:5], 0x8
	s_load_dwordx2 s[12:13], s[4:5], 0x58
	v_mul_u32_u24_e32 v1, 0xc31, v0
	v_mov_b32_e32 v2, 21
	v_mul_lo_u16_sdwa v2, v1, v2 dst_sel:DWORD dst_unused:UNUSED_PAD src0_sel:WORD_1 src1_sel:DWORD
	s_waitcnt lgkmcnt(0)
	s_cmp_eq_u32 s10, 1
	s_cselect_b64 s[0:1], -1, 0
	s_cmp_lg_u32 s10, 1
	s_cselect_b64 s[16:17], -1, 0
	s_lshl_b64 s[10:11], s[6:7], 3
	s_add_u32 s22, s2, s10
	s_addc_u32 s23, s3, s11
	s_add_u32 s2, s22, 8
	s_addc_u32 s3, s23, 0
	;; [unrolled: 2-line block ×3, first 2 shown]
	s_cmp_eq_u64 s[8:9], 0
	s_cselect_b32 s9, s3, s11
	s_cselect_b32 s8, s2, s10
	s_load_dwordx2 s[2:3], s[8:9], 0x0
	s_load_dwordx2 s[18:19], s[22:23], 0x0
	v_sub_u16_e32 v8, v0, v2
	v_mov_b32_e32 v7, 0
	s_waitcnt lgkmcnt(0)
	v_mov_b32_e32 v2, s2
	v_mov_b32_e32 v3, s3
	v_cmp_ge_i64_e32 vcc, s[18:19], v[2:3]
	s_cbranch_vccnz .LBB228_16
; %bb.12:
	v_mov_b32_e32 v2, 25
	v_mul_lo_u16_sdwa v2, v1, v2 dst_sel:DWORD dst_unused:UNUSED_PAD src0_sel:WORD_1 src1_sel:DWORD
	s_load_dwordx4 s[8:11], s[4:5], 0x38
	s_load_dwordx2 s[22:23], s[4:5], 0x48
	v_lshrrev_b16_e32 v2, 9, v2
	s_sub_u32 s2, s2, s14
	v_mul_lo_u16_e32 v2, 21, v2
	s_subb_u32 s3, s3, 0
	v_sub_u16_sdwa v1, v1, v2 dst_sel:DWORD dst_unused:UNUSED_PAD src0_sel:WORD_1 src1_sel:DWORD
	s_sub_u32 s4, s18, s14
	v_and_b32_e32 v1, 0xff, v1
	s_subb_u32 s5, s19, 0
	v_cndmask_b32_e64 v1, v8, v1, s[0:1]
	s_mul_i32 s0, s5, 0x1b9
	s_mul_hi_u32 s1, s4, 0x1b9
	s_waitcnt lgkmcnt(0)
	v_mov_b32_e32 v2, s23
	v_add_co_u32_e32 v1, vcc, s22, v1
	s_add_i32 s1, s1, s0
	s_mul_i32 s0, s4, 0x1b9
	v_addc_co_u32_e32 v2, vcc, 0, v2, vcc
	s_add_u32 s0, s10, s0
	s_addc_u32 s1, s11, s1
	v_add_co_u32_e32 v3, vcc, s0, v0
	s_movk_i32 s0, 0x253
	v_mov_b32_e32 v4, s1
	v_mul_u32_u24_sdwa v5, v0, s0 dst_sel:DWORD dst_unused:UNUSED_PAD src0_sel:WORD_0 src1_sel:DWORD
	v_addc_co_u32_e32 v4, vcc, 0, v4, vcc
	v_lshrrev_b32_e32 v9, 18, v5
	v_mov_b32_e32 v5, s19
	v_add_co_u32_e32 v6, vcc, s18, v9
	v_addc_co_u32_e32 v10, vcc, 0, v5, vcc
	v_subrev_co_u32_e32 v5, vcc, s14, v6
	v_subbrev_co_u32_e32 v6, vcc, 0, v10, vcc
	v_lshlrev_b64 v[5:6], 3, v[5:6]
	v_mov_b32_e32 v10, s9
	v_add_co_u32_e32 v5, vcc, s8, v5
	v_mov_b32_e32 v7, 0
	v_addc_co_u32_e32 v6, vcc, v10, v6, vcc
	s_branch .LBB228_14
.LBB228_13:                             ;   in Loop: Header=BB228_14 Depth=1
	s_or_b64 exec, exec, s[0:1]
	s_add_u32 s4, s4, 1
	v_mov_b32_e32 v11, s3
	s_addc_u32 s5, s5, 0
	v_mov_b32_e32 v10, s2
	v_cmp_lt_i64_e32 vcc, s[4:5], v[10:11]
	v_add_co_u32_e64 v5, s[0:1], 8, v5
	v_addc_co_u32_e64 v6, s[0:1], 0, v6, s[0:1]
	s_cbranch_vccz .LBB228_16
.LBB228_14:                             ; =>This Inner Loop Header: Depth=1
	v_mov_b32_e32 v11, s5
	v_add_co_u32_e32 v10, vcc, s4, v9
	v_addc_co_u32_e32 v11, vcc, 0, v11, vcc
	v_cmp_gt_i64_e32 vcc, s[2:3], v[10:11]
	s_and_saveexec_b64 s[0:1], vcc
	s_cbranch_execz .LBB228_13
; %bb.15:                               ;   in Loop: Header=BB228_14 Depth=1
	global_load_dwordx2 v[10:11], v[5:6], off
	s_waitcnt vmcnt(0)
	v_subrev_co_u32_e32 v10, vcc, s14, v10
	v_subbrev_co_u32_e32 v12, vcc, 0, v11, vcc
	v_mad_u64_u32 v[10:11], s[8:9], v10, 21, v[1:2]
	v_mad_u64_u32 v[11:12], s[8:9], v12, 21, v[11:12]
	global_load_sbyte v12, v[3:4], off
	s_nop 0
	global_load_sbyte v10, v[10:11], off
	v_add_co_u32_e32 v3, vcc, 0x1b9, v3
	v_addc_co_u32_e32 v4, vcc, 0, v4, vcc
	s_waitcnt vmcnt(0)
	v_mad_i32_i24 v7, v10, v12, v7
	s_branch .LBB228_13
.LBB228_16:
	v_lshlrev_b32_e32 v1, 2, v0
	s_and_b64 vcc, exec, s[16:17]
	ds_write_b32 v1, v7
	s_waitcnt lgkmcnt(0)
	s_barrier
	s_cbranch_vccz .LBB228_28
; %bb.17:
	v_cmp_gt_u16_e32 vcc, 5, v8
	s_and_saveexec_b64 s[0:1], vcc
	s_cbranch_execz .LBB228_19
; %bb.18:
	ds_read2_b32 v[2:3], v1 offset1:16
	s_waitcnt lgkmcnt(0)
	v_add_u32_e32 v2, v2, v3
	ds_write_b32 v1, v2
.LBB228_19:
	s_or_b64 exec, exec, s[0:1]
	v_cmp_gt_u16_e32 vcc, 8, v8
	s_waitcnt lgkmcnt(0)
	s_barrier
	s_and_saveexec_b64 s[0:1], vcc
	s_cbranch_execz .LBB228_21
; %bb.20:
	ds_read2_b32 v[2:3], v1 offset1:8
	s_waitcnt lgkmcnt(0)
	v_add_u32_e32 v2, v2, v3
	ds_write_b32 v1, v2
.LBB228_21:
	s_or_b64 exec, exec, s[0:1]
	v_cmp_gt_u16_e32 vcc, 4, v8
	s_waitcnt lgkmcnt(0)
	s_barrier
	;; [unrolled: 12-line block ×3, first 2 shown]
	s_and_saveexec_b64 s[0:1], vcc
	s_cbranch_execz .LBB228_25
; %bb.24:
	ds_read2_b32 v[2:3], v1 offset1:2
	s_waitcnt lgkmcnt(0)
	v_add_u32_e32 v2, v2, v3
	ds_write_b32 v1, v2
.LBB228_25:
	s_or_b64 exec, exec, s[0:1]
	v_cmp_gt_u32_e32 vcc, 21, v0
	v_mov_b32_e32 v2, v7
	s_waitcnt lgkmcnt(0)
	s_barrier
	s_and_saveexec_b64 s[0:1], vcc
	s_cbranch_execz .LBB228_27
; %bb.26:
	s_movk_i32 s2, 0x50
	v_mad_u32_u24 v2, v0, s2, v1
	ds_read2_b32 v[2:3], v2 offset1:1
	s_waitcnt lgkmcnt(0)
	v_add_u32_e32 v2, v3, v2
.LBB228_27:
	s_or_b64 exec, exec, s[0:1]
	s_branch .LBB228_40
.LBB228_28:
                                        ; implicit-def: $vgpr2
	s_cbranch_execz .LBB228_40
; %bb.29:
	s_movk_i32 s0, 0x69
	v_cmp_gt_u32_e32 vcc, s0, v0
	s_and_saveexec_b64 s[0:1], vcc
	s_cbranch_execz .LBB228_31
; %bb.30:
	ds_read_b32 v2, v1 offset:1344
	ds_read_b32 v3, v1
	s_waitcnt lgkmcnt(0)
	v_add_u32_e32 v2, v3, v2
	ds_write_b32 v1, v2
.LBB228_31:
	s_or_b64 exec, exec, s[0:1]
	s_movk_i32 s0, 0xa8
	v_cmp_gt_u32_e32 vcc, s0, v0
	s_waitcnt lgkmcnt(0)
	s_barrier
	s_and_saveexec_b64 s[0:1], vcc
	s_cbranch_execz .LBB228_33
; %bb.32:
	ds_read2_b32 v[2:3], v1 offset1:168
	s_waitcnt lgkmcnt(0)
	v_add_u32_e32 v2, v2, v3
	ds_write_b32 v1, v2
.LBB228_33:
	s_or_b64 exec, exec, s[0:1]
	s_movk_i32 s0, 0x54
	v_cmp_gt_u32_e32 vcc, s0, v0
	s_waitcnt lgkmcnt(0)
	s_barrier
	s_and_saveexec_b64 s[0:1], vcc
	s_cbranch_execz .LBB228_35
; %bb.34:
	ds_read2_b32 v[2:3], v1 offset1:84
	s_waitcnt lgkmcnt(0)
	v_add_u32_e32 v2, v2, v3
	ds_write_b32 v1, v2
.LBB228_35:
	s_or_b64 exec, exec, s[0:1]
	v_cmp_gt_u32_e32 vcc, 42, v0
	s_waitcnt lgkmcnt(0)
	s_barrier
	s_and_saveexec_b64 s[0:1], vcc
	s_cbranch_execz .LBB228_37
; %bb.36:
	ds_read2_b32 v[2:3], v1 offset1:42
	s_waitcnt lgkmcnt(0)
	v_add_u32_e32 v2, v2, v3
	ds_write_b32 v1, v2
.LBB228_37:
	s_or_b64 exec, exec, s[0:1]
	v_cmp_gt_u32_e32 vcc, 21, v0
	s_waitcnt lgkmcnt(0)
	s_and_saveexec_b64 s[0:1], vcc
	s_cbranch_execz .LBB228_39
; %bb.38:
	ds_read2_b32 v[2:3], v1 offset1:21
	s_waitcnt lgkmcnt(0)
	v_add_u32_e32 v7, v3, v2
.LBB228_39:
	s_or_b64 exec, exec, s[0:1]
	v_mov_b32_e32 v2, v7
.LBB228_40:
	v_cmp_gt_u32_e32 vcc, 21, v0
	s_and_saveexec_b64 s[0:1], vcc
	s_cbranch_execz .LBB228_44
; %bb.41:
	v_mul_lo_u32 v0, v2, s15
	s_cmp_eq_u32 s20, 0
	s_mul_i32 s2, s7, 0x54
	s_mul_hi_u32 s3, s6, 0x54
	s_mul_i32 s4, s6, 0x54
	s_cbranch_scc1 .LBB228_45
; %bb.42:
	s_add_i32 s1, s3, s2
	s_add_u32 s0, s12, s4
	s_addc_u32 s1, s13, s1
	global_load_dword v2, v1, s[0:1]
	s_waitcnt vmcnt(0)
	v_mad_u64_u32 v[2:3], s[6:7], v2, s20, v[0:1]
	global_store_dword v1, v2, s[0:1]
	s_cbranch_execnz .LBB228_44
.LBB228_43:
	s_add_i32 s3, s3, s2
	s_add_u32 s0, s12, s4
	s_addc_u32 s1, s13, s3
	global_store_dword v1, v0, s[0:1]
.LBB228_44:
	s_endpgm
.LBB228_45:
	s_branch .LBB228_43
	.section	.rodata,"a",@progbits
	.p2align	6, 0x0
	.amdhsa_kernel _ZN9rocsparseL20bsrxmvn_17_32_kernelILj21EillaaiEEvT2_20rocsparse_direction_NS_24const_host_device_scalarIT0_EES1_PKS1_PKT1_SA_S7_PKT3_PKT4_S5_PT5_21rocsparse_index_base_b
		.amdhsa_group_segment_fixed_size 1764
		.amdhsa_private_segment_fixed_size 0
		.amdhsa_kernarg_size 104
		.amdhsa_user_sgpr_count 6
		.amdhsa_user_sgpr_private_segment_buffer 1
		.amdhsa_user_sgpr_dispatch_ptr 0
		.amdhsa_user_sgpr_queue_ptr 0
		.amdhsa_user_sgpr_kernarg_segment_ptr 1
		.amdhsa_user_sgpr_dispatch_id 0
		.amdhsa_user_sgpr_flat_scratch_init 0
		.amdhsa_user_sgpr_private_segment_size 0
		.amdhsa_uses_dynamic_stack 0
		.amdhsa_system_sgpr_private_segment_wavefront_offset 0
		.amdhsa_system_sgpr_workgroup_id_x 1
		.amdhsa_system_sgpr_workgroup_id_y 0
		.amdhsa_system_sgpr_workgroup_id_z 0
		.amdhsa_system_sgpr_workgroup_info 0
		.amdhsa_system_vgpr_workitem_id 0
		.amdhsa_next_free_vgpr 13
		.amdhsa_next_free_sgpr 24
		.amdhsa_reserve_vcc 1
		.amdhsa_reserve_flat_scratch 0
		.amdhsa_float_round_mode_32 0
		.amdhsa_float_round_mode_16_64 0
		.amdhsa_float_denorm_mode_32 3
		.amdhsa_float_denorm_mode_16_64 3
		.amdhsa_dx10_clamp 1
		.amdhsa_ieee_mode 1
		.amdhsa_fp16_overflow 0
		.amdhsa_exception_fp_ieee_invalid_op 0
		.amdhsa_exception_fp_denorm_src 0
		.amdhsa_exception_fp_ieee_div_zero 0
		.amdhsa_exception_fp_ieee_overflow 0
		.amdhsa_exception_fp_ieee_underflow 0
		.amdhsa_exception_fp_ieee_inexact 0
		.amdhsa_exception_int_div_zero 0
	.end_amdhsa_kernel
	.section	.text._ZN9rocsparseL20bsrxmvn_17_32_kernelILj21EillaaiEEvT2_20rocsparse_direction_NS_24const_host_device_scalarIT0_EES1_PKS1_PKT1_SA_S7_PKT3_PKT4_S5_PT5_21rocsparse_index_base_b,"axG",@progbits,_ZN9rocsparseL20bsrxmvn_17_32_kernelILj21EillaaiEEvT2_20rocsparse_direction_NS_24const_host_device_scalarIT0_EES1_PKS1_PKT1_SA_S7_PKT3_PKT4_S5_PT5_21rocsparse_index_base_b,comdat
.Lfunc_end228:
	.size	_ZN9rocsparseL20bsrxmvn_17_32_kernelILj21EillaaiEEvT2_20rocsparse_direction_NS_24const_host_device_scalarIT0_EES1_PKS1_PKT1_SA_S7_PKT3_PKT4_S5_PT5_21rocsparse_index_base_b, .Lfunc_end228-_ZN9rocsparseL20bsrxmvn_17_32_kernelILj21EillaaiEEvT2_20rocsparse_direction_NS_24const_host_device_scalarIT0_EES1_PKS1_PKT1_SA_S7_PKT3_PKT4_S5_PT5_21rocsparse_index_base_b
                                        ; -- End function
	.set _ZN9rocsparseL20bsrxmvn_17_32_kernelILj21EillaaiEEvT2_20rocsparse_direction_NS_24const_host_device_scalarIT0_EES1_PKS1_PKT1_SA_S7_PKT3_PKT4_S5_PT5_21rocsparse_index_base_b.num_vgpr, 13
	.set _ZN9rocsparseL20bsrxmvn_17_32_kernelILj21EillaaiEEvT2_20rocsparse_direction_NS_24const_host_device_scalarIT0_EES1_PKS1_PKT1_SA_S7_PKT3_PKT4_S5_PT5_21rocsparse_index_base_b.num_agpr, 0
	.set _ZN9rocsparseL20bsrxmvn_17_32_kernelILj21EillaaiEEvT2_20rocsparse_direction_NS_24const_host_device_scalarIT0_EES1_PKS1_PKT1_SA_S7_PKT3_PKT4_S5_PT5_21rocsparse_index_base_b.numbered_sgpr, 24
	.set _ZN9rocsparseL20bsrxmvn_17_32_kernelILj21EillaaiEEvT2_20rocsparse_direction_NS_24const_host_device_scalarIT0_EES1_PKS1_PKT1_SA_S7_PKT3_PKT4_S5_PT5_21rocsparse_index_base_b.num_named_barrier, 0
	.set _ZN9rocsparseL20bsrxmvn_17_32_kernelILj21EillaaiEEvT2_20rocsparse_direction_NS_24const_host_device_scalarIT0_EES1_PKS1_PKT1_SA_S7_PKT3_PKT4_S5_PT5_21rocsparse_index_base_b.private_seg_size, 0
	.set _ZN9rocsparseL20bsrxmvn_17_32_kernelILj21EillaaiEEvT2_20rocsparse_direction_NS_24const_host_device_scalarIT0_EES1_PKS1_PKT1_SA_S7_PKT3_PKT4_S5_PT5_21rocsparse_index_base_b.uses_vcc, 1
	.set _ZN9rocsparseL20bsrxmvn_17_32_kernelILj21EillaaiEEvT2_20rocsparse_direction_NS_24const_host_device_scalarIT0_EES1_PKS1_PKT1_SA_S7_PKT3_PKT4_S5_PT5_21rocsparse_index_base_b.uses_flat_scratch, 0
	.set _ZN9rocsparseL20bsrxmvn_17_32_kernelILj21EillaaiEEvT2_20rocsparse_direction_NS_24const_host_device_scalarIT0_EES1_PKS1_PKT1_SA_S7_PKT3_PKT4_S5_PT5_21rocsparse_index_base_b.has_dyn_sized_stack, 0
	.set _ZN9rocsparseL20bsrxmvn_17_32_kernelILj21EillaaiEEvT2_20rocsparse_direction_NS_24const_host_device_scalarIT0_EES1_PKS1_PKT1_SA_S7_PKT3_PKT4_S5_PT5_21rocsparse_index_base_b.has_recursion, 0
	.set _ZN9rocsparseL20bsrxmvn_17_32_kernelILj21EillaaiEEvT2_20rocsparse_direction_NS_24const_host_device_scalarIT0_EES1_PKS1_PKT1_SA_S7_PKT3_PKT4_S5_PT5_21rocsparse_index_base_b.has_indirect_call, 0
	.section	.AMDGPU.csdata,"",@progbits
; Kernel info:
; codeLenInByte = 1368
; TotalNumSgprs: 28
; NumVgprs: 13
; ScratchSize: 0
; MemoryBound: 0
; FloatMode: 240
; IeeeMode: 1
; LDSByteSize: 1764 bytes/workgroup (compile time only)
; SGPRBlocks: 3
; VGPRBlocks: 3
; NumSGPRsForWavesPerEU: 28
; NumVGPRsForWavesPerEU: 13
; Occupancy: 10
; WaveLimiterHint : 1
; COMPUTE_PGM_RSRC2:SCRATCH_EN: 0
; COMPUTE_PGM_RSRC2:USER_SGPR: 6
; COMPUTE_PGM_RSRC2:TRAP_HANDLER: 0
; COMPUTE_PGM_RSRC2:TGID_X_EN: 1
; COMPUTE_PGM_RSRC2:TGID_Y_EN: 0
; COMPUTE_PGM_RSRC2:TGID_Z_EN: 0
; COMPUTE_PGM_RSRC2:TIDIG_COMP_CNT: 0
	.section	.text._ZN9rocsparseL20bsrxmvn_17_32_kernelILj22EillaaiEEvT2_20rocsparse_direction_NS_24const_host_device_scalarIT0_EES1_PKS1_PKT1_SA_S7_PKT3_PKT4_S5_PT5_21rocsparse_index_base_b,"axG",@progbits,_ZN9rocsparseL20bsrxmvn_17_32_kernelILj22EillaaiEEvT2_20rocsparse_direction_NS_24const_host_device_scalarIT0_EES1_PKS1_PKT1_SA_S7_PKT3_PKT4_S5_PT5_21rocsparse_index_base_b,comdat
	.globl	_ZN9rocsparseL20bsrxmvn_17_32_kernelILj22EillaaiEEvT2_20rocsparse_direction_NS_24const_host_device_scalarIT0_EES1_PKS1_PKT1_SA_S7_PKT3_PKT4_S5_PT5_21rocsparse_index_base_b ; -- Begin function _ZN9rocsparseL20bsrxmvn_17_32_kernelILj22EillaaiEEvT2_20rocsparse_direction_NS_24const_host_device_scalarIT0_EES1_PKS1_PKT1_SA_S7_PKT3_PKT4_S5_PT5_21rocsparse_index_base_b
	.p2align	8
	.type	_ZN9rocsparseL20bsrxmvn_17_32_kernelILj22EillaaiEEvT2_20rocsparse_direction_NS_24const_host_device_scalarIT0_EES1_PKS1_PKT1_SA_S7_PKT3_PKT4_S5_PT5_21rocsparse_index_base_b,@function
_ZN9rocsparseL20bsrxmvn_17_32_kernelILj22EillaaiEEvT2_20rocsparse_direction_NS_24const_host_device_scalarIT0_EES1_PKS1_PKT1_SA_S7_PKT3_PKT4_S5_PT5_21rocsparse_index_base_b: ; @_ZN9rocsparseL20bsrxmvn_17_32_kernelILj22EillaaiEEvT2_20rocsparse_direction_NS_24const_host_device_scalarIT0_EES1_PKS1_PKT1_SA_S7_PKT3_PKT4_S5_PT5_21rocsparse_index_base_b
; %bb.0:
	s_load_dwordx2 s[14:15], s[4:5], 0x60
	s_load_dwordx2 s[8:9], s[4:5], 0x10
	s_mov_b64 s[10:11], -1
	s_waitcnt lgkmcnt(0)
	s_bitcmp1_b32 s15, 0
	s_cselect_b64 s[0:1], -1, 0
	s_xor_b64 s[2:3], s[0:1], -1
	s_and_b64 vcc, exec, s[2:3]
                                        ; implicit-def: $sgpr15
	s_cbranch_vccnz .LBB229_4
; %bb.1:
	s_load_dwordx2 s[0:1], s[4:5], 0x50
	s_andn2_b64 vcc, exec, s[10:11]
	s_cbranch_vccz .LBB229_5
.LBB229_2:
	s_and_b64 vcc, exec, s[2:3]
	s_cbranch_vccz .LBB229_6
.LBB229_3:
	s_waitcnt lgkmcnt(0)
	s_load_dword s20, s[0:1], 0x0
	s_cbranch_execz .LBB229_7
	s_branch .LBB229_8
.LBB229_4:
	s_load_dword s15, s[8:9], 0x0
	s_load_dwordx2 s[0:1], s[4:5], 0x50
	s_cbranch_execnz .LBB229_2
.LBB229_5:
	s_waitcnt lgkmcnt(0)
	s_mov_b32 s15, s8
	s_and_b64 vcc, exec, s[2:3]
	s_cbranch_vccnz .LBB229_3
.LBB229_6:
                                        ; implicit-def: $sgpr20
.LBB229_7:
	s_waitcnt lgkmcnt(0)
	s_mov_b32 s20, s0
.LBB229_8:
	s_waitcnt lgkmcnt(0)
	s_cmp_lg_u32 s15, 0
	s_cselect_b64 s[0:1], -1, 0
	s_cmp_lg_u32 s20, 1
	s_cselect_b64 s[2:3], -1, 0
	s_or_b64 s[0:1], s[0:1], s[2:3]
	s_andn2_b64 vcc, exec, s[0:1]
	s_mov_b32 s7, 0
	s_cbranch_vccnz .LBB229_44
; %bb.9:
	s_load_dwordx4 s[0:3], s[4:5], 0x20
	s_load_dwordx2 s[8:9], s[4:5], 0x30
	s_waitcnt lgkmcnt(0)
	s_cmp_eq_u64 s[0:1], 0
	s_cbranch_scc1 .LBB229_11
; %bb.10:
	s_lshl_b64 s[6:7], s[6:7], 3
	s_add_u32 s0, s0, s6
	s_addc_u32 s1, s1, s7
	s_load_dwordx2 s[0:1], s[0:1], 0x0
	s_waitcnt lgkmcnt(0)
	s_sub_u32 s6, s0, s14
	s_subb_u32 s7, s1, 0
.LBB229_11:
	s_load_dword s10, s[4:5], 0x8
	s_load_dwordx2 s[12:13], s[4:5], 0x58
	v_mul_u32_u24_e32 v1, 0xba3, v0
	v_mov_b32_e32 v2, 22
	v_mul_lo_u16_sdwa v3, v1, v2 dst_sel:DWORD dst_unused:UNUSED_PAD src0_sel:WORD_1 src1_sel:DWORD
	s_waitcnt lgkmcnt(0)
	s_cmp_eq_u32 s10, 1
	s_cselect_b64 s[0:1], -1, 0
	s_cmp_lg_u32 s10, 1
	s_cselect_b64 s[16:17], -1, 0
	s_lshl_b64 s[10:11], s[6:7], 3
	s_add_u32 s22, s2, s10
	s_addc_u32 s23, s3, s11
	s_add_u32 s2, s22, 8
	s_addc_u32 s3, s23, 0
	;; [unrolled: 2-line block ×3, first 2 shown]
	s_cmp_eq_u64 s[8:9], 0
	s_cselect_b32 s9, s3, s11
	s_cselect_b32 s8, s2, s10
	s_load_dwordx2 s[2:3], s[8:9], 0x0
	s_load_dwordx2 s[18:19], s[22:23], 0x0
	v_sub_u16_e32 v8, v0, v3
	v_mov_b32_e32 v7, 0
	s_waitcnt lgkmcnt(0)
	v_mov_b32_e32 v4, s3
	v_mov_b32_e32 v3, s2
	v_cmp_ge_i64_e32 vcc, s[18:19], v[3:4]
	s_cbranch_vccnz .LBB229_16
; %bb.12:
	v_mov_b32_e32 v3, 12
	s_load_dwordx4 s[8:11], s[4:5], 0x38
	s_load_dwordx2 s[22:23], s[4:5], 0x48
	v_mul_lo_u16_sdwa v3, v1, v3 dst_sel:DWORD dst_unused:UNUSED_PAD src0_sel:WORD_1 src1_sel:DWORD
	s_sub_u32 s2, s2, s14
	v_mul_lo_u16_sdwa v2, v3, v2 dst_sel:DWORD dst_unused:UNUSED_PAD src0_sel:BYTE_1 src1_sel:DWORD
	s_subb_u32 s3, s3, 0
	v_sub_u16_sdwa v1, v1, v2 dst_sel:DWORD dst_unused:UNUSED_PAD src0_sel:WORD_1 src1_sel:DWORD
	s_sub_u32 s4, s18, s14
	v_and_b32_e32 v1, 0xff, v1
	s_subb_u32 s5, s19, 0
	v_cndmask_b32_e64 v1, v8, v1, s[0:1]
	s_mul_i32 s0, s5, 0x1e4
	s_mul_hi_u32 s1, s4, 0x1e4
	s_waitcnt lgkmcnt(0)
	v_mov_b32_e32 v2, s23
	v_add_co_u32_e32 v1, vcc, s22, v1
	s_add_i32 s1, s1, s0
	s_mul_i32 s0, s4, 0x1e4
	v_addc_co_u32_e32 v2, vcc, 0, v2, vcc
	s_add_u32 s0, s10, s0
	s_addc_u32 s1, s11, s1
	v_add_co_u32_e32 v3, vcc, s0, v0
	s_movk_i32 s0, 0x10f
	v_mov_b32_e32 v4, s1
	v_mul_u32_u24_sdwa v5, v0, s0 dst_sel:DWORD dst_unused:UNUSED_PAD src0_sel:WORD_0 src1_sel:DWORD
	v_addc_co_u32_e32 v4, vcc, 0, v4, vcc
	v_lshrrev_b32_e32 v9, 17, v5
	v_mov_b32_e32 v5, s19
	v_add_co_u32_e32 v6, vcc, s18, v9
	v_addc_co_u32_e32 v10, vcc, 0, v5, vcc
	v_subrev_co_u32_e32 v5, vcc, s14, v6
	v_subbrev_co_u32_e32 v6, vcc, 0, v10, vcc
	v_lshlrev_b64 v[5:6], 3, v[5:6]
	v_mov_b32_e32 v10, s9
	v_add_co_u32_e32 v5, vcc, s8, v5
	v_mov_b32_e32 v7, 0
	v_addc_co_u32_e32 v6, vcc, v10, v6, vcc
	s_branch .LBB229_14
.LBB229_13:                             ;   in Loop: Header=BB229_14 Depth=1
	s_or_b64 exec, exec, s[0:1]
	s_add_u32 s4, s4, 1
	v_mov_b32_e32 v11, s3
	s_addc_u32 s5, s5, 0
	v_mov_b32_e32 v10, s2
	v_cmp_lt_i64_e32 vcc, s[4:5], v[10:11]
	v_add_co_u32_e64 v5, s[0:1], 8, v5
	v_addc_co_u32_e64 v6, s[0:1], 0, v6, s[0:1]
	s_cbranch_vccz .LBB229_16
.LBB229_14:                             ; =>This Inner Loop Header: Depth=1
	v_mov_b32_e32 v11, s5
	v_add_co_u32_e32 v10, vcc, s4, v9
	v_addc_co_u32_e32 v11, vcc, 0, v11, vcc
	v_cmp_gt_i64_e32 vcc, s[2:3], v[10:11]
	s_and_saveexec_b64 s[0:1], vcc
	s_cbranch_execz .LBB229_13
; %bb.15:                               ;   in Loop: Header=BB229_14 Depth=1
	global_load_dwordx2 v[10:11], v[5:6], off
	s_waitcnt vmcnt(0)
	v_subrev_co_u32_e32 v10, vcc, s14, v10
	v_subbrev_co_u32_e32 v12, vcc, 0, v11, vcc
	v_mad_u64_u32 v[10:11], s[8:9], v10, 22, v[1:2]
	v_mad_u64_u32 v[11:12], s[8:9], v12, 22, v[11:12]
	global_load_sbyte v12, v[3:4], off
	s_nop 0
	global_load_sbyte v10, v[10:11], off
	v_add_co_u32_e32 v3, vcc, 0x1e4, v3
	v_addc_co_u32_e32 v4, vcc, 0, v4, vcc
	s_waitcnt vmcnt(0)
	v_mad_i32_i24 v7, v10, v12, v7
	s_branch .LBB229_13
.LBB229_16:
	v_lshlrev_b32_e32 v1, 2, v0
	s_and_b64 vcc, exec, s[16:17]
	ds_write_b32 v1, v7
	s_waitcnt lgkmcnt(0)
	s_barrier
	s_cbranch_vccz .LBB229_28
; %bb.17:
	v_cmp_gt_u16_e32 vcc, 6, v8
	s_and_saveexec_b64 s[0:1], vcc
	s_cbranch_execz .LBB229_19
; %bb.18:
	ds_read2_b32 v[2:3], v1 offset1:16
	s_waitcnt lgkmcnt(0)
	v_add_u32_e32 v2, v2, v3
	ds_write_b32 v1, v2
.LBB229_19:
	s_or_b64 exec, exec, s[0:1]
	v_cmp_gt_u16_e32 vcc, 8, v8
	s_waitcnt lgkmcnt(0)
	s_barrier
	s_and_saveexec_b64 s[0:1], vcc
	s_cbranch_execz .LBB229_21
; %bb.20:
	ds_read2_b32 v[2:3], v1 offset1:8
	s_waitcnt lgkmcnt(0)
	v_add_u32_e32 v2, v2, v3
	ds_write_b32 v1, v2
.LBB229_21:
	s_or_b64 exec, exec, s[0:1]
	v_cmp_gt_u16_e32 vcc, 4, v8
	s_waitcnt lgkmcnt(0)
	s_barrier
	;; [unrolled: 12-line block ×3, first 2 shown]
	s_and_saveexec_b64 s[0:1], vcc
	s_cbranch_execz .LBB229_25
; %bb.24:
	ds_read2_b32 v[2:3], v1 offset1:2
	s_waitcnt lgkmcnt(0)
	v_add_u32_e32 v2, v2, v3
	ds_write_b32 v1, v2
.LBB229_25:
	s_or_b64 exec, exec, s[0:1]
	v_cmp_gt_u32_e32 vcc, 22, v0
	v_mov_b32_e32 v2, v7
	s_waitcnt lgkmcnt(0)
	s_barrier
	s_and_saveexec_b64 s[0:1], vcc
	s_cbranch_execz .LBB229_27
; %bb.26:
	s_movk_i32 s2, 0x54
	v_mad_u32_u24 v2, v0, s2, v1
	ds_read_b64 v[2:3], v2
	s_waitcnt lgkmcnt(0)
	v_add_u32_e32 v2, v3, v2
.LBB229_27:
	s_or_b64 exec, exec, s[0:1]
	s_branch .LBB229_40
.LBB229_28:
                                        ; implicit-def: $vgpr2
	s_cbranch_execz .LBB229_40
; %bb.29:
	s_movk_i32 s0, 0x84
	v_cmp_gt_u32_e32 vcc, s0, v0
	s_and_saveexec_b64 s[0:1], vcc
	s_cbranch_execz .LBB229_31
; %bb.30:
	ds_read_b32 v2, v1 offset:1408
	ds_read_b32 v3, v1
	s_waitcnt lgkmcnt(0)
	v_add_u32_e32 v2, v3, v2
	ds_write_b32 v1, v2
.LBB229_31:
	s_or_b64 exec, exec, s[0:1]
	s_movk_i32 s0, 0xb0
	v_cmp_gt_u32_e32 vcc, s0, v0
	s_waitcnt lgkmcnt(0)
	s_barrier
	s_and_saveexec_b64 s[0:1], vcc
	s_cbranch_execz .LBB229_33
; %bb.32:
	ds_read2_b32 v[2:3], v1 offset1:176
	s_waitcnt lgkmcnt(0)
	v_add_u32_e32 v2, v2, v3
	ds_write_b32 v1, v2
.LBB229_33:
	s_or_b64 exec, exec, s[0:1]
	s_movk_i32 s0, 0x58
	v_cmp_gt_u32_e32 vcc, s0, v0
	s_waitcnt lgkmcnt(0)
	s_barrier
	s_and_saveexec_b64 s[0:1], vcc
	s_cbranch_execz .LBB229_35
; %bb.34:
	ds_read2_b32 v[2:3], v1 offset1:88
	s_waitcnt lgkmcnt(0)
	v_add_u32_e32 v2, v2, v3
	ds_write_b32 v1, v2
.LBB229_35:
	s_or_b64 exec, exec, s[0:1]
	v_cmp_gt_u32_e32 vcc, 44, v0
	s_waitcnt lgkmcnt(0)
	s_barrier
	s_and_saveexec_b64 s[0:1], vcc
	s_cbranch_execz .LBB229_37
; %bb.36:
	ds_read2_b32 v[2:3], v1 offset1:44
	s_waitcnt lgkmcnt(0)
	v_add_u32_e32 v2, v2, v3
	ds_write_b32 v1, v2
.LBB229_37:
	s_or_b64 exec, exec, s[0:1]
	v_cmp_gt_u32_e32 vcc, 22, v0
	s_waitcnt lgkmcnt(0)
	s_and_saveexec_b64 s[0:1], vcc
	s_cbranch_execz .LBB229_39
; %bb.38:
	ds_read2_b32 v[2:3], v1 offset1:22
	s_waitcnt lgkmcnt(0)
	v_add_u32_e32 v7, v3, v2
.LBB229_39:
	s_or_b64 exec, exec, s[0:1]
	v_mov_b32_e32 v2, v7
.LBB229_40:
	v_cmp_gt_u32_e32 vcc, 22, v0
	s_and_saveexec_b64 s[0:1], vcc
	s_cbranch_execz .LBB229_44
; %bb.41:
	v_mul_lo_u32 v0, v2, s15
	s_cmp_eq_u32 s20, 0
	s_mul_i32 s2, s7, 0x58
	s_mul_hi_u32 s3, s6, 0x58
	s_mul_i32 s4, s6, 0x58
	s_cbranch_scc1 .LBB229_45
; %bb.42:
	s_add_i32 s1, s3, s2
	s_add_u32 s0, s12, s4
	s_addc_u32 s1, s13, s1
	global_load_dword v2, v1, s[0:1]
	s_waitcnt vmcnt(0)
	v_mad_u64_u32 v[2:3], s[6:7], v2, s20, v[0:1]
	global_store_dword v1, v2, s[0:1]
	s_cbranch_execnz .LBB229_44
.LBB229_43:
	s_add_i32 s3, s3, s2
	s_add_u32 s0, s12, s4
	s_addc_u32 s1, s13, s3
	global_store_dword v1, v0, s[0:1]
.LBB229_44:
	s_endpgm
.LBB229_45:
	s_branch .LBB229_43
	.section	.rodata,"a",@progbits
	.p2align	6, 0x0
	.amdhsa_kernel _ZN9rocsparseL20bsrxmvn_17_32_kernelILj22EillaaiEEvT2_20rocsparse_direction_NS_24const_host_device_scalarIT0_EES1_PKS1_PKT1_SA_S7_PKT3_PKT4_S5_PT5_21rocsparse_index_base_b
		.amdhsa_group_segment_fixed_size 1936
		.amdhsa_private_segment_fixed_size 0
		.amdhsa_kernarg_size 104
		.amdhsa_user_sgpr_count 6
		.amdhsa_user_sgpr_private_segment_buffer 1
		.amdhsa_user_sgpr_dispatch_ptr 0
		.amdhsa_user_sgpr_queue_ptr 0
		.amdhsa_user_sgpr_kernarg_segment_ptr 1
		.amdhsa_user_sgpr_dispatch_id 0
		.amdhsa_user_sgpr_flat_scratch_init 0
		.amdhsa_user_sgpr_private_segment_size 0
		.amdhsa_uses_dynamic_stack 0
		.amdhsa_system_sgpr_private_segment_wavefront_offset 0
		.amdhsa_system_sgpr_workgroup_id_x 1
		.amdhsa_system_sgpr_workgroup_id_y 0
		.amdhsa_system_sgpr_workgroup_id_z 0
		.amdhsa_system_sgpr_workgroup_info 0
		.amdhsa_system_vgpr_workitem_id 0
		.amdhsa_next_free_vgpr 13
		.amdhsa_next_free_sgpr 24
		.amdhsa_reserve_vcc 1
		.amdhsa_reserve_flat_scratch 0
		.amdhsa_float_round_mode_32 0
		.amdhsa_float_round_mode_16_64 0
		.amdhsa_float_denorm_mode_32 3
		.amdhsa_float_denorm_mode_16_64 3
		.amdhsa_dx10_clamp 1
		.amdhsa_ieee_mode 1
		.amdhsa_fp16_overflow 0
		.amdhsa_exception_fp_ieee_invalid_op 0
		.amdhsa_exception_fp_denorm_src 0
		.amdhsa_exception_fp_ieee_div_zero 0
		.amdhsa_exception_fp_ieee_overflow 0
		.amdhsa_exception_fp_ieee_underflow 0
		.amdhsa_exception_fp_ieee_inexact 0
		.amdhsa_exception_int_div_zero 0
	.end_amdhsa_kernel
	.section	.text._ZN9rocsparseL20bsrxmvn_17_32_kernelILj22EillaaiEEvT2_20rocsparse_direction_NS_24const_host_device_scalarIT0_EES1_PKS1_PKT1_SA_S7_PKT3_PKT4_S5_PT5_21rocsparse_index_base_b,"axG",@progbits,_ZN9rocsparseL20bsrxmvn_17_32_kernelILj22EillaaiEEvT2_20rocsparse_direction_NS_24const_host_device_scalarIT0_EES1_PKS1_PKT1_SA_S7_PKT3_PKT4_S5_PT5_21rocsparse_index_base_b,comdat
.Lfunc_end229:
	.size	_ZN9rocsparseL20bsrxmvn_17_32_kernelILj22EillaaiEEvT2_20rocsparse_direction_NS_24const_host_device_scalarIT0_EES1_PKS1_PKT1_SA_S7_PKT3_PKT4_S5_PT5_21rocsparse_index_base_b, .Lfunc_end229-_ZN9rocsparseL20bsrxmvn_17_32_kernelILj22EillaaiEEvT2_20rocsparse_direction_NS_24const_host_device_scalarIT0_EES1_PKS1_PKT1_SA_S7_PKT3_PKT4_S5_PT5_21rocsparse_index_base_b
                                        ; -- End function
	.set _ZN9rocsparseL20bsrxmvn_17_32_kernelILj22EillaaiEEvT2_20rocsparse_direction_NS_24const_host_device_scalarIT0_EES1_PKS1_PKT1_SA_S7_PKT3_PKT4_S5_PT5_21rocsparse_index_base_b.num_vgpr, 13
	.set _ZN9rocsparseL20bsrxmvn_17_32_kernelILj22EillaaiEEvT2_20rocsparse_direction_NS_24const_host_device_scalarIT0_EES1_PKS1_PKT1_SA_S7_PKT3_PKT4_S5_PT5_21rocsparse_index_base_b.num_agpr, 0
	.set _ZN9rocsparseL20bsrxmvn_17_32_kernelILj22EillaaiEEvT2_20rocsparse_direction_NS_24const_host_device_scalarIT0_EES1_PKS1_PKT1_SA_S7_PKT3_PKT4_S5_PT5_21rocsparse_index_base_b.numbered_sgpr, 24
	.set _ZN9rocsparseL20bsrxmvn_17_32_kernelILj22EillaaiEEvT2_20rocsparse_direction_NS_24const_host_device_scalarIT0_EES1_PKS1_PKT1_SA_S7_PKT3_PKT4_S5_PT5_21rocsparse_index_base_b.num_named_barrier, 0
	.set _ZN9rocsparseL20bsrxmvn_17_32_kernelILj22EillaaiEEvT2_20rocsparse_direction_NS_24const_host_device_scalarIT0_EES1_PKS1_PKT1_SA_S7_PKT3_PKT4_S5_PT5_21rocsparse_index_base_b.private_seg_size, 0
	.set _ZN9rocsparseL20bsrxmvn_17_32_kernelILj22EillaaiEEvT2_20rocsparse_direction_NS_24const_host_device_scalarIT0_EES1_PKS1_PKT1_SA_S7_PKT3_PKT4_S5_PT5_21rocsparse_index_base_b.uses_vcc, 1
	.set _ZN9rocsparseL20bsrxmvn_17_32_kernelILj22EillaaiEEvT2_20rocsparse_direction_NS_24const_host_device_scalarIT0_EES1_PKS1_PKT1_SA_S7_PKT3_PKT4_S5_PT5_21rocsparse_index_base_b.uses_flat_scratch, 0
	.set _ZN9rocsparseL20bsrxmvn_17_32_kernelILj22EillaaiEEvT2_20rocsparse_direction_NS_24const_host_device_scalarIT0_EES1_PKS1_PKT1_SA_S7_PKT3_PKT4_S5_PT5_21rocsparse_index_base_b.has_dyn_sized_stack, 0
	.set _ZN9rocsparseL20bsrxmvn_17_32_kernelILj22EillaaiEEvT2_20rocsparse_direction_NS_24const_host_device_scalarIT0_EES1_PKS1_PKT1_SA_S7_PKT3_PKT4_S5_PT5_21rocsparse_index_base_b.has_recursion, 0
	.set _ZN9rocsparseL20bsrxmvn_17_32_kernelILj22EillaaiEEvT2_20rocsparse_direction_NS_24const_host_device_scalarIT0_EES1_PKS1_PKT1_SA_S7_PKT3_PKT4_S5_PT5_21rocsparse_index_base_b.has_indirect_call, 0
	.section	.AMDGPU.csdata,"",@progbits
; Kernel info:
; codeLenInByte = 1368
; TotalNumSgprs: 28
; NumVgprs: 13
; ScratchSize: 0
; MemoryBound: 0
; FloatMode: 240
; IeeeMode: 1
; LDSByteSize: 1936 bytes/workgroup (compile time only)
; SGPRBlocks: 3
; VGPRBlocks: 3
; NumSGPRsForWavesPerEU: 28
; NumVGPRsForWavesPerEU: 13
; Occupancy: 10
; WaveLimiterHint : 1
; COMPUTE_PGM_RSRC2:SCRATCH_EN: 0
; COMPUTE_PGM_RSRC2:USER_SGPR: 6
; COMPUTE_PGM_RSRC2:TRAP_HANDLER: 0
; COMPUTE_PGM_RSRC2:TGID_X_EN: 1
; COMPUTE_PGM_RSRC2:TGID_Y_EN: 0
; COMPUTE_PGM_RSRC2:TGID_Z_EN: 0
; COMPUTE_PGM_RSRC2:TIDIG_COMP_CNT: 0
	.section	.text._ZN9rocsparseL20bsrxmvn_17_32_kernelILj23EillaaiEEvT2_20rocsparse_direction_NS_24const_host_device_scalarIT0_EES1_PKS1_PKT1_SA_S7_PKT3_PKT4_S5_PT5_21rocsparse_index_base_b,"axG",@progbits,_ZN9rocsparseL20bsrxmvn_17_32_kernelILj23EillaaiEEvT2_20rocsparse_direction_NS_24const_host_device_scalarIT0_EES1_PKS1_PKT1_SA_S7_PKT3_PKT4_S5_PT5_21rocsparse_index_base_b,comdat
	.globl	_ZN9rocsparseL20bsrxmvn_17_32_kernelILj23EillaaiEEvT2_20rocsparse_direction_NS_24const_host_device_scalarIT0_EES1_PKS1_PKT1_SA_S7_PKT3_PKT4_S5_PT5_21rocsparse_index_base_b ; -- Begin function _ZN9rocsparseL20bsrxmvn_17_32_kernelILj23EillaaiEEvT2_20rocsparse_direction_NS_24const_host_device_scalarIT0_EES1_PKS1_PKT1_SA_S7_PKT3_PKT4_S5_PT5_21rocsparse_index_base_b
	.p2align	8
	.type	_ZN9rocsparseL20bsrxmvn_17_32_kernelILj23EillaaiEEvT2_20rocsparse_direction_NS_24const_host_device_scalarIT0_EES1_PKS1_PKT1_SA_S7_PKT3_PKT4_S5_PT5_21rocsparse_index_base_b,@function
_ZN9rocsparseL20bsrxmvn_17_32_kernelILj23EillaaiEEvT2_20rocsparse_direction_NS_24const_host_device_scalarIT0_EES1_PKS1_PKT1_SA_S7_PKT3_PKT4_S5_PT5_21rocsparse_index_base_b: ; @_ZN9rocsparseL20bsrxmvn_17_32_kernelILj23EillaaiEEvT2_20rocsparse_direction_NS_24const_host_device_scalarIT0_EES1_PKS1_PKT1_SA_S7_PKT3_PKT4_S5_PT5_21rocsparse_index_base_b
; %bb.0:
	s_load_dwordx2 s[14:15], s[4:5], 0x60
	s_load_dwordx2 s[8:9], s[4:5], 0x10
	s_mov_b64 s[10:11], -1
	s_waitcnt lgkmcnt(0)
	s_bitcmp1_b32 s15, 0
	s_cselect_b64 s[0:1], -1, 0
	s_xor_b64 s[2:3], s[0:1], -1
	s_and_b64 vcc, exec, s[2:3]
                                        ; implicit-def: $sgpr15
	s_cbranch_vccnz .LBB230_4
; %bb.1:
	s_load_dwordx2 s[0:1], s[4:5], 0x50
	s_andn2_b64 vcc, exec, s[10:11]
	s_cbranch_vccz .LBB230_5
.LBB230_2:
	s_and_b64 vcc, exec, s[2:3]
	s_cbranch_vccz .LBB230_6
.LBB230_3:
	s_waitcnt lgkmcnt(0)
	s_load_dword s20, s[0:1], 0x0
	s_cbranch_execz .LBB230_7
	s_branch .LBB230_8
.LBB230_4:
	s_load_dword s15, s[8:9], 0x0
	s_load_dwordx2 s[0:1], s[4:5], 0x50
	s_cbranch_execnz .LBB230_2
.LBB230_5:
	s_waitcnt lgkmcnt(0)
	s_mov_b32 s15, s8
	s_and_b64 vcc, exec, s[2:3]
	s_cbranch_vccnz .LBB230_3
.LBB230_6:
                                        ; implicit-def: $sgpr20
.LBB230_7:
	s_waitcnt lgkmcnt(0)
	s_mov_b32 s20, s0
.LBB230_8:
	s_waitcnt lgkmcnt(0)
	s_cmp_lg_u32 s15, 0
	s_cselect_b64 s[0:1], -1, 0
	s_cmp_lg_u32 s20, 1
	s_cselect_b64 s[2:3], -1, 0
	s_or_b64 s[0:1], s[0:1], s[2:3]
	s_andn2_b64 vcc, exec, s[0:1]
	s_mov_b32 s7, 0
	s_cbranch_vccnz .LBB230_44
; %bb.9:
	s_load_dwordx4 s[0:3], s[4:5], 0x20
	s_load_dwordx2 s[8:9], s[4:5], 0x30
	s_waitcnt lgkmcnt(0)
	s_cmp_eq_u64 s[0:1], 0
	s_cbranch_scc1 .LBB230_11
; %bb.10:
	s_lshl_b64 s[6:7], s[6:7], 3
	s_add_u32 s0, s0, s6
	s_addc_u32 s1, s1, s7
	s_load_dwordx2 s[0:1], s[0:1], 0x0
	s_waitcnt lgkmcnt(0)
	s_sub_u32 s6, s0, s14
	s_subb_u32 s7, s1, 0
.LBB230_11:
	s_load_dword s10, s[4:5], 0x8
	s_load_dwordx2 s[12:13], s[4:5], 0x58
	v_mul_u32_u24_e32 v1, 0xb22, v0
	v_mov_b32_e32 v2, 23
	v_mul_lo_u16_sdwa v2, v1, v2 dst_sel:DWORD dst_unused:UNUSED_PAD src0_sel:WORD_1 src1_sel:DWORD
	s_waitcnt lgkmcnt(0)
	s_cmp_eq_u32 s10, 1
	s_cselect_b64 s[0:1], -1, 0
	s_cmp_lg_u32 s10, 1
	s_cselect_b64 s[16:17], -1, 0
	s_lshl_b64 s[10:11], s[6:7], 3
	s_add_u32 s22, s2, s10
	s_addc_u32 s23, s3, s11
	s_add_u32 s2, s22, 8
	s_addc_u32 s3, s23, 0
	;; [unrolled: 2-line block ×3, first 2 shown]
	s_cmp_eq_u64 s[8:9], 0
	s_cselect_b32 s9, s3, s11
	s_cselect_b32 s8, s2, s10
	s_load_dwordx2 s[2:3], s[8:9], 0x0
	s_load_dwordx2 s[18:19], s[22:23], 0x0
	v_sub_u16_e32 v8, v0, v2
	v_mov_b32_e32 v7, 0
	s_waitcnt lgkmcnt(0)
	v_mov_b32_e32 v2, s2
	v_mov_b32_e32 v3, s3
	v_cmp_ge_i64_e32 vcc, s[18:19], v[2:3]
	s_cbranch_vccnz .LBB230_16
; %bb.12:
	s_load_dwordx4 s[8:11], s[4:5], 0x38
	s_load_dwordx2 s[22:23], s[4:5], 0x48
	s_mov_b32 s4, 0xffff
	s_sub_u32 s2, s2, s14
	s_movk_i32 s5, 0x211
	v_and_b32_sdwa v1, s4, v1 dst_sel:DWORD dst_unused:UNUSED_PAD src0_sel:DWORD src1_sel:WORD_1
	s_subb_u32 s3, s3, 0
	v_subrev_u32_e32 v2, 23, v1
	v_cmp_gt_u32_e32 vcc, s5, v0
	s_sub_u32 s4, s18, s14
	v_cndmask_b32_e32 v1, v2, v1, vcc
	s_subb_u32 s5, s19, 0
	v_cndmask_b32_e64 v1, v8, v1, s[0:1]
	s_mul_i32 s0, s5, 0x211
	s_mul_hi_u32 s1, s4, 0x211
	s_add_i32 s1, s1, s0
	s_mul_i32 s0, s4, 0x211
	s_waitcnt lgkmcnt(0)
	v_mov_b32_e32 v2, s23
	v_add_co_u32_e32 v1, vcc, s22, v1
	s_add_u32 s0, s10, s0
	v_addc_co_u32_e32 v2, vcc, 0, v2, vcc
	s_addc_u32 s1, s11, s1
	v_mov_b32_e32 v4, s1
	v_add_co_u32_e32 v3, vcc, s0, v0
	v_addc_co_u32_e32 v4, vcc, 0, v4, vcc
	s_movk_i32 s0, 0x210
	v_cmp_lt_u32_e32 vcc, s0, v0
	v_cndmask_b32_e64 v9, 0, 1, vcc
	v_mov_b32_e32 v5, s19
	v_add_co_u32_e32 v6, vcc, s18, v9
	v_addc_co_u32_e32 v10, vcc, 0, v5, vcc
	v_subrev_co_u32_e32 v5, vcc, s14, v6
	v_subbrev_co_u32_e32 v6, vcc, 0, v10, vcc
	v_lshlrev_b64 v[5:6], 3, v[5:6]
	v_mov_b32_e32 v10, s9
	v_add_co_u32_e32 v5, vcc, s8, v5
	v_mov_b32_e32 v7, 0
	v_addc_co_u32_e32 v6, vcc, v10, v6, vcc
	s_branch .LBB230_14
.LBB230_13:                             ;   in Loop: Header=BB230_14 Depth=1
	s_or_b64 exec, exec, s[0:1]
	s_add_u32 s4, s4, 1
	v_mov_b32_e32 v11, s3
	s_addc_u32 s5, s5, 0
	v_mov_b32_e32 v10, s2
	v_cmp_lt_i64_e32 vcc, s[4:5], v[10:11]
	v_add_co_u32_e64 v5, s[0:1], 8, v5
	v_addc_co_u32_e64 v6, s[0:1], 0, v6, s[0:1]
	s_cbranch_vccz .LBB230_16
.LBB230_14:                             ; =>This Inner Loop Header: Depth=1
	v_mov_b32_e32 v11, s5
	v_add_co_u32_e32 v10, vcc, s4, v9
	v_addc_co_u32_e32 v11, vcc, 0, v11, vcc
	v_cmp_gt_i64_e32 vcc, s[2:3], v[10:11]
	s_and_saveexec_b64 s[0:1], vcc
	s_cbranch_execz .LBB230_13
; %bb.15:                               ;   in Loop: Header=BB230_14 Depth=1
	global_load_dwordx2 v[10:11], v[5:6], off
	s_waitcnt vmcnt(0)
	v_subrev_co_u32_e32 v10, vcc, s14, v10
	v_subbrev_co_u32_e32 v12, vcc, 0, v11, vcc
	v_mad_u64_u32 v[10:11], s[8:9], v10, 23, v[1:2]
	v_mad_u64_u32 v[11:12], s[8:9], v12, 23, v[11:12]
	global_load_sbyte v12, v[3:4], off
	s_nop 0
	global_load_sbyte v10, v[10:11], off
	v_add_co_u32_e32 v3, vcc, 0x211, v3
	v_addc_co_u32_e32 v4, vcc, 0, v4, vcc
	s_waitcnt vmcnt(0)
	v_mad_i32_i24 v7, v10, v12, v7
	s_branch .LBB230_13
.LBB230_16:
	v_lshlrev_b32_e32 v1, 2, v0
	s_and_b64 vcc, exec, s[16:17]
	ds_write_b32 v1, v7
	s_waitcnt lgkmcnt(0)
	s_barrier
	s_cbranch_vccz .LBB230_28
; %bb.17:
	v_cmp_gt_u16_e32 vcc, 7, v8
	s_and_saveexec_b64 s[0:1], vcc
	s_cbranch_execz .LBB230_19
; %bb.18:
	ds_read2_b32 v[2:3], v1 offset1:16
	s_waitcnt lgkmcnt(0)
	v_add_u32_e32 v2, v2, v3
	ds_write_b32 v1, v2
.LBB230_19:
	s_or_b64 exec, exec, s[0:1]
	v_cmp_gt_u16_e32 vcc, 8, v8
	s_waitcnt lgkmcnt(0)
	s_barrier
	s_and_saveexec_b64 s[0:1], vcc
	s_cbranch_execz .LBB230_21
; %bb.20:
	ds_read2_b32 v[2:3], v1 offset1:8
	s_waitcnt lgkmcnt(0)
	v_add_u32_e32 v2, v2, v3
	ds_write_b32 v1, v2
.LBB230_21:
	s_or_b64 exec, exec, s[0:1]
	v_cmp_gt_u16_e32 vcc, 4, v8
	s_waitcnt lgkmcnt(0)
	s_barrier
	;; [unrolled: 12-line block ×3, first 2 shown]
	s_and_saveexec_b64 s[0:1], vcc
	s_cbranch_execz .LBB230_25
; %bb.24:
	ds_read2_b32 v[2:3], v1 offset1:2
	s_waitcnt lgkmcnt(0)
	v_add_u32_e32 v2, v2, v3
	ds_write_b32 v1, v2
.LBB230_25:
	s_or_b64 exec, exec, s[0:1]
	v_cmp_gt_u32_e32 vcc, 23, v0
	v_mov_b32_e32 v2, v7
	s_waitcnt lgkmcnt(0)
	s_barrier
	s_and_saveexec_b64 s[0:1], vcc
	s_cbranch_execz .LBB230_27
; %bb.26:
	s_movk_i32 s2, 0x58
	v_mad_u32_u24 v2, v0, s2, v1
	ds_read2_b32 v[2:3], v2 offset1:1
	s_waitcnt lgkmcnt(0)
	v_add_u32_e32 v2, v3, v2
.LBB230_27:
	s_or_b64 exec, exec, s[0:1]
	s_branch .LBB230_40
.LBB230_28:
                                        ; implicit-def: $vgpr2
	s_cbranch_execz .LBB230_40
; %bb.29:
	s_movk_i32 s0, 0xa1
	v_cmp_gt_u32_e32 vcc, s0, v0
	s_and_saveexec_b64 s[0:1], vcc
	s_cbranch_execz .LBB230_31
; %bb.30:
	ds_read_b32 v2, v1 offset:1472
	ds_read_b32 v3, v1
	s_waitcnt lgkmcnt(0)
	v_add_u32_e32 v2, v3, v2
	ds_write_b32 v1, v2
.LBB230_31:
	s_or_b64 exec, exec, s[0:1]
	s_movk_i32 s0, 0xb8
	v_cmp_gt_u32_e32 vcc, s0, v0
	s_waitcnt lgkmcnt(0)
	s_barrier
	s_and_saveexec_b64 s[0:1], vcc
	s_cbranch_execz .LBB230_33
; %bb.32:
	ds_read2_b32 v[2:3], v1 offset1:184
	s_waitcnt lgkmcnt(0)
	v_add_u32_e32 v2, v2, v3
	ds_write_b32 v1, v2
.LBB230_33:
	s_or_b64 exec, exec, s[0:1]
	s_movk_i32 s0, 0x5c
	v_cmp_gt_u32_e32 vcc, s0, v0
	s_waitcnt lgkmcnt(0)
	s_barrier
	s_and_saveexec_b64 s[0:1], vcc
	s_cbranch_execz .LBB230_35
; %bb.34:
	ds_read2_b32 v[2:3], v1 offset1:92
	s_waitcnt lgkmcnt(0)
	v_add_u32_e32 v2, v2, v3
	ds_write_b32 v1, v2
.LBB230_35:
	s_or_b64 exec, exec, s[0:1]
	v_cmp_gt_u32_e32 vcc, 46, v0
	s_waitcnt lgkmcnt(0)
	s_barrier
	s_and_saveexec_b64 s[0:1], vcc
	s_cbranch_execz .LBB230_37
; %bb.36:
	ds_read2_b32 v[2:3], v1 offset1:46
	s_waitcnt lgkmcnt(0)
	v_add_u32_e32 v2, v2, v3
	ds_write_b32 v1, v2
.LBB230_37:
	s_or_b64 exec, exec, s[0:1]
	v_cmp_gt_u32_e32 vcc, 23, v0
	s_waitcnt lgkmcnt(0)
	s_and_saveexec_b64 s[0:1], vcc
	s_cbranch_execz .LBB230_39
; %bb.38:
	ds_read2_b32 v[2:3], v1 offset1:23
	s_waitcnt lgkmcnt(0)
	v_add_u32_e32 v7, v3, v2
.LBB230_39:
	s_or_b64 exec, exec, s[0:1]
	v_mov_b32_e32 v2, v7
.LBB230_40:
	v_cmp_gt_u32_e32 vcc, 23, v0
	s_and_saveexec_b64 s[0:1], vcc
	s_cbranch_execz .LBB230_44
; %bb.41:
	v_mul_lo_u32 v0, v2, s15
	s_cmp_eq_u32 s20, 0
	s_mul_i32 s2, s7, 0x5c
	s_mul_hi_u32 s3, s6, 0x5c
	s_mul_i32 s4, s6, 0x5c
	s_cbranch_scc1 .LBB230_45
; %bb.42:
	s_add_i32 s1, s3, s2
	s_add_u32 s0, s12, s4
	s_addc_u32 s1, s13, s1
	global_load_dword v2, v1, s[0:1]
	s_waitcnt vmcnt(0)
	v_mad_u64_u32 v[2:3], s[6:7], v2, s20, v[0:1]
	global_store_dword v1, v2, s[0:1]
	s_cbranch_execnz .LBB230_44
.LBB230_43:
	s_add_i32 s3, s3, s2
	s_add_u32 s0, s12, s4
	s_addc_u32 s1, s13, s3
	global_store_dword v1, v0, s[0:1]
.LBB230_44:
	s_endpgm
.LBB230_45:
	s_branch .LBB230_43
	.section	.rodata,"a",@progbits
	.p2align	6, 0x0
	.amdhsa_kernel _ZN9rocsparseL20bsrxmvn_17_32_kernelILj23EillaaiEEvT2_20rocsparse_direction_NS_24const_host_device_scalarIT0_EES1_PKS1_PKT1_SA_S7_PKT3_PKT4_S5_PT5_21rocsparse_index_base_b
		.amdhsa_group_segment_fixed_size 2116
		.amdhsa_private_segment_fixed_size 0
		.amdhsa_kernarg_size 104
		.amdhsa_user_sgpr_count 6
		.amdhsa_user_sgpr_private_segment_buffer 1
		.amdhsa_user_sgpr_dispatch_ptr 0
		.amdhsa_user_sgpr_queue_ptr 0
		.amdhsa_user_sgpr_kernarg_segment_ptr 1
		.amdhsa_user_sgpr_dispatch_id 0
		.amdhsa_user_sgpr_flat_scratch_init 0
		.amdhsa_user_sgpr_private_segment_size 0
		.amdhsa_uses_dynamic_stack 0
		.amdhsa_system_sgpr_private_segment_wavefront_offset 0
		.amdhsa_system_sgpr_workgroup_id_x 1
		.amdhsa_system_sgpr_workgroup_id_y 0
		.amdhsa_system_sgpr_workgroup_id_z 0
		.amdhsa_system_sgpr_workgroup_info 0
		.amdhsa_system_vgpr_workitem_id 0
		.amdhsa_next_free_vgpr 25
		.amdhsa_next_free_sgpr 61
		.amdhsa_reserve_vcc 1
		.amdhsa_reserve_flat_scratch 0
		.amdhsa_float_round_mode_32 0
		.amdhsa_float_round_mode_16_64 0
		.amdhsa_float_denorm_mode_32 3
		.amdhsa_float_denorm_mode_16_64 3
		.amdhsa_dx10_clamp 1
		.amdhsa_ieee_mode 1
		.amdhsa_fp16_overflow 0
		.amdhsa_exception_fp_ieee_invalid_op 0
		.amdhsa_exception_fp_denorm_src 0
		.amdhsa_exception_fp_ieee_div_zero 0
		.amdhsa_exception_fp_ieee_overflow 0
		.amdhsa_exception_fp_ieee_underflow 0
		.amdhsa_exception_fp_ieee_inexact 0
		.amdhsa_exception_int_div_zero 0
	.end_amdhsa_kernel
	.section	.text._ZN9rocsparseL20bsrxmvn_17_32_kernelILj23EillaaiEEvT2_20rocsparse_direction_NS_24const_host_device_scalarIT0_EES1_PKS1_PKT1_SA_S7_PKT3_PKT4_S5_PT5_21rocsparse_index_base_b,"axG",@progbits,_ZN9rocsparseL20bsrxmvn_17_32_kernelILj23EillaaiEEvT2_20rocsparse_direction_NS_24const_host_device_scalarIT0_EES1_PKS1_PKT1_SA_S7_PKT3_PKT4_S5_PT5_21rocsparse_index_base_b,comdat
.Lfunc_end230:
	.size	_ZN9rocsparseL20bsrxmvn_17_32_kernelILj23EillaaiEEvT2_20rocsparse_direction_NS_24const_host_device_scalarIT0_EES1_PKS1_PKT1_SA_S7_PKT3_PKT4_S5_PT5_21rocsparse_index_base_b, .Lfunc_end230-_ZN9rocsparseL20bsrxmvn_17_32_kernelILj23EillaaiEEvT2_20rocsparse_direction_NS_24const_host_device_scalarIT0_EES1_PKS1_PKT1_SA_S7_PKT3_PKT4_S5_PT5_21rocsparse_index_base_b
                                        ; -- End function
	.set _ZN9rocsparseL20bsrxmvn_17_32_kernelILj23EillaaiEEvT2_20rocsparse_direction_NS_24const_host_device_scalarIT0_EES1_PKS1_PKT1_SA_S7_PKT3_PKT4_S5_PT5_21rocsparse_index_base_b.num_vgpr, 13
	.set _ZN9rocsparseL20bsrxmvn_17_32_kernelILj23EillaaiEEvT2_20rocsparse_direction_NS_24const_host_device_scalarIT0_EES1_PKS1_PKT1_SA_S7_PKT3_PKT4_S5_PT5_21rocsparse_index_base_b.num_agpr, 0
	.set _ZN9rocsparseL20bsrxmvn_17_32_kernelILj23EillaaiEEvT2_20rocsparse_direction_NS_24const_host_device_scalarIT0_EES1_PKS1_PKT1_SA_S7_PKT3_PKT4_S5_PT5_21rocsparse_index_base_b.numbered_sgpr, 24
	.set _ZN9rocsparseL20bsrxmvn_17_32_kernelILj23EillaaiEEvT2_20rocsparse_direction_NS_24const_host_device_scalarIT0_EES1_PKS1_PKT1_SA_S7_PKT3_PKT4_S5_PT5_21rocsparse_index_base_b.num_named_barrier, 0
	.set _ZN9rocsparseL20bsrxmvn_17_32_kernelILj23EillaaiEEvT2_20rocsparse_direction_NS_24const_host_device_scalarIT0_EES1_PKS1_PKT1_SA_S7_PKT3_PKT4_S5_PT5_21rocsparse_index_base_b.private_seg_size, 0
	.set _ZN9rocsparseL20bsrxmvn_17_32_kernelILj23EillaaiEEvT2_20rocsparse_direction_NS_24const_host_device_scalarIT0_EES1_PKS1_PKT1_SA_S7_PKT3_PKT4_S5_PT5_21rocsparse_index_base_b.uses_vcc, 1
	.set _ZN9rocsparseL20bsrxmvn_17_32_kernelILj23EillaaiEEvT2_20rocsparse_direction_NS_24const_host_device_scalarIT0_EES1_PKS1_PKT1_SA_S7_PKT3_PKT4_S5_PT5_21rocsparse_index_base_b.uses_flat_scratch, 0
	.set _ZN9rocsparseL20bsrxmvn_17_32_kernelILj23EillaaiEEvT2_20rocsparse_direction_NS_24const_host_device_scalarIT0_EES1_PKS1_PKT1_SA_S7_PKT3_PKT4_S5_PT5_21rocsparse_index_base_b.has_dyn_sized_stack, 0
	.set _ZN9rocsparseL20bsrxmvn_17_32_kernelILj23EillaaiEEvT2_20rocsparse_direction_NS_24const_host_device_scalarIT0_EES1_PKS1_PKT1_SA_S7_PKT3_PKT4_S5_PT5_21rocsparse_index_base_b.has_recursion, 0
	.set _ZN9rocsparseL20bsrxmvn_17_32_kernelILj23EillaaiEEvT2_20rocsparse_direction_NS_24const_host_device_scalarIT0_EES1_PKS1_PKT1_SA_S7_PKT3_PKT4_S5_PT5_21rocsparse_index_base_b.has_indirect_call, 0
	.section	.AMDGPU.csdata,"",@progbits
; Kernel info:
; codeLenInByte = 1364
; TotalNumSgprs: 28
; NumVgprs: 13
; ScratchSize: 0
; MemoryBound: 0
; FloatMode: 240
; IeeeMode: 1
; LDSByteSize: 2116 bytes/workgroup (compile time only)
; SGPRBlocks: 8
; VGPRBlocks: 6
; NumSGPRsForWavesPerEU: 65
; NumVGPRsForWavesPerEU: 25
; Occupancy: 9
; WaveLimiterHint : 1
; COMPUTE_PGM_RSRC2:SCRATCH_EN: 0
; COMPUTE_PGM_RSRC2:USER_SGPR: 6
; COMPUTE_PGM_RSRC2:TRAP_HANDLER: 0
; COMPUTE_PGM_RSRC2:TGID_X_EN: 1
; COMPUTE_PGM_RSRC2:TGID_Y_EN: 0
; COMPUTE_PGM_RSRC2:TGID_Z_EN: 0
; COMPUTE_PGM_RSRC2:TIDIG_COMP_CNT: 0
	.section	.text._ZN9rocsparseL20bsrxmvn_17_32_kernelILj24EillaaiEEvT2_20rocsparse_direction_NS_24const_host_device_scalarIT0_EES1_PKS1_PKT1_SA_S7_PKT3_PKT4_S5_PT5_21rocsparse_index_base_b,"axG",@progbits,_ZN9rocsparseL20bsrxmvn_17_32_kernelILj24EillaaiEEvT2_20rocsparse_direction_NS_24const_host_device_scalarIT0_EES1_PKS1_PKT1_SA_S7_PKT3_PKT4_S5_PT5_21rocsparse_index_base_b,comdat
	.globl	_ZN9rocsparseL20bsrxmvn_17_32_kernelILj24EillaaiEEvT2_20rocsparse_direction_NS_24const_host_device_scalarIT0_EES1_PKS1_PKT1_SA_S7_PKT3_PKT4_S5_PT5_21rocsparse_index_base_b ; -- Begin function _ZN9rocsparseL20bsrxmvn_17_32_kernelILj24EillaaiEEvT2_20rocsparse_direction_NS_24const_host_device_scalarIT0_EES1_PKS1_PKT1_SA_S7_PKT3_PKT4_S5_PT5_21rocsparse_index_base_b
	.p2align	8
	.type	_ZN9rocsparseL20bsrxmvn_17_32_kernelILj24EillaaiEEvT2_20rocsparse_direction_NS_24const_host_device_scalarIT0_EES1_PKS1_PKT1_SA_S7_PKT3_PKT4_S5_PT5_21rocsparse_index_base_b,@function
_ZN9rocsparseL20bsrxmvn_17_32_kernelILj24EillaaiEEvT2_20rocsparse_direction_NS_24const_host_device_scalarIT0_EES1_PKS1_PKT1_SA_S7_PKT3_PKT4_S5_PT5_21rocsparse_index_base_b: ; @_ZN9rocsparseL20bsrxmvn_17_32_kernelILj24EillaaiEEvT2_20rocsparse_direction_NS_24const_host_device_scalarIT0_EES1_PKS1_PKT1_SA_S7_PKT3_PKT4_S5_PT5_21rocsparse_index_base_b
; %bb.0:
	s_load_dwordx2 s[14:15], s[4:5], 0x60
	s_load_dwordx2 s[8:9], s[4:5], 0x10
	s_mov_b64 s[10:11], -1
	s_waitcnt lgkmcnt(0)
	s_bitcmp1_b32 s15, 0
	s_cselect_b64 s[0:1], -1, 0
	s_xor_b64 s[2:3], s[0:1], -1
	s_and_b64 vcc, exec, s[2:3]
                                        ; implicit-def: $sgpr15
	s_cbranch_vccnz .LBB231_4
; %bb.1:
	s_load_dwordx2 s[0:1], s[4:5], 0x50
	s_andn2_b64 vcc, exec, s[10:11]
	s_cbranch_vccz .LBB231_5
.LBB231_2:
	s_and_b64 vcc, exec, s[2:3]
	s_cbranch_vccz .LBB231_6
.LBB231_3:
	s_waitcnt lgkmcnt(0)
	s_load_dword s20, s[0:1], 0x0
	s_cbranch_execz .LBB231_7
	s_branch .LBB231_8
.LBB231_4:
	s_load_dword s15, s[8:9], 0x0
	s_load_dwordx2 s[0:1], s[4:5], 0x50
	s_cbranch_execnz .LBB231_2
.LBB231_5:
	s_waitcnt lgkmcnt(0)
	s_mov_b32 s15, s8
	s_and_b64 vcc, exec, s[2:3]
	s_cbranch_vccnz .LBB231_3
.LBB231_6:
                                        ; implicit-def: $sgpr20
.LBB231_7:
	s_waitcnt lgkmcnt(0)
	s_mov_b32 s20, s0
.LBB231_8:
	s_waitcnt lgkmcnt(0)
	s_cmp_lg_u32 s15, 0
	s_cselect_b64 s[0:1], -1, 0
	s_cmp_lg_u32 s20, 1
	s_cselect_b64 s[2:3], -1, 0
	s_or_b64 s[0:1], s[0:1], s[2:3]
	s_andn2_b64 vcc, exec, s[0:1]
	s_mov_b32 s7, 0
	s_cbranch_vccnz .LBB231_44
; %bb.9:
	s_load_dwordx4 s[0:3], s[4:5], 0x20
	s_load_dwordx2 s[8:9], s[4:5], 0x30
	s_waitcnt lgkmcnt(0)
	s_cmp_eq_u64 s[0:1], 0
	s_cbranch_scc1 .LBB231_11
; %bb.10:
	s_lshl_b64 s[6:7], s[6:7], 3
	s_add_u32 s0, s0, s6
	s_addc_u32 s1, s1, s7
	s_load_dwordx2 s[0:1], s[0:1], 0x0
	s_waitcnt lgkmcnt(0)
	s_sub_u32 s6, s0, s14
	s_subb_u32 s7, s1, 0
.LBB231_11:
	s_load_dword s10, s[4:5], 0x8
	s_load_dwordx2 s[12:13], s[4:5], 0x58
	v_mul_u32_u24_e32 v1, 0xaab, v0
	v_mov_b32_e32 v2, 24
	v_mul_lo_u16_sdwa v2, v1, v2 dst_sel:DWORD dst_unused:UNUSED_PAD src0_sel:WORD_1 src1_sel:DWORD
	s_waitcnt lgkmcnt(0)
	s_cmp_eq_u32 s10, 1
	s_cselect_b64 s[0:1], -1, 0
	s_cmp_lg_u32 s10, 1
	s_cselect_b64 s[16:17], -1, 0
	s_lshl_b64 s[10:11], s[6:7], 3
	s_add_u32 s22, s2, s10
	s_addc_u32 s23, s3, s11
	s_add_u32 s2, s22, 8
	s_addc_u32 s3, s23, 0
	;; [unrolled: 2-line block ×3, first 2 shown]
	s_cmp_eq_u64 s[8:9], 0
	s_cselect_b32 s9, s3, s11
	s_cselect_b32 s8, s2, s10
	s_load_dwordx2 s[2:3], s[8:9], 0x0
	s_load_dwordx2 s[18:19], s[22:23], 0x0
	v_sub_u16_e32 v8, v0, v2
	v_mov_b32_e32 v7, 0
	s_waitcnt lgkmcnt(0)
	v_mov_b32_e32 v2, s2
	v_mov_b32_e32 v3, s3
	v_cmp_ge_i64_e32 vcc, s[18:19], v[2:3]
	s_cbranch_vccnz .LBB231_16
; %bb.12:
	s_load_dwordx4 s[8:11], s[4:5], 0x38
	s_load_dwordx2 s[22:23], s[4:5], 0x48
	s_mov_b32 s4, 0xffff
	s_sub_u32 s2, s2, s14
	s_movk_i32 s5, 0x240
	v_and_b32_sdwa v1, s4, v1 dst_sel:DWORD dst_unused:UNUSED_PAD src0_sel:DWORD src1_sel:WORD_1
	s_subb_u32 s3, s3, 0
	v_subrev_u32_e32 v2, 24, v1
	v_cmp_gt_u32_e32 vcc, s5, v0
	s_sub_u32 s4, s18, s14
	v_cndmask_b32_e32 v1, v2, v1, vcc
	s_subb_u32 s5, s19, 0
	v_cndmask_b32_e64 v1, v8, v1, s[0:1]
	s_mul_i32 s0, s5, 0x240
	s_mul_hi_u32 s1, s4, 0x240
	s_add_i32 s1, s1, s0
	s_mul_i32 s0, s4, 0x240
	s_waitcnt lgkmcnt(0)
	v_mov_b32_e32 v2, s23
	v_add_co_u32_e32 v1, vcc, s22, v1
	s_add_u32 s0, s10, s0
	v_addc_co_u32_e32 v2, vcc, 0, v2, vcc
	s_addc_u32 s1, s11, s1
	v_mov_b32_e32 v4, s1
	v_add_co_u32_e32 v3, vcc, s0, v0
	v_addc_co_u32_e32 v4, vcc, 0, v4, vcc
	s_movk_i32 s0, 0x23f
	v_cmp_lt_u32_e32 vcc, s0, v0
	v_cndmask_b32_e64 v9, 0, 1, vcc
	v_mov_b32_e32 v5, s19
	v_add_co_u32_e32 v6, vcc, s18, v9
	v_addc_co_u32_e32 v10, vcc, 0, v5, vcc
	v_subrev_co_u32_e32 v5, vcc, s14, v6
	v_subbrev_co_u32_e32 v6, vcc, 0, v10, vcc
	v_lshlrev_b64 v[5:6], 3, v[5:6]
	v_mov_b32_e32 v10, s9
	v_add_co_u32_e32 v5, vcc, s8, v5
	v_mov_b32_e32 v7, 0
	v_addc_co_u32_e32 v6, vcc, v10, v6, vcc
	s_branch .LBB231_14
.LBB231_13:                             ;   in Loop: Header=BB231_14 Depth=1
	s_or_b64 exec, exec, s[0:1]
	s_add_u32 s4, s4, 1
	v_mov_b32_e32 v11, s3
	s_addc_u32 s5, s5, 0
	v_mov_b32_e32 v10, s2
	v_cmp_lt_i64_e32 vcc, s[4:5], v[10:11]
	v_add_co_u32_e64 v5, s[0:1], 8, v5
	v_addc_co_u32_e64 v6, s[0:1], 0, v6, s[0:1]
	s_cbranch_vccz .LBB231_16
.LBB231_14:                             ; =>This Inner Loop Header: Depth=1
	v_mov_b32_e32 v11, s5
	v_add_co_u32_e32 v10, vcc, s4, v9
	v_addc_co_u32_e32 v11, vcc, 0, v11, vcc
	v_cmp_gt_i64_e32 vcc, s[2:3], v[10:11]
	s_and_saveexec_b64 s[0:1], vcc
	s_cbranch_execz .LBB231_13
; %bb.15:                               ;   in Loop: Header=BB231_14 Depth=1
	global_load_dwordx2 v[10:11], v[5:6], off
	s_waitcnt vmcnt(0)
	v_subrev_co_u32_e32 v10, vcc, s14, v10
	v_subbrev_co_u32_e32 v12, vcc, 0, v11, vcc
	v_mad_u64_u32 v[10:11], s[8:9], v10, 24, v[1:2]
	v_mad_u64_u32 v[11:12], s[8:9], v12, 24, v[11:12]
	global_load_sbyte v12, v[3:4], off
	s_nop 0
	global_load_sbyte v10, v[10:11], off
	v_add_co_u32_e32 v3, vcc, 0x240, v3
	v_addc_co_u32_e32 v4, vcc, 0, v4, vcc
	s_waitcnt vmcnt(0)
	v_mad_i32_i24 v7, v10, v12, v7
	s_branch .LBB231_13
.LBB231_16:
	v_lshlrev_b32_e32 v1, 2, v0
	s_and_b64 vcc, exec, s[16:17]
	ds_write_b32 v1, v7
	s_waitcnt lgkmcnt(0)
	s_barrier
	s_cbranch_vccz .LBB231_28
; %bb.17:
	v_cmp_gt_u16_e32 vcc, 8, v8
	s_and_saveexec_b64 s[0:1], vcc
	s_cbranch_execz .LBB231_19
; %bb.18:
	ds_read2_b32 v[2:3], v1 offset1:16
	s_waitcnt lgkmcnt(0)
	v_add_u32_e32 v2, v2, v3
	ds_write_b32 v1, v2
.LBB231_19:
	s_or_b64 exec, exec, s[0:1]
	s_waitcnt lgkmcnt(0)
	s_barrier
	s_and_saveexec_b64 s[0:1], vcc
	s_cbranch_execz .LBB231_21
; %bb.20:
	ds_read2_b32 v[2:3], v1 offset1:8
	s_waitcnt lgkmcnt(0)
	v_add_u32_e32 v2, v2, v3
	ds_write_b32 v1, v2
.LBB231_21:
	s_or_b64 exec, exec, s[0:1]
	v_cmp_gt_u16_e32 vcc, 4, v8
	s_waitcnt lgkmcnt(0)
	s_barrier
	s_and_saveexec_b64 s[0:1], vcc
	s_cbranch_execz .LBB231_23
; %bb.22:
	ds_read2_b32 v[2:3], v1 offset1:4
	s_waitcnt lgkmcnt(0)
	v_add_u32_e32 v2, v2, v3
	ds_write_b32 v1, v2
.LBB231_23:
	s_or_b64 exec, exec, s[0:1]
	v_cmp_gt_u16_e32 vcc, 2, v8
	s_waitcnt lgkmcnt(0)
	s_barrier
	s_and_saveexec_b64 s[0:1], vcc
	s_cbranch_execz .LBB231_25
; %bb.24:
	ds_read2_b32 v[2:3], v1 offset1:2
	s_waitcnt lgkmcnt(0)
	v_add_u32_e32 v2, v2, v3
	ds_write_b32 v1, v2
.LBB231_25:
	s_or_b64 exec, exec, s[0:1]
	v_cmp_gt_u32_e32 vcc, 24, v0
	v_mov_b32_e32 v2, v7
	s_waitcnt lgkmcnt(0)
	s_barrier
	s_and_saveexec_b64 s[0:1], vcc
	s_cbranch_execz .LBB231_27
; %bb.26:
	s_movk_i32 s2, 0x5c
	v_mad_u32_u24 v2, v0, s2, v1
	ds_read_b64 v[2:3], v2
	s_waitcnt lgkmcnt(0)
	v_add_u32_e32 v2, v3, v2
.LBB231_27:
	s_or_b64 exec, exec, s[0:1]
	s_branch .LBB231_40
.LBB231_28:
                                        ; implicit-def: $vgpr2
	s_cbranch_execz .LBB231_40
; %bb.29:
	s_movk_i32 s0, 0xc0
	v_cmp_gt_u32_e32 vcc, s0, v0
	s_and_saveexec_b64 s[0:1], vcc
	s_cbranch_execz .LBB231_31
; %bb.30:
	ds_read2st64_b32 v[2:3], v1 offset1:6
	s_waitcnt lgkmcnt(0)
	v_add_u32_e32 v2, v2, v3
	ds_write_b32 v1, v2
.LBB231_31:
	s_or_b64 exec, exec, s[0:1]
	s_waitcnt lgkmcnt(0)
	s_barrier
	s_and_saveexec_b64 s[0:1], vcc
	s_cbranch_execz .LBB231_33
; %bb.32:
	ds_read2st64_b32 v[2:3], v1 offset1:3
	s_waitcnt lgkmcnt(0)
	v_add_u32_e32 v2, v2, v3
	ds_write_b32 v1, v2
.LBB231_33:
	s_or_b64 exec, exec, s[0:1]
	s_movk_i32 s0, 0x60
	v_cmp_gt_u32_e32 vcc, s0, v0
	s_waitcnt lgkmcnt(0)
	s_barrier
	s_and_saveexec_b64 s[0:1], vcc
	s_cbranch_execz .LBB231_35
; %bb.34:
	ds_read2_b32 v[2:3], v1 offset1:96
	s_waitcnt lgkmcnt(0)
	v_add_u32_e32 v2, v2, v3
	ds_write_b32 v1, v2
.LBB231_35:
	s_or_b64 exec, exec, s[0:1]
	v_cmp_gt_u32_e32 vcc, 48, v0
	s_waitcnt lgkmcnt(0)
	s_barrier
	s_and_saveexec_b64 s[0:1], vcc
	s_cbranch_execz .LBB231_37
; %bb.36:
	ds_read2_b32 v[2:3], v1 offset1:48
	s_waitcnt lgkmcnt(0)
	v_add_u32_e32 v2, v2, v3
	ds_write_b32 v1, v2
.LBB231_37:
	s_or_b64 exec, exec, s[0:1]
	v_cmp_gt_u32_e32 vcc, 24, v0
	s_waitcnt lgkmcnt(0)
	s_and_saveexec_b64 s[0:1], vcc
	s_cbranch_execz .LBB231_39
; %bb.38:
	ds_read2_b32 v[2:3], v1 offset1:24
	s_waitcnt lgkmcnt(0)
	v_add_u32_e32 v7, v3, v2
.LBB231_39:
	s_or_b64 exec, exec, s[0:1]
	v_mov_b32_e32 v2, v7
.LBB231_40:
	v_cmp_gt_u32_e32 vcc, 24, v0
	s_and_saveexec_b64 s[0:1], vcc
	s_cbranch_execz .LBB231_44
; %bb.41:
	v_mul_lo_u32 v0, v2, s15
	s_cmp_eq_u32 s20, 0
	s_mul_i32 s2, s7, 0x60
	s_mul_hi_u32 s3, s6, 0x60
	s_mul_i32 s4, s6, 0x60
	s_cbranch_scc1 .LBB231_45
; %bb.42:
	s_add_i32 s1, s3, s2
	s_add_u32 s0, s12, s4
	s_addc_u32 s1, s13, s1
	global_load_dword v2, v1, s[0:1]
	s_waitcnt vmcnt(0)
	v_mad_u64_u32 v[2:3], s[6:7], v2, s20, v[0:1]
	global_store_dword v1, v2, s[0:1]
	s_cbranch_execnz .LBB231_44
.LBB231_43:
	s_add_i32 s3, s3, s2
	s_add_u32 s0, s12, s4
	s_addc_u32 s1, s13, s3
	global_store_dword v1, v0, s[0:1]
.LBB231_44:
	s_endpgm
.LBB231_45:
	s_branch .LBB231_43
	.section	.rodata,"a",@progbits
	.p2align	6, 0x0
	.amdhsa_kernel _ZN9rocsparseL20bsrxmvn_17_32_kernelILj24EillaaiEEvT2_20rocsparse_direction_NS_24const_host_device_scalarIT0_EES1_PKS1_PKT1_SA_S7_PKT3_PKT4_S5_PT5_21rocsparse_index_base_b
		.amdhsa_group_segment_fixed_size 2304
		.amdhsa_private_segment_fixed_size 0
		.amdhsa_kernarg_size 104
		.amdhsa_user_sgpr_count 6
		.amdhsa_user_sgpr_private_segment_buffer 1
		.amdhsa_user_sgpr_dispatch_ptr 0
		.amdhsa_user_sgpr_queue_ptr 0
		.amdhsa_user_sgpr_kernarg_segment_ptr 1
		.amdhsa_user_sgpr_dispatch_id 0
		.amdhsa_user_sgpr_flat_scratch_init 0
		.amdhsa_user_sgpr_private_segment_size 0
		.amdhsa_uses_dynamic_stack 0
		.amdhsa_system_sgpr_private_segment_wavefront_offset 0
		.amdhsa_system_sgpr_workgroup_id_x 1
		.amdhsa_system_sgpr_workgroup_id_y 0
		.amdhsa_system_sgpr_workgroup_id_z 0
		.amdhsa_system_sgpr_workgroup_info 0
		.amdhsa_system_vgpr_workitem_id 0
		.amdhsa_next_free_vgpr 25
		.amdhsa_next_free_sgpr 61
		.amdhsa_reserve_vcc 1
		.amdhsa_reserve_flat_scratch 0
		.amdhsa_float_round_mode_32 0
		.amdhsa_float_round_mode_16_64 0
		.amdhsa_float_denorm_mode_32 3
		.amdhsa_float_denorm_mode_16_64 3
		.amdhsa_dx10_clamp 1
		.amdhsa_ieee_mode 1
		.amdhsa_fp16_overflow 0
		.amdhsa_exception_fp_ieee_invalid_op 0
		.amdhsa_exception_fp_denorm_src 0
		.amdhsa_exception_fp_ieee_div_zero 0
		.amdhsa_exception_fp_ieee_overflow 0
		.amdhsa_exception_fp_ieee_underflow 0
		.amdhsa_exception_fp_ieee_inexact 0
		.amdhsa_exception_int_div_zero 0
	.end_amdhsa_kernel
	.section	.text._ZN9rocsparseL20bsrxmvn_17_32_kernelILj24EillaaiEEvT2_20rocsparse_direction_NS_24const_host_device_scalarIT0_EES1_PKS1_PKT1_SA_S7_PKT3_PKT4_S5_PT5_21rocsparse_index_base_b,"axG",@progbits,_ZN9rocsparseL20bsrxmvn_17_32_kernelILj24EillaaiEEvT2_20rocsparse_direction_NS_24const_host_device_scalarIT0_EES1_PKS1_PKT1_SA_S7_PKT3_PKT4_S5_PT5_21rocsparse_index_base_b,comdat
.Lfunc_end231:
	.size	_ZN9rocsparseL20bsrxmvn_17_32_kernelILj24EillaaiEEvT2_20rocsparse_direction_NS_24const_host_device_scalarIT0_EES1_PKS1_PKT1_SA_S7_PKT3_PKT4_S5_PT5_21rocsparse_index_base_b, .Lfunc_end231-_ZN9rocsparseL20bsrxmvn_17_32_kernelILj24EillaaiEEvT2_20rocsparse_direction_NS_24const_host_device_scalarIT0_EES1_PKS1_PKT1_SA_S7_PKT3_PKT4_S5_PT5_21rocsparse_index_base_b
                                        ; -- End function
	.set _ZN9rocsparseL20bsrxmvn_17_32_kernelILj24EillaaiEEvT2_20rocsparse_direction_NS_24const_host_device_scalarIT0_EES1_PKS1_PKT1_SA_S7_PKT3_PKT4_S5_PT5_21rocsparse_index_base_b.num_vgpr, 13
	.set _ZN9rocsparseL20bsrxmvn_17_32_kernelILj24EillaaiEEvT2_20rocsparse_direction_NS_24const_host_device_scalarIT0_EES1_PKS1_PKT1_SA_S7_PKT3_PKT4_S5_PT5_21rocsparse_index_base_b.num_agpr, 0
	.set _ZN9rocsparseL20bsrxmvn_17_32_kernelILj24EillaaiEEvT2_20rocsparse_direction_NS_24const_host_device_scalarIT0_EES1_PKS1_PKT1_SA_S7_PKT3_PKT4_S5_PT5_21rocsparse_index_base_b.numbered_sgpr, 24
	.set _ZN9rocsparseL20bsrxmvn_17_32_kernelILj24EillaaiEEvT2_20rocsparse_direction_NS_24const_host_device_scalarIT0_EES1_PKS1_PKT1_SA_S7_PKT3_PKT4_S5_PT5_21rocsparse_index_base_b.num_named_barrier, 0
	.set _ZN9rocsparseL20bsrxmvn_17_32_kernelILj24EillaaiEEvT2_20rocsparse_direction_NS_24const_host_device_scalarIT0_EES1_PKS1_PKT1_SA_S7_PKT3_PKT4_S5_PT5_21rocsparse_index_base_b.private_seg_size, 0
	.set _ZN9rocsparseL20bsrxmvn_17_32_kernelILj24EillaaiEEvT2_20rocsparse_direction_NS_24const_host_device_scalarIT0_EES1_PKS1_PKT1_SA_S7_PKT3_PKT4_S5_PT5_21rocsparse_index_base_b.uses_vcc, 1
	.set _ZN9rocsparseL20bsrxmvn_17_32_kernelILj24EillaaiEEvT2_20rocsparse_direction_NS_24const_host_device_scalarIT0_EES1_PKS1_PKT1_SA_S7_PKT3_PKT4_S5_PT5_21rocsparse_index_base_b.uses_flat_scratch, 0
	.set _ZN9rocsparseL20bsrxmvn_17_32_kernelILj24EillaaiEEvT2_20rocsparse_direction_NS_24const_host_device_scalarIT0_EES1_PKS1_PKT1_SA_S7_PKT3_PKT4_S5_PT5_21rocsparse_index_base_b.has_dyn_sized_stack, 0
	.set _ZN9rocsparseL20bsrxmvn_17_32_kernelILj24EillaaiEEvT2_20rocsparse_direction_NS_24const_host_device_scalarIT0_EES1_PKS1_PKT1_SA_S7_PKT3_PKT4_S5_PT5_21rocsparse_index_base_b.has_recursion, 0
	.set _ZN9rocsparseL20bsrxmvn_17_32_kernelILj24EillaaiEEvT2_20rocsparse_direction_NS_24const_host_device_scalarIT0_EES1_PKS1_PKT1_SA_S7_PKT3_PKT4_S5_PT5_21rocsparse_index_base_b.has_indirect_call, 0
	.section	.AMDGPU.csdata,"",@progbits
; Kernel info:
; codeLenInByte = 1344
; TotalNumSgprs: 28
; NumVgprs: 13
; ScratchSize: 0
; MemoryBound: 0
; FloatMode: 240
; IeeeMode: 1
; LDSByteSize: 2304 bytes/workgroup (compile time only)
; SGPRBlocks: 8
; VGPRBlocks: 6
; NumSGPRsForWavesPerEU: 65
; NumVGPRsForWavesPerEU: 25
; Occupancy: 9
; WaveLimiterHint : 1
; COMPUTE_PGM_RSRC2:SCRATCH_EN: 0
; COMPUTE_PGM_RSRC2:USER_SGPR: 6
; COMPUTE_PGM_RSRC2:TRAP_HANDLER: 0
; COMPUTE_PGM_RSRC2:TGID_X_EN: 1
; COMPUTE_PGM_RSRC2:TGID_Y_EN: 0
; COMPUTE_PGM_RSRC2:TGID_Z_EN: 0
; COMPUTE_PGM_RSRC2:TIDIG_COMP_CNT: 0
	.section	.text._ZN9rocsparseL20bsrxmvn_17_32_kernelILj25EillaaiEEvT2_20rocsparse_direction_NS_24const_host_device_scalarIT0_EES1_PKS1_PKT1_SA_S7_PKT3_PKT4_S5_PT5_21rocsparse_index_base_b,"axG",@progbits,_ZN9rocsparseL20bsrxmvn_17_32_kernelILj25EillaaiEEvT2_20rocsparse_direction_NS_24const_host_device_scalarIT0_EES1_PKS1_PKT1_SA_S7_PKT3_PKT4_S5_PT5_21rocsparse_index_base_b,comdat
	.globl	_ZN9rocsparseL20bsrxmvn_17_32_kernelILj25EillaaiEEvT2_20rocsparse_direction_NS_24const_host_device_scalarIT0_EES1_PKS1_PKT1_SA_S7_PKT3_PKT4_S5_PT5_21rocsparse_index_base_b ; -- Begin function _ZN9rocsparseL20bsrxmvn_17_32_kernelILj25EillaaiEEvT2_20rocsparse_direction_NS_24const_host_device_scalarIT0_EES1_PKS1_PKT1_SA_S7_PKT3_PKT4_S5_PT5_21rocsparse_index_base_b
	.p2align	8
	.type	_ZN9rocsparseL20bsrxmvn_17_32_kernelILj25EillaaiEEvT2_20rocsparse_direction_NS_24const_host_device_scalarIT0_EES1_PKS1_PKT1_SA_S7_PKT3_PKT4_S5_PT5_21rocsparse_index_base_b,@function
_ZN9rocsparseL20bsrxmvn_17_32_kernelILj25EillaaiEEvT2_20rocsparse_direction_NS_24const_host_device_scalarIT0_EES1_PKS1_PKT1_SA_S7_PKT3_PKT4_S5_PT5_21rocsparse_index_base_b: ; @_ZN9rocsparseL20bsrxmvn_17_32_kernelILj25EillaaiEEvT2_20rocsparse_direction_NS_24const_host_device_scalarIT0_EES1_PKS1_PKT1_SA_S7_PKT3_PKT4_S5_PT5_21rocsparse_index_base_b
; %bb.0:
	s_load_dwordx2 s[14:15], s[4:5], 0x60
	s_load_dwordx2 s[8:9], s[4:5], 0x10
	s_mov_b64 s[10:11], -1
	s_waitcnt lgkmcnt(0)
	s_bitcmp1_b32 s15, 0
	s_cselect_b64 s[0:1], -1, 0
	s_xor_b64 s[2:3], s[0:1], -1
	s_and_b64 vcc, exec, s[2:3]
                                        ; implicit-def: $sgpr15
	s_cbranch_vccnz .LBB232_4
; %bb.1:
	s_load_dwordx2 s[0:1], s[4:5], 0x50
	s_andn2_b64 vcc, exec, s[10:11]
	s_cbranch_vccz .LBB232_5
.LBB232_2:
	s_and_b64 vcc, exec, s[2:3]
	s_cbranch_vccz .LBB232_6
.LBB232_3:
	s_waitcnt lgkmcnt(0)
	s_load_dword s20, s[0:1], 0x0
	s_cbranch_execz .LBB232_7
	s_branch .LBB232_8
.LBB232_4:
	s_load_dword s15, s[8:9], 0x0
	s_load_dwordx2 s[0:1], s[4:5], 0x50
	s_cbranch_execnz .LBB232_2
.LBB232_5:
	s_waitcnt lgkmcnt(0)
	s_mov_b32 s15, s8
	s_and_b64 vcc, exec, s[2:3]
	s_cbranch_vccnz .LBB232_3
.LBB232_6:
                                        ; implicit-def: $sgpr20
.LBB232_7:
	s_waitcnt lgkmcnt(0)
	s_mov_b32 s20, s0
.LBB232_8:
	s_waitcnt lgkmcnt(0)
	s_cmp_lg_u32 s15, 0
	s_cselect_b64 s[0:1], -1, 0
	s_cmp_lg_u32 s20, 1
	s_cselect_b64 s[2:3], -1, 0
	s_or_b64 s[0:1], s[0:1], s[2:3]
	s_andn2_b64 vcc, exec, s[0:1]
	s_mov_b32 s7, 0
	s_cbranch_vccnz .LBB232_44
; %bb.9:
	s_load_dwordx4 s[0:3], s[4:5], 0x20
	s_load_dwordx2 s[8:9], s[4:5], 0x30
	s_waitcnt lgkmcnt(0)
	s_cmp_eq_u64 s[0:1], 0
	s_cbranch_scc1 .LBB232_11
; %bb.10:
	s_lshl_b64 s[6:7], s[6:7], 3
	s_add_u32 s0, s0, s6
	s_addc_u32 s1, s1, s7
	s_load_dwordx2 s[0:1], s[0:1], 0x0
	s_waitcnt lgkmcnt(0)
	s_sub_u32 s6, s0, s14
	s_subb_u32 s7, s1, 0
.LBB232_11:
	s_load_dword s10, s[4:5], 0x8
	s_load_dwordx2 s[12:13], s[4:5], 0x58
	v_mul_u32_u24_e32 v1, 0xa3e, v0
	v_mov_b32_e32 v2, 25
	v_mul_lo_u16_sdwa v2, v1, v2 dst_sel:DWORD dst_unused:UNUSED_PAD src0_sel:WORD_1 src1_sel:DWORD
	s_waitcnt lgkmcnt(0)
	s_cmp_eq_u32 s10, 1
	s_cselect_b64 s[0:1], -1, 0
	s_cmp_lg_u32 s10, 1
	s_cselect_b64 s[16:17], -1, 0
	s_lshl_b64 s[10:11], s[6:7], 3
	s_add_u32 s22, s2, s10
	s_addc_u32 s23, s3, s11
	s_add_u32 s2, s22, 8
	s_addc_u32 s3, s23, 0
	;; [unrolled: 2-line block ×3, first 2 shown]
	s_cmp_eq_u64 s[8:9], 0
	s_cselect_b32 s9, s3, s11
	s_cselect_b32 s8, s2, s10
	s_load_dwordx2 s[2:3], s[8:9], 0x0
	s_load_dwordx2 s[18:19], s[22:23], 0x0
	v_sub_u16_e32 v10, v0, v2
	v_mov_b32_e32 v9, 0
	s_waitcnt lgkmcnt(0)
	v_mov_b32_e32 v2, s2
	v_mov_b32_e32 v3, s3
	v_cmp_ge_i64_e32 vcc, s[18:19], v[2:3]
	s_cbranch_vccnz .LBB232_16
; %bb.12:
	s_load_dwordx4 s[8:11], s[4:5], 0x38
	s_load_dwordx2 s[22:23], s[4:5], 0x48
	s_mov_b32 s4, 0xffff
	s_sub_u32 s2, s2, s14
	s_movk_i32 s5, 0x271
	v_and_b32_sdwa v1, s4, v1 dst_sel:DWORD dst_unused:UNUSED_PAD src0_sel:DWORD src1_sel:WORD_1
	s_subb_u32 s3, s3, 0
	v_subrev_u32_e32 v2, 25, v1
	v_cmp_gt_u32_e32 vcc, s5, v0
	s_sub_u32 s4, s18, s14
	v_cndmask_b32_e32 v1, v2, v1, vcc
	s_subb_u32 s5, s19, 0
	v_cndmask_b32_e64 v1, v10, v1, s[0:1]
	s_mul_i32 s0, s5, 0x271
	s_mul_hi_u32 s1, s4, 0x271
	s_add_i32 s1, s1, s0
	s_mul_i32 s0, s4, 0x271
	s_waitcnt lgkmcnt(0)
	v_mov_b32_e32 v2, s23
	v_add_co_u32_e32 v1, vcc, s22, v1
	s_add_u32 s0, s10, s0
	v_addc_co_u32_e32 v2, vcc, 0, v2, vcc
	s_addc_u32 s1, s11, s1
	v_mov_b32_e32 v4, s1
	v_add_co_u32_e32 v3, vcc, s0, v0
	v_addc_co_u32_e32 v4, vcc, 0, v4, vcc
	s_movk_i32 s0, 0x270
	v_cmp_lt_u32_e32 vcc, s0, v0
	v_cndmask_b32_e64 v11, 0, 1, vcc
	v_mov_b32_e32 v5, s19
	v_add_co_u32_e32 v6, vcc, s18, v11
	v_addc_co_u32_e32 v7, vcc, 0, v5, vcc
	v_subrev_co_u32_e32 v5, vcc, s14, v6
	v_subbrev_co_u32_e32 v6, vcc, 0, v7, vcc
	v_lshlrev_b64 v[5:6], 3, v[5:6]
	v_mov_b32_e32 v7, s9
	v_add_co_u32_e32 v5, vcc, s8, v5
	v_addc_co_u32_e32 v6, vcc, v7, v6, vcc
	v_mov_b32_e32 v8, s3
	v_mov_b32_e32 v9, 0
	;; [unrolled: 1-line block ×3, first 2 shown]
	s_branch .LBB232_14
.LBB232_13:                             ;   in Loop: Header=BB232_14 Depth=1
	s_or_b64 exec, exec, s[0:1]
	s_add_u32 s4, s4, 1
	s_addc_u32 s5, s5, 0
	v_cmp_lt_i64_e32 vcc, s[4:5], v[7:8]
	v_add_co_u32_e64 v5, s[0:1], 8, v5
	v_addc_co_u32_e64 v6, s[0:1], 0, v6, s[0:1]
	s_cbranch_vccz .LBB232_16
.LBB232_14:                             ; =>This Inner Loop Header: Depth=1
	v_mov_b32_e32 v13, s5
	v_add_co_u32_e32 v12, vcc, s4, v11
	v_addc_co_u32_e32 v13, vcc, 0, v13, vcc
	v_cmp_gt_i64_e32 vcc, s[2:3], v[12:13]
	s_and_saveexec_b64 s[0:1], vcc
	s_cbranch_execz .LBB232_13
; %bb.15:                               ;   in Loop: Header=BB232_14 Depth=1
	global_load_dwordx2 v[12:13], v[5:6], off
	s_waitcnt vmcnt(0)
	v_subrev_co_u32_e32 v12, vcc, s14, v12
	v_subbrev_co_u32_e32 v14, vcc, 0, v13, vcc
	v_mad_u64_u32 v[12:13], s[8:9], v12, 25, v[1:2]
	v_mad_u64_u32 v[13:14], s[8:9], v14, 25, v[13:14]
	global_load_sbyte v14, v[3:4], off
	s_nop 0
	global_load_sbyte v12, v[12:13], off
	v_add_co_u32_e32 v3, vcc, 0x271, v3
	v_addc_co_u32_e32 v4, vcc, 0, v4, vcc
	s_waitcnt vmcnt(0)
	v_mad_i32_i24 v9, v12, v14, v9
	s_branch .LBB232_13
.LBB232_16:
	v_lshlrev_b32_e32 v1, 2, v0
	s_and_b64 vcc, exec, s[16:17]
	ds_write_b32 v1, v9
	s_waitcnt lgkmcnt(0)
	s_barrier
	s_cbranch_vccz .LBB232_28
; %bb.17:
	v_cmp_gt_u16_e32 vcc, 9, v10
	s_and_saveexec_b64 s[0:1], vcc
	s_cbranch_execz .LBB232_19
; %bb.18:
	ds_read2_b32 v[2:3], v1 offset1:16
	s_waitcnt lgkmcnt(0)
	v_add_u32_e32 v2, v2, v3
	ds_write_b32 v1, v2
.LBB232_19:
	s_or_b64 exec, exec, s[0:1]
	v_cmp_gt_u16_e32 vcc, 8, v10
	s_waitcnt lgkmcnt(0)
	s_barrier
	s_and_saveexec_b64 s[0:1], vcc
	s_cbranch_execz .LBB232_21
; %bb.20:
	ds_read2_b32 v[2:3], v1 offset1:8
	s_waitcnt lgkmcnt(0)
	v_add_u32_e32 v2, v2, v3
	ds_write_b32 v1, v2
.LBB232_21:
	s_or_b64 exec, exec, s[0:1]
	v_cmp_gt_u16_e32 vcc, 4, v10
	s_waitcnt lgkmcnt(0)
	s_barrier
	;; [unrolled: 12-line block ×3, first 2 shown]
	s_and_saveexec_b64 s[0:1], vcc
	s_cbranch_execz .LBB232_25
; %bb.24:
	ds_read2_b32 v[2:3], v1 offset1:2
	s_waitcnt lgkmcnt(0)
	v_add_u32_e32 v2, v2, v3
	ds_write_b32 v1, v2
.LBB232_25:
	s_or_b64 exec, exec, s[0:1]
	v_cmp_gt_u32_e32 vcc, 25, v0
	v_mov_b32_e32 v2, v9
	s_waitcnt lgkmcnt(0)
	s_barrier
	s_and_saveexec_b64 s[0:1], vcc
	s_cbranch_execz .LBB232_27
; %bb.26:
	s_movk_i32 s2, 0x60
	v_mad_u32_u24 v2, v0, s2, v1
	ds_read2_b32 v[2:3], v2 offset1:1
	s_waitcnt lgkmcnt(0)
	v_add_u32_e32 v2, v3, v2
.LBB232_27:
	s_or_b64 exec, exec, s[0:1]
	s_branch .LBB232_40
.LBB232_28:
                                        ; implicit-def: $vgpr2
	s_cbranch_execz .LBB232_40
; %bb.29:
	s_movk_i32 s0, 0xe1
	v_cmp_gt_u32_e32 vcc, s0, v0
	s_and_saveexec_b64 s[0:1], vcc
	s_cbranch_execz .LBB232_31
; %bb.30:
	ds_read_b32 v2, v1 offset:1600
	ds_read_b32 v3, v1
	s_waitcnt lgkmcnt(0)
	v_add_u32_e32 v2, v3, v2
	ds_write_b32 v1, v2
.LBB232_31:
	s_or_b64 exec, exec, s[0:1]
	s_movk_i32 s0, 0xc8
	v_cmp_gt_u32_e32 vcc, s0, v0
	s_waitcnt lgkmcnt(0)
	s_barrier
	s_and_saveexec_b64 s[0:1], vcc
	s_cbranch_execz .LBB232_33
; %bb.32:
	ds_read2_b32 v[2:3], v1 offset1:200
	s_waitcnt lgkmcnt(0)
	v_add_u32_e32 v2, v2, v3
	ds_write_b32 v1, v2
.LBB232_33:
	s_or_b64 exec, exec, s[0:1]
	s_movk_i32 s0, 0x64
	v_cmp_gt_u32_e32 vcc, s0, v0
	s_waitcnt lgkmcnt(0)
	s_barrier
	s_and_saveexec_b64 s[0:1], vcc
	s_cbranch_execz .LBB232_35
; %bb.34:
	ds_read2_b32 v[2:3], v1 offset1:100
	s_waitcnt lgkmcnt(0)
	v_add_u32_e32 v2, v2, v3
	ds_write_b32 v1, v2
.LBB232_35:
	s_or_b64 exec, exec, s[0:1]
	v_cmp_gt_u32_e32 vcc, 50, v0
	s_waitcnt lgkmcnt(0)
	s_barrier
	s_and_saveexec_b64 s[0:1], vcc
	s_cbranch_execz .LBB232_37
; %bb.36:
	ds_read2_b32 v[2:3], v1 offset1:50
	s_waitcnt lgkmcnt(0)
	v_add_u32_e32 v2, v2, v3
	ds_write_b32 v1, v2
.LBB232_37:
	s_or_b64 exec, exec, s[0:1]
	v_cmp_gt_u32_e32 vcc, 25, v0
	s_waitcnt lgkmcnt(0)
	s_and_saveexec_b64 s[0:1], vcc
	s_cbranch_execz .LBB232_39
; %bb.38:
	ds_read2_b32 v[2:3], v1 offset1:25
	s_waitcnt lgkmcnt(0)
	v_add_u32_e32 v9, v3, v2
.LBB232_39:
	s_or_b64 exec, exec, s[0:1]
	v_mov_b32_e32 v2, v9
.LBB232_40:
	v_cmp_gt_u32_e32 vcc, 25, v0
	s_and_saveexec_b64 s[0:1], vcc
	s_cbranch_execz .LBB232_44
; %bb.41:
	v_mul_lo_u32 v0, v2, s15
	s_cmp_eq_u32 s20, 0
	s_mul_i32 s2, s7, 0x64
	s_mul_hi_u32 s3, s6, 0x64
	s_mul_i32 s4, s6, 0x64
	s_cbranch_scc1 .LBB232_45
; %bb.42:
	s_add_i32 s1, s3, s2
	s_add_u32 s0, s12, s4
	s_addc_u32 s1, s13, s1
	global_load_dword v2, v1, s[0:1]
	s_waitcnt vmcnt(0)
	v_mad_u64_u32 v[2:3], s[6:7], v2, s20, v[0:1]
	global_store_dword v1, v2, s[0:1]
	s_cbranch_execnz .LBB232_44
.LBB232_43:
	s_add_i32 s3, s3, s2
	s_add_u32 s0, s12, s4
	s_addc_u32 s1, s13, s3
	global_store_dword v1, v0, s[0:1]
.LBB232_44:
	s_endpgm
.LBB232_45:
	s_branch .LBB232_43
	.section	.rodata,"a",@progbits
	.p2align	6, 0x0
	.amdhsa_kernel _ZN9rocsparseL20bsrxmvn_17_32_kernelILj25EillaaiEEvT2_20rocsparse_direction_NS_24const_host_device_scalarIT0_EES1_PKS1_PKT1_SA_S7_PKT3_PKT4_S5_PT5_21rocsparse_index_base_b
		.amdhsa_group_segment_fixed_size 2500
		.amdhsa_private_segment_fixed_size 0
		.amdhsa_kernarg_size 104
		.amdhsa_user_sgpr_count 6
		.amdhsa_user_sgpr_private_segment_buffer 1
		.amdhsa_user_sgpr_dispatch_ptr 0
		.amdhsa_user_sgpr_queue_ptr 0
		.amdhsa_user_sgpr_kernarg_segment_ptr 1
		.amdhsa_user_sgpr_dispatch_id 0
		.amdhsa_user_sgpr_flat_scratch_init 0
		.amdhsa_user_sgpr_private_segment_size 0
		.amdhsa_uses_dynamic_stack 0
		.amdhsa_system_sgpr_private_segment_wavefront_offset 0
		.amdhsa_system_sgpr_workgroup_id_x 1
		.amdhsa_system_sgpr_workgroup_id_y 0
		.amdhsa_system_sgpr_workgroup_id_z 0
		.amdhsa_system_sgpr_workgroup_info 0
		.amdhsa_system_vgpr_workitem_id 0
		.amdhsa_next_free_vgpr 15
		.amdhsa_next_free_sgpr 24
		.amdhsa_reserve_vcc 1
		.amdhsa_reserve_flat_scratch 0
		.amdhsa_float_round_mode_32 0
		.amdhsa_float_round_mode_16_64 0
		.amdhsa_float_denorm_mode_32 3
		.amdhsa_float_denorm_mode_16_64 3
		.amdhsa_dx10_clamp 1
		.amdhsa_ieee_mode 1
		.amdhsa_fp16_overflow 0
		.amdhsa_exception_fp_ieee_invalid_op 0
		.amdhsa_exception_fp_denorm_src 0
		.amdhsa_exception_fp_ieee_div_zero 0
		.amdhsa_exception_fp_ieee_overflow 0
		.amdhsa_exception_fp_ieee_underflow 0
		.amdhsa_exception_fp_ieee_inexact 0
		.amdhsa_exception_int_div_zero 0
	.end_amdhsa_kernel
	.section	.text._ZN9rocsparseL20bsrxmvn_17_32_kernelILj25EillaaiEEvT2_20rocsparse_direction_NS_24const_host_device_scalarIT0_EES1_PKS1_PKT1_SA_S7_PKT3_PKT4_S5_PT5_21rocsparse_index_base_b,"axG",@progbits,_ZN9rocsparseL20bsrxmvn_17_32_kernelILj25EillaaiEEvT2_20rocsparse_direction_NS_24const_host_device_scalarIT0_EES1_PKS1_PKT1_SA_S7_PKT3_PKT4_S5_PT5_21rocsparse_index_base_b,comdat
.Lfunc_end232:
	.size	_ZN9rocsparseL20bsrxmvn_17_32_kernelILj25EillaaiEEvT2_20rocsparse_direction_NS_24const_host_device_scalarIT0_EES1_PKS1_PKT1_SA_S7_PKT3_PKT4_S5_PT5_21rocsparse_index_base_b, .Lfunc_end232-_ZN9rocsparseL20bsrxmvn_17_32_kernelILj25EillaaiEEvT2_20rocsparse_direction_NS_24const_host_device_scalarIT0_EES1_PKS1_PKT1_SA_S7_PKT3_PKT4_S5_PT5_21rocsparse_index_base_b
                                        ; -- End function
	.set _ZN9rocsparseL20bsrxmvn_17_32_kernelILj25EillaaiEEvT2_20rocsparse_direction_NS_24const_host_device_scalarIT0_EES1_PKS1_PKT1_SA_S7_PKT3_PKT4_S5_PT5_21rocsparse_index_base_b.num_vgpr, 15
	.set _ZN9rocsparseL20bsrxmvn_17_32_kernelILj25EillaaiEEvT2_20rocsparse_direction_NS_24const_host_device_scalarIT0_EES1_PKS1_PKT1_SA_S7_PKT3_PKT4_S5_PT5_21rocsparse_index_base_b.num_agpr, 0
	.set _ZN9rocsparseL20bsrxmvn_17_32_kernelILj25EillaaiEEvT2_20rocsparse_direction_NS_24const_host_device_scalarIT0_EES1_PKS1_PKT1_SA_S7_PKT3_PKT4_S5_PT5_21rocsparse_index_base_b.numbered_sgpr, 24
	.set _ZN9rocsparseL20bsrxmvn_17_32_kernelILj25EillaaiEEvT2_20rocsparse_direction_NS_24const_host_device_scalarIT0_EES1_PKS1_PKT1_SA_S7_PKT3_PKT4_S5_PT5_21rocsparse_index_base_b.num_named_barrier, 0
	.set _ZN9rocsparseL20bsrxmvn_17_32_kernelILj25EillaaiEEvT2_20rocsparse_direction_NS_24const_host_device_scalarIT0_EES1_PKS1_PKT1_SA_S7_PKT3_PKT4_S5_PT5_21rocsparse_index_base_b.private_seg_size, 0
	.set _ZN9rocsparseL20bsrxmvn_17_32_kernelILj25EillaaiEEvT2_20rocsparse_direction_NS_24const_host_device_scalarIT0_EES1_PKS1_PKT1_SA_S7_PKT3_PKT4_S5_PT5_21rocsparse_index_base_b.uses_vcc, 1
	.set _ZN9rocsparseL20bsrxmvn_17_32_kernelILj25EillaaiEEvT2_20rocsparse_direction_NS_24const_host_device_scalarIT0_EES1_PKS1_PKT1_SA_S7_PKT3_PKT4_S5_PT5_21rocsparse_index_base_b.uses_flat_scratch, 0
	.set _ZN9rocsparseL20bsrxmvn_17_32_kernelILj25EillaaiEEvT2_20rocsparse_direction_NS_24const_host_device_scalarIT0_EES1_PKS1_PKT1_SA_S7_PKT3_PKT4_S5_PT5_21rocsparse_index_base_b.has_dyn_sized_stack, 0
	.set _ZN9rocsparseL20bsrxmvn_17_32_kernelILj25EillaaiEEvT2_20rocsparse_direction_NS_24const_host_device_scalarIT0_EES1_PKS1_PKT1_SA_S7_PKT3_PKT4_S5_PT5_21rocsparse_index_base_b.has_recursion, 0
	.set _ZN9rocsparseL20bsrxmvn_17_32_kernelILj25EillaaiEEvT2_20rocsparse_direction_NS_24const_host_device_scalarIT0_EES1_PKS1_PKT1_SA_S7_PKT3_PKT4_S5_PT5_21rocsparse_index_base_b.has_indirect_call, 0
	.section	.AMDGPU.csdata,"",@progbits
; Kernel info:
; codeLenInByte = 1364
; TotalNumSgprs: 28
; NumVgprs: 15
; ScratchSize: 0
; MemoryBound: 0
; FloatMode: 240
; IeeeMode: 1
; LDSByteSize: 2500 bytes/workgroup (compile time only)
; SGPRBlocks: 3
; VGPRBlocks: 3
; NumSGPRsForWavesPerEU: 28
; NumVGPRsForWavesPerEU: 15
; Occupancy: 10
; WaveLimiterHint : 1
; COMPUTE_PGM_RSRC2:SCRATCH_EN: 0
; COMPUTE_PGM_RSRC2:USER_SGPR: 6
; COMPUTE_PGM_RSRC2:TRAP_HANDLER: 0
; COMPUTE_PGM_RSRC2:TGID_X_EN: 1
; COMPUTE_PGM_RSRC2:TGID_Y_EN: 0
; COMPUTE_PGM_RSRC2:TGID_Z_EN: 0
; COMPUTE_PGM_RSRC2:TIDIG_COMP_CNT: 0
	.section	.text._ZN9rocsparseL20bsrxmvn_17_32_kernelILj26EillaaiEEvT2_20rocsparse_direction_NS_24const_host_device_scalarIT0_EES1_PKS1_PKT1_SA_S7_PKT3_PKT4_S5_PT5_21rocsparse_index_base_b,"axG",@progbits,_ZN9rocsparseL20bsrxmvn_17_32_kernelILj26EillaaiEEvT2_20rocsparse_direction_NS_24const_host_device_scalarIT0_EES1_PKS1_PKT1_SA_S7_PKT3_PKT4_S5_PT5_21rocsparse_index_base_b,comdat
	.globl	_ZN9rocsparseL20bsrxmvn_17_32_kernelILj26EillaaiEEvT2_20rocsparse_direction_NS_24const_host_device_scalarIT0_EES1_PKS1_PKT1_SA_S7_PKT3_PKT4_S5_PT5_21rocsparse_index_base_b ; -- Begin function _ZN9rocsparseL20bsrxmvn_17_32_kernelILj26EillaaiEEvT2_20rocsparse_direction_NS_24const_host_device_scalarIT0_EES1_PKS1_PKT1_SA_S7_PKT3_PKT4_S5_PT5_21rocsparse_index_base_b
	.p2align	8
	.type	_ZN9rocsparseL20bsrxmvn_17_32_kernelILj26EillaaiEEvT2_20rocsparse_direction_NS_24const_host_device_scalarIT0_EES1_PKS1_PKT1_SA_S7_PKT3_PKT4_S5_PT5_21rocsparse_index_base_b,@function
_ZN9rocsparseL20bsrxmvn_17_32_kernelILj26EillaaiEEvT2_20rocsparse_direction_NS_24const_host_device_scalarIT0_EES1_PKS1_PKT1_SA_S7_PKT3_PKT4_S5_PT5_21rocsparse_index_base_b: ; @_ZN9rocsparseL20bsrxmvn_17_32_kernelILj26EillaaiEEvT2_20rocsparse_direction_NS_24const_host_device_scalarIT0_EES1_PKS1_PKT1_SA_S7_PKT3_PKT4_S5_PT5_21rocsparse_index_base_b
; %bb.0:
	s_load_dwordx2 s[14:15], s[4:5], 0x60
	s_load_dwordx2 s[8:9], s[4:5], 0x10
	s_mov_b64 s[10:11], -1
	s_waitcnt lgkmcnt(0)
	s_bitcmp1_b32 s15, 0
	s_cselect_b64 s[0:1], -1, 0
	s_xor_b64 s[2:3], s[0:1], -1
	s_and_b64 vcc, exec, s[2:3]
                                        ; implicit-def: $sgpr15
	s_cbranch_vccnz .LBB233_4
; %bb.1:
	s_load_dwordx2 s[0:1], s[4:5], 0x50
	s_andn2_b64 vcc, exec, s[10:11]
	s_cbranch_vccz .LBB233_5
.LBB233_2:
	s_and_b64 vcc, exec, s[2:3]
	s_cbranch_vccz .LBB233_6
.LBB233_3:
	s_waitcnt lgkmcnt(0)
	s_load_dword s20, s[0:1], 0x0
	s_cbranch_execz .LBB233_7
	s_branch .LBB233_8
.LBB233_4:
	s_load_dword s15, s[8:9], 0x0
	s_load_dwordx2 s[0:1], s[4:5], 0x50
	s_cbranch_execnz .LBB233_2
.LBB233_5:
	s_waitcnt lgkmcnt(0)
	s_mov_b32 s15, s8
	s_and_b64 vcc, exec, s[2:3]
	s_cbranch_vccnz .LBB233_3
.LBB233_6:
                                        ; implicit-def: $sgpr20
.LBB233_7:
	s_waitcnt lgkmcnt(0)
	s_mov_b32 s20, s0
.LBB233_8:
	s_waitcnt lgkmcnt(0)
	s_cmp_lg_u32 s15, 0
	s_cselect_b64 s[0:1], -1, 0
	s_cmp_lg_u32 s20, 1
	s_cselect_b64 s[2:3], -1, 0
	s_or_b64 s[0:1], s[0:1], s[2:3]
	s_andn2_b64 vcc, exec, s[0:1]
	s_mov_b32 s7, 0
	s_cbranch_vccnz .LBB233_44
; %bb.9:
	s_load_dwordx4 s[0:3], s[4:5], 0x20
	s_load_dwordx2 s[8:9], s[4:5], 0x30
	s_waitcnt lgkmcnt(0)
	s_cmp_eq_u64 s[0:1], 0
	s_cbranch_scc1 .LBB233_11
; %bb.10:
	s_lshl_b64 s[6:7], s[6:7], 3
	s_add_u32 s0, s0, s6
	s_addc_u32 s1, s1, s7
	s_load_dwordx2 s[0:1], s[0:1], 0x0
	s_waitcnt lgkmcnt(0)
	s_sub_u32 s6, s0, s14
	s_subb_u32 s7, s1, 0
.LBB233_11:
	s_load_dword s10, s[4:5], 0x8
	s_load_dwordx2 s[12:13], s[4:5], 0x58
	v_mul_u32_u24_e32 v1, 0x9d9, v0
	v_mov_b32_e32 v2, 26
	v_mul_lo_u16_sdwa v2, v1, v2 dst_sel:DWORD dst_unused:UNUSED_PAD src0_sel:WORD_1 src1_sel:DWORD
	s_waitcnt lgkmcnt(0)
	s_cmp_eq_u32 s10, 1
	s_cselect_b64 s[0:1], -1, 0
	s_cmp_lg_u32 s10, 1
	s_cselect_b64 s[16:17], -1, 0
	s_lshl_b64 s[10:11], s[6:7], 3
	s_add_u32 s22, s2, s10
	s_addc_u32 s23, s3, s11
	s_add_u32 s2, s22, 8
	s_addc_u32 s3, s23, 0
	;; [unrolled: 2-line block ×3, first 2 shown]
	s_cmp_eq_u64 s[8:9], 0
	s_cselect_b32 s9, s3, s11
	s_cselect_b32 s8, s2, s10
	s_load_dwordx2 s[2:3], s[8:9], 0x0
	s_load_dwordx2 s[18:19], s[22:23], 0x0
	v_sub_u16_e32 v10, v0, v2
	v_mov_b32_e32 v9, 0
	s_waitcnt lgkmcnt(0)
	v_mov_b32_e32 v2, s2
	v_mov_b32_e32 v3, s3
	v_cmp_ge_i64_e32 vcc, s[18:19], v[2:3]
	s_cbranch_vccnz .LBB233_16
; %bb.12:
	s_load_dwordx4 s[8:11], s[4:5], 0x38
	s_load_dwordx2 s[22:23], s[4:5], 0x48
	s_mov_b32 s4, 0xffff
	s_sub_u32 s2, s2, s14
	s_movk_i32 s5, 0x2a4
	v_and_b32_sdwa v1, s4, v1 dst_sel:DWORD dst_unused:UNUSED_PAD src0_sel:DWORD src1_sel:WORD_1
	s_subb_u32 s3, s3, 0
	v_subrev_u32_e32 v2, 26, v1
	v_cmp_gt_u32_e32 vcc, s5, v0
	s_sub_u32 s4, s18, s14
	v_cndmask_b32_e32 v1, v2, v1, vcc
	s_subb_u32 s5, s19, 0
	v_cndmask_b32_e64 v1, v10, v1, s[0:1]
	s_mul_i32 s0, s5, 0x2a4
	s_mul_hi_u32 s1, s4, 0x2a4
	s_add_i32 s1, s1, s0
	s_mul_i32 s0, s4, 0x2a4
	s_waitcnt lgkmcnt(0)
	v_mov_b32_e32 v2, s23
	v_add_co_u32_e32 v1, vcc, s22, v1
	s_add_u32 s0, s10, s0
	v_addc_co_u32_e32 v2, vcc, 0, v2, vcc
	s_addc_u32 s1, s11, s1
	v_mov_b32_e32 v4, s1
	v_add_co_u32_e32 v3, vcc, s0, v0
	v_addc_co_u32_e32 v4, vcc, 0, v4, vcc
	s_movk_i32 s0, 0x2a3
	v_cmp_lt_u32_e32 vcc, s0, v0
	v_cndmask_b32_e64 v11, 0, 1, vcc
	v_mov_b32_e32 v5, s19
	v_add_co_u32_e32 v6, vcc, s18, v11
	v_addc_co_u32_e32 v7, vcc, 0, v5, vcc
	v_subrev_co_u32_e32 v5, vcc, s14, v6
	v_subbrev_co_u32_e32 v6, vcc, 0, v7, vcc
	v_lshlrev_b64 v[5:6], 3, v[5:6]
	v_mov_b32_e32 v7, s9
	v_add_co_u32_e32 v5, vcc, s8, v5
	v_addc_co_u32_e32 v6, vcc, v7, v6, vcc
	v_mov_b32_e32 v8, s3
	v_mov_b32_e32 v9, 0
	;; [unrolled: 1-line block ×3, first 2 shown]
	s_branch .LBB233_14
.LBB233_13:                             ;   in Loop: Header=BB233_14 Depth=1
	s_or_b64 exec, exec, s[0:1]
	s_add_u32 s4, s4, 1
	s_addc_u32 s5, s5, 0
	v_cmp_lt_i64_e32 vcc, s[4:5], v[7:8]
	v_add_co_u32_e64 v5, s[0:1], 8, v5
	v_addc_co_u32_e64 v6, s[0:1], 0, v6, s[0:1]
	s_cbranch_vccz .LBB233_16
.LBB233_14:                             ; =>This Inner Loop Header: Depth=1
	v_mov_b32_e32 v13, s5
	v_add_co_u32_e32 v12, vcc, s4, v11
	v_addc_co_u32_e32 v13, vcc, 0, v13, vcc
	v_cmp_gt_i64_e32 vcc, s[2:3], v[12:13]
	s_and_saveexec_b64 s[0:1], vcc
	s_cbranch_execz .LBB233_13
; %bb.15:                               ;   in Loop: Header=BB233_14 Depth=1
	global_load_dwordx2 v[12:13], v[5:6], off
	s_waitcnt vmcnt(0)
	v_subrev_co_u32_e32 v12, vcc, s14, v12
	v_subbrev_co_u32_e32 v14, vcc, 0, v13, vcc
	v_mad_u64_u32 v[12:13], s[8:9], v12, 26, v[1:2]
	v_mad_u64_u32 v[13:14], s[8:9], v14, 26, v[13:14]
	global_load_sbyte v14, v[3:4], off
	s_nop 0
	global_load_sbyte v12, v[12:13], off
	v_add_co_u32_e32 v3, vcc, 0x2a4, v3
	v_addc_co_u32_e32 v4, vcc, 0, v4, vcc
	s_waitcnt vmcnt(0)
	v_mad_i32_i24 v9, v12, v14, v9
	s_branch .LBB233_13
.LBB233_16:
	v_lshlrev_b32_e32 v1, 2, v0
	s_and_b64 vcc, exec, s[16:17]
	ds_write_b32 v1, v9
	s_waitcnt lgkmcnt(0)
	s_barrier
	s_cbranch_vccz .LBB233_28
; %bb.17:
	v_cmp_gt_u16_e32 vcc, 10, v10
	s_and_saveexec_b64 s[0:1], vcc
	s_cbranch_execz .LBB233_19
; %bb.18:
	ds_read2_b32 v[2:3], v1 offset1:16
	s_waitcnt lgkmcnt(0)
	v_add_u32_e32 v2, v2, v3
	ds_write_b32 v1, v2
.LBB233_19:
	s_or_b64 exec, exec, s[0:1]
	v_cmp_gt_u16_e32 vcc, 8, v10
	s_waitcnt lgkmcnt(0)
	s_barrier
	s_and_saveexec_b64 s[0:1], vcc
	s_cbranch_execz .LBB233_21
; %bb.20:
	ds_read2_b32 v[2:3], v1 offset1:8
	s_waitcnt lgkmcnt(0)
	v_add_u32_e32 v2, v2, v3
	ds_write_b32 v1, v2
.LBB233_21:
	s_or_b64 exec, exec, s[0:1]
	v_cmp_gt_u16_e32 vcc, 4, v10
	s_waitcnt lgkmcnt(0)
	s_barrier
	;; [unrolled: 12-line block ×3, first 2 shown]
	s_and_saveexec_b64 s[0:1], vcc
	s_cbranch_execz .LBB233_25
; %bb.24:
	ds_read2_b32 v[2:3], v1 offset1:2
	s_waitcnt lgkmcnt(0)
	v_add_u32_e32 v2, v2, v3
	ds_write_b32 v1, v2
.LBB233_25:
	s_or_b64 exec, exec, s[0:1]
	v_cmp_gt_u32_e32 vcc, 26, v0
	v_mov_b32_e32 v2, v9
	s_waitcnt lgkmcnt(0)
	s_barrier
	s_and_saveexec_b64 s[0:1], vcc
	s_cbranch_execz .LBB233_27
; %bb.26:
	s_movk_i32 s2, 0x64
	v_mad_u32_u24 v2, v0, s2, v1
	ds_read_b64 v[2:3], v2
	s_waitcnt lgkmcnt(0)
	v_add_u32_e32 v2, v3, v2
.LBB233_27:
	s_or_b64 exec, exec, s[0:1]
	s_branch .LBB233_40
.LBB233_28:
                                        ; implicit-def: $vgpr2
	s_cbranch_execz .LBB233_40
; %bb.29:
	s_movk_i32 s0, 0x104
	v_cmp_gt_u32_e32 vcc, s0, v0
	s_and_saveexec_b64 s[0:1], vcc
	s_cbranch_execz .LBB233_31
; %bb.30:
	ds_read_b32 v2, v1 offset:1664
	ds_read_b32 v3, v1
	s_waitcnt lgkmcnt(0)
	v_add_u32_e32 v2, v3, v2
	ds_write_b32 v1, v2
.LBB233_31:
	s_or_b64 exec, exec, s[0:1]
	s_movk_i32 s0, 0xd0
	v_cmp_gt_u32_e32 vcc, s0, v0
	s_waitcnt lgkmcnt(0)
	s_barrier
	s_and_saveexec_b64 s[0:1], vcc
	s_cbranch_execz .LBB233_33
; %bb.32:
	ds_read2_b32 v[2:3], v1 offset1:208
	s_waitcnt lgkmcnt(0)
	v_add_u32_e32 v2, v2, v3
	ds_write_b32 v1, v2
.LBB233_33:
	s_or_b64 exec, exec, s[0:1]
	s_movk_i32 s0, 0x68
	v_cmp_gt_u32_e32 vcc, s0, v0
	s_waitcnt lgkmcnt(0)
	s_barrier
	s_and_saveexec_b64 s[0:1], vcc
	s_cbranch_execz .LBB233_35
; %bb.34:
	ds_read2_b32 v[2:3], v1 offset1:104
	s_waitcnt lgkmcnt(0)
	v_add_u32_e32 v2, v2, v3
	ds_write_b32 v1, v2
.LBB233_35:
	s_or_b64 exec, exec, s[0:1]
	v_cmp_gt_u32_e32 vcc, 52, v0
	s_waitcnt lgkmcnt(0)
	s_barrier
	s_and_saveexec_b64 s[0:1], vcc
	s_cbranch_execz .LBB233_37
; %bb.36:
	ds_read2_b32 v[2:3], v1 offset1:52
	s_waitcnt lgkmcnt(0)
	v_add_u32_e32 v2, v2, v3
	ds_write_b32 v1, v2
.LBB233_37:
	s_or_b64 exec, exec, s[0:1]
	v_cmp_gt_u32_e32 vcc, 26, v0
	s_waitcnt lgkmcnt(0)
	s_and_saveexec_b64 s[0:1], vcc
	s_cbranch_execz .LBB233_39
; %bb.38:
	ds_read2_b32 v[2:3], v1 offset1:26
	s_waitcnt lgkmcnt(0)
	v_add_u32_e32 v9, v3, v2
.LBB233_39:
	s_or_b64 exec, exec, s[0:1]
	v_mov_b32_e32 v2, v9
.LBB233_40:
	v_cmp_gt_u32_e32 vcc, 26, v0
	s_and_saveexec_b64 s[0:1], vcc
	s_cbranch_execz .LBB233_44
; %bb.41:
	v_mul_lo_u32 v0, v2, s15
	s_cmp_eq_u32 s20, 0
	s_mul_i32 s2, s7, 0x68
	s_mul_hi_u32 s3, s6, 0x68
	s_mul_i32 s4, s6, 0x68
	s_cbranch_scc1 .LBB233_45
; %bb.42:
	s_add_i32 s1, s3, s2
	s_add_u32 s0, s12, s4
	s_addc_u32 s1, s13, s1
	global_load_dword v2, v1, s[0:1]
	s_waitcnt vmcnt(0)
	v_mad_u64_u32 v[2:3], s[6:7], v2, s20, v[0:1]
	global_store_dword v1, v2, s[0:1]
	s_cbranch_execnz .LBB233_44
.LBB233_43:
	s_add_i32 s3, s3, s2
	s_add_u32 s0, s12, s4
	s_addc_u32 s1, s13, s3
	global_store_dword v1, v0, s[0:1]
.LBB233_44:
	s_endpgm
.LBB233_45:
	s_branch .LBB233_43
	.section	.rodata,"a",@progbits
	.p2align	6, 0x0
	.amdhsa_kernel _ZN9rocsparseL20bsrxmvn_17_32_kernelILj26EillaaiEEvT2_20rocsparse_direction_NS_24const_host_device_scalarIT0_EES1_PKS1_PKT1_SA_S7_PKT3_PKT4_S5_PT5_21rocsparse_index_base_b
		.amdhsa_group_segment_fixed_size 2704
		.amdhsa_private_segment_fixed_size 0
		.amdhsa_kernarg_size 104
		.amdhsa_user_sgpr_count 6
		.amdhsa_user_sgpr_private_segment_buffer 1
		.amdhsa_user_sgpr_dispatch_ptr 0
		.amdhsa_user_sgpr_queue_ptr 0
		.amdhsa_user_sgpr_kernarg_segment_ptr 1
		.amdhsa_user_sgpr_dispatch_id 0
		.amdhsa_user_sgpr_flat_scratch_init 0
		.amdhsa_user_sgpr_private_segment_size 0
		.amdhsa_uses_dynamic_stack 0
		.amdhsa_system_sgpr_private_segment_wavefront_offset 0
		.amdhsa_system_sgpr_workgroup_id_x 1
		.amdhsa_system_sgpr_workgroup_id_y 0
		.amdhsa_system_sgpr_workgroup_id_z 0
		.amdhsa_system_sgpr_workgroup_info 0
		.amdhsa_system_vgpr_workitem_id 0
		.amdhsa_next_free_vgpr 25
		.amdhsa_next_free_sgpr 61
		.amdhsa_reserve_vcc 1
		.amdhsa_reserve_flat_scratch 0
		.amdhsa_float_round_mode_32 0
		.amdhsa_float_round_mode_16_64 0
		.amdhsa_float_denorm_mode_32 3
		.amdhsa_float_denorm_mode_16_64 3
		.amdhsa_dx10_clamp 1
		.amdhsa_ieee_mode 1
		.amdhsa_fp16_overflow 0
		.amdhsa_exception_fp_ieee_invalid_op 0
		.amdhsa_exception_fp_denorm_src 0
		.amdhsa_exception_fp_ieee_div_zero 0
		.amdhsa_exception_fp_ieee_overflow 0
		.amdhsa_exception_fp_ieee_underflow 0
		.amdhsa_exception_fp_ieee_inexact 0
		.amdhsa_exception_int_div_zero 0
	.end_amdhsa_kernel
	.section	.text._ZN9rocsparseL20bsrxmvn_17_32_kernelILj26EillaaiEEvT2_20rocsparse_direction_NS_24const_host_device_scalarIT0_EES1_PKS1_PKT1_SA_S7_PKT3_PKT4_S5_PT5_21rocsparse_index_base_b,"axG",@progbits,_ZN9rocsparseL20bsrxmvn_17_32_kernelILj26EillaaiEEvT2_20rocsparse_direction_NS_24const_host_device_scalarIT0_EES1_PKS1_PKT1_SA_S7_PKT3_PKT4_S5_PT5_21rocsparse_index_base_b,comdat
.Lfunc_end233:
	.size	_ZN9rocsparseL20bsrxmvn_17_32_kernelILj26EillaaiEEvT2_20rocsparse_direction_NS_24const_host_device_scalarIT0_EES1_PKS1_PKT1_SA_S7_PKT3_PKT4_S5_PT5_21rocsparse_index_base_b, .Lfunc_end233-_ZN9rocsparseL20bsrxmvn_17_32_kernelILj26EillaaiEEvT2_20rocsparse_direction_NS_24const_host_device_scalarIT0_EES1_PKS1_PKT1_SA_S7_PKT3_PKT4_S5_PT5_21rocsparse_index_base_b
                                        ; -- End function
	.set _ZN9rocsparseL20bsrxmvn_17_32_kernelILj26EillaaiEEvT2_20rocsparse_direction_NS_24const_host_device_scalarIT0_EES1_PKS1_PKT1_SA_S7_PKT3_PKT4_S5_PT5_21rocsparse_index_base_b.num_vgpr, 15
	.set _ZN9rocsparseL20bsrxmvn_17_32_kernelILj26EillaaiEEvT2_20rocsparse_direction_NS_24const_host_device_scalarIT0_EES1_PKS1_PKT1_SA_S7_PKT3_PKT4_S5_PT5_21rocsparse_index_base_b.num_agpr, 0
	.set _ZN9rocsparseL20bsrxmvn_17_32_kernelILj26EillaaiEEvT2_20rocsparse_direction_NS_24const_host_device_scalarIT0_EES1_PKS1_PKT1_SA_S7_PKT3_PKT4_S5_PT5_21rocsparse_index_base_b.numbered_sgpr, 24
	.set _ZN9rocsparseL20bsrxmvn_17_32_kernelILj26EillaaiEEvT2_20rocsparse_direction_NS_24const_host_device_scalarIT0_EES1_PKS1_PKT1_SA_S7_PKT3_PKT4_S5_PT5_21rocsparse_index_base_b.num_named_barrier, 0
	.set _ZN9rocsparseL20bsrxmvn_17_32_kernelILj26EillaaiEEvT2_20rocsparse_direction_NS_24const_host_device_scalarIT0_EES1_PKS1_PKT1_SA_S7_PKT3_PKT4_S5_PT5_21rocsparse_index_base_b.private_seg_size, 0
	.set _ZN9rocsparseL20bsrxmvn_17_32_kernelILj26EillaaiEEvT2_20rocsparse_direction_NS_24const_host_device_scalarIT0_EES1_PKS1_PKT1_SA_S7_PKT3_PKT4_S5_PT5_21rocsparse_index_base_b.uses_vcc, 1
	.set _ZN9rocsparseL20bsrxmvn_17_32_kernelILj26EillaaiEEvT2_20rocsparse_direction_NS_24const_host_device_scalarIT0_EES1_PKS1_PKT1_SA_S7_PKT3_PKT4_S5_PT5_21rocsparse_index_base_b.uses_flat_scratch, 0
	.set _ZN9rocsparseL20bsrxmvn_17_32_kernelILj26EillaaiEEvT2_20rocsparse_direction_NS_24const_host_device_scalarIT0_EES1_PKS1_PKT1_SA_S7_PKT3_PKT4_S5_PT5_21rocsparse_index_base_b.has_dyn_sized_stack, 0
	.set _ZN9rocsparseL20bsrxmvn_17_32_kernelILj26EillaaiEEvT2_20rocsparse_direction_NS_24const_host_device_scalarIT0_EES1_PKS1_PKT1_SA_S7_PKT3_PKT4_S5_PT5_21rocsparse_index_base_b.has_recursion, 0
	.set _ZN9rocsparseL20bsrxmvn_17_32_kernelILj26EillaaiEEvT2_20rocsparse_direction_NS_24const_host_device_scalarIT0_EES1_PKS1_PKT1_SA_S7_PKT3_PKT4_S5_PT5_21rocsparse_index_base_b.has_indirect_call, 0
	.section	.AMDGPU.csdata,"",@progbits
; Kernel info:
; codeLenInByte = 1364
; TotalNumSgprs: 28
; NumVgprs: 15
; ScratchSize: 0
; MemoryBound: 0
; FloatMode: 240
; IeeeMode: 1
; LDSByteSize: 2704 bytes/workgroup (compile time only)
; SGPRBlocks: 8
; VGPRBlocks: 6
; NumSGPRsForWavesPerEU: 65
; NumVGPRsForWavesPerEU: 25
; Occupancy: 9
; WaveLimiterHint : 1
; COMPUTE_PGM_RSRC2:SCRATCH_EN: 0
; COMPUTE_PGM_RSRC2:USER_SGPR: 6
; COMPUTE_PGM_RSRC2:TRAP_HANDLER: 0
; COMPUTE_PGM_RSRC2:TGID_X_EN: 1
; COMPUTE_PGM_RSRC2:TGID_Y_EN: 0
; COMPUTE_PGM_RSRC2:TGID_Z_EN: 0
; COMPUTE_PGM_RSRC2:TIDIG_COMP_CNT: 0
	.section	.text._ZN9rocsparseL20bsrxmvn_17_32_kernelILj27EillaaiEEvT2_20rocsparse_direction_NS_24const_host_device_scalarIT0_EES1_PKS1_PKT1_SA_S7_PKT3_PKT4_S5_PT5_21rocsparse_index_base_b,"axG",@progbits,_ZN9rocsparseL20bsrxmvn_17_32_kernelILj27EillaaiEEvT2_20rocsparse_direction_NS_24const_host_device_scalarIT0_EES1_PKS1_PKT1_SA_S7_PKT3_PKT4_S5_PT5_21rocsparse_index_base_b,comdat
	.globl	_ZN9rocsparseL20bsrxmvn_17_32_kernelILj27EillaaiEEvT2_20rocsparse_direction_NS_24const_host_device_scalarIT0_EES1_PKS1_PKT1_SA_S7_PKT3_PKT4_S5_PT5_21rocsparse_index_base_b ; -- Begin function _ZN9rocsparseL20bsrxmvn_17_32_kernelILj27EillaaiEEvT2_20rocsparse_direction_NS_24const_host_device_scalarIT0_EES1_PKS1_PKT1_SA_S7_PKT3_PKT4_S5_PT5_21rocsparse_index_base_b
	.p2align	8
	.type	_ZN9rocsparseL20bsrxmvn_17_32_kernelILj27EillaaiEEvT2_20rocsparse_direction_NS_24const_host_device_scalarIT0_EES1_PKS1_PKT1_SA_S7_PKT3_PKT4_S5_PT5_21rocsparse_index_base_b,@function
_ZN9rocsparseL20bsrxmvn_17_32_kernelILj27EillaaiEEvT2_20rocsparse_direction_NS_24const_host_device_scalarIT0_EES1_PKS1_PKT1_SA_S7_PKT3_PKT4_S5_PT5_21rocsparse_index_base_b: ; @_ZN9rocsparseL20bsrxmvn_17_32_kernelILj27EillaaiEEvT2_20rocsparse_direction_NS_24const_host_device_scalarIT0_EES1_PKS1_PKT1_SA_S7_PKT3_PKT4_S5_PT5_21rocsparse_index_base_b
; %bb.0:
	s_load_dwordx2 s[14:15], s[4:5], 0x60
	s_load_dwordx2 s[8:9], s[4:5], 0x10
	s_mov_b64 s[10:11], -1
	s_waitcnt lgkmcnt(0)
	s_bitcmp1_b32 s15, 0
	s_cselect_b64 s[0:1], -1, 0
	s_xor_b64 s[2:3], s[0:1], -1
	s_and_b64 vcc, exec, s[2:3]
                                        ; implicit-def: $sgpr15
	s_cbranch_vccnz .LBB234_4
; %bb.1:
	s_load_dwordx2 s[0:1], s[4:5], 0x50
	s_andn2_b64 vcc, exec, s[10:11]
	s_cbranch_vccz .LBB234_5
.LBB234_2:
	s_and_b64 vcc, exec, s[2:3]
	s_cbranch_vccz .LBB234_6
.LBB234_3:
	s_waitcnt lgkmcnt(0)
	s_load_dword s20, s[0:1], 0x0
	s_cbranch_execz .LBB234_7
	s_branch .LBB234_8
.LBB234_4:
	s_load_dword s15, s[8:9], 0x0
	s_load_dwordx2 s[0:1], s[4:5], 0x50
	s_cbranch_execnz .LBB234_2
.LBB234_5:
	s_waitcnt lgkmcnt(0)
	s_mov_b32 s15, s8
	s_and_b64 vcc, exec, s[2:3]
	s_cbranch_vccnz .LBB234_3
.LBB234_6:
                                        ; implicit-def: $sgpr20
.LBB234_7:
	s_waitcnt lgkmcnt(0)
	s_mov_b32 s20, s0
.LBB234_8:
	s_waitcnt lgkmcnt(0)
	s_cmp_lg_u32 s15, 0
	s_cselect_b64 s[0:1], -1, 0
	s_cmp_lg_u32 s20, 1
	s_cselect_b64 s[2:3], -1, 0
	s_or_b64 s[0:1], s[0:1], s[2:3]
	s_andn2_b64 vcc, exec, s[0:1]
	s_mov_b32 s7, 0
	s_cbranch_vccnz .LBB234_44
; %bb.9:
	s_load_dwordx4 s[0:3], s[4:5], 0x20
	s_load_dwordx2 s[8:9], s[4:5], 0x30
	s_waitcnt lgkmcnt(0)
	s_cmp_eq_u64 s[0:1], 0
	s_cbranch_scc1 .LBB234_11
; %bb.10:
	s_lshl_b64 s[6:7], s[6:7], 3
	s_add_u32 s0, s0, s6
	s_addc_u32 s1, s1, s7
	s_load_dwordx2 s[0:1], s[0:1], 0x0
	s_waitcnt lgkmcnt(0)
	s_sub_u32 s6, s0, s14
	s_subb_u32 s7, s1, 0
.LBB234_11:
	s_load_dword s10, s[4:5], 0x8
	s_load_dwordx2 s[12:13], s[4:5], 0x58
	v_mul_u32_u24_e32 v1, 0x97c, v0
	v_mov_b32_e32 v2, 27
	v_mul_lo_u16_sdwa v2, v1, v2 dst_sel:DWORD dst_unused:UNUSED_PAD src0_sel:WORD_1 src1_sel:DWORD
	s_waitcnt lgkmcnt(0)
	s_cmp_eq_u32 s10, 1
	s_cselect_b64 s[0:1], -1, 0
	s_cmp_lg_u32 s10, 1
	s_cselect_b64 s[16:17], -1, 0
	s_lshl_b64 s[10:11], s[6:7], 3
	s_add_u32 s22, s2, s10
	s_addc_u32 s23, s3, s11
	s_add_u32 s2, s22, 8
	s_addc_u32 s3, s23, 0
	;; [unrolled: 2-line block ×3, first 2 shown]
	s_cmp_eq_u64 s[8:9], 0
	s_cselect_b32 s9, s3, s11
	s_cselect_b32 s8, s2, s10
	s_load_dwordx2 s[2:3], s[8:9], 0x0
	s_load_dwordx2 s[18:19], s[22:23], 0x0
	v_sub_u16_e32 v10, v0, v2
	v_mov_b32_e32 v9, 0
	s_waitcnt lgkmcnt(0)
	v_mov_b32_e32 v2, s2
	v_mov_b32_e32 v3, s3
	v_cmp_ge_i64_e32 vcc, s[18:19], v[2:3]
	s_cbranch_vccnz .LBB234_16
; %bb.12:
	s_load_dwordx4 s[8:11], s[4:5], 0x38
	s_load_dwordx2 s[22:23], s[4:5], 0x48
	s_mov_b32 s4, 0xffff
	s_sub_u32 s2, s2, s14
	s_movk_i32 s5, 0x2d9
	v_and_b32_sdwa v1, s4, v1 dst_sel:DWORD dst_unused:UNUSED_PAD src0_sel:DWORD src1_sel:WORD_1
	s_subb_u32 s3, s3, 0
	v_subrev_u32_e32 v2, 27, v1
	v_cmp_gt_u32_e32 vcc, s5, v0
	s_sub_u32 s4, s18, s14
	v_cndmask_b32_e32 v1, v2, v1, vcc
	s_subb_u32 s5, s19, 0
	v_cndmask_b32_e64 v1, v10, v1, s[0:1]
	s_mul_i32 s0, s5, 0x2d9
	s_mul_hi_u32 s1, s4, 0x2d9
	s_add_i32 s1, s1, s0
	s_mul_i32 s0, s4, 0x2d9
	s_waitcnt lgkmcnt(0)
	v_mov_b32_e32 v2, s23
	v_add_co_u32_e32 v1, vcc, s22, v1
	s_add_u32 s0, s10, s0
	v_addc_co_u32_e32 v2, vcc, 0, v2, vcc
	s_addc_u32 s1, s11, s1
	v_mov_b32_e32 v4, s1
	v_add_co_u32_e32 v3, vcc, s0, v0
	v_addc_co_u32_e32 v4, vcc, 0, v4, vcc
	s_movk_i32 s0, 0x2d8
	v_cmp_lt_u32_e32 vcc, s0, v0
	v_cndmask_b32_e64 v11, 0, 1, vcc
	v_mov_b32_e32 v5, s19
	v_add_co_u32_e32 v6, vcc, s18, v11
	v_addc_co_u32_e32 v7, vcc, 0, v5, vcc
	v_subrev_co_u32_e32 v5, vcc, s14, v6
	v_subbrev_co_u32_e32 v6, vcc, 0, v7, vcc
	v_lshlrev_b64 v[5:6], 3, v[5:6]
	v_mov_b32_e32 v7, s9
	v_add_co_u32_e32 v5, vcc, s8, v5
	v_addc_co_u32_e32 v6, vcc, v7, v6, vcc
	v_mov_b32_e32 v8, s3
	v_mov_b32_e32 v9, 0
	;; [unrolled: 1-line block ×3, first 2 shown]
	s_branch .LBB234_14
.LBB234_13:                             ;   in Loop: Header=BB234_14 Depth=1
	s_or_b64 exec, exec, s[0:1]
	s_add_u32 s4, s4, 1
	s_addc_u32 s5, s5, 0
	v_cmp_lt_i64_e32 vcc, s[4:5], v[7:8]
	v_add_co_u32_e64 v5, s[0:1], 8, v5
	v_addc_co_u32_e64 v6, s[0:1], 0, v6, s[0:1]
	s_cbranch_vccz .LBB234_16
.LBB234_14:                             ; =>This Inner Loop Header: Depth=1
	v_mov_b32_e32 v13, s5
	v_add_co_u32_e32 v12, vcc, s4, v11
	v_addc_co_u32_e32 v13, vcc, 0, v13, vcc
	v_cmp_gt_i64_e32 vcc, s[2:3], v[12:13]
	s_and_saveexec_b64 s[0:1], vcc
	s_cbranch_execz .LBB234_13
; %bb.15:                               ;   in Loop: Header=BB234_14 Depth=1
	global_load_dwordx2 v[12:13], v[5:6], off
	s_waitcnt vmcnt(0)
	v_subrev_co_u32_e32 v12, vcc, s14, v12
	v_subbrev_co_u32_e32 v14, vcc, 0, v13, vcc
	v_mad_u64_u32 v[12:13], s[8:9], v12, 27, v[1:2]
	v_mad_u64_u32 v[13:14], s[8:9], v14, 27, v[13:14]
	global_load_sbyte v14, v[3:4], off
	s_nop 0
	global_load_sbyte v12, v[12:13], off
	v_add_co_u32_e32 v3, vcc, 0x2d9, v3
	v_addc_co_u32_e32 v4, vcc, 0, v4, vcc
	s_waitcnt vmcnt(0)
	v_mad_i32_i24 v9, v12, v14, v9
	s_branch .LBB234_13
.LBB234_16:
	v_lshlrev_b32_e32 v1, 2, v0
	s_and_b64 vcc, exec, s[16:17]
	ds_write_b32 v1, v9
	s_waitcnt lgkmcnt(0)
	s_barrier
	s_cbranch_vccz .LBB234_28
; %bb.17:
	v_cmp_gt_u16_e32 vcc, 11, v10
	s_and_saveexec_b64 s[0:1], vcc
	s_cbranch_execz .LBB234_19
; %bb.18:
	ds_read2_b32 v[2:3], v1 offset1:16
	s_waitcnt lgkmcnt(0)
	v_add_u32_e32 v2, v2, v3
	ds_write_b32 v1, v2
.LBB234_19:
	s_or_b64 exec, exec, s[0:1]
	v_cmp_gt_u16_e32 vcc, 8, v10
	s_waitcnt lgkmcnt(0)
	s_barrier
	s_and_saveexec_b64 s[0:1], vcc
	s_cbranch_execz .LBB234_21
; %bb.20:
	ds_read2_b32 v[2:3], v1 offset1:8
	s_waitcnt lgkmcnt(0)
	v_add_u32_e32 v2, v2, v3
	ds_write_b32 v1, v2
.LBB234_21:
	s_or_b64 exec, exec, s[0:1]
	v_cmp_gt_u16_e32 vcc, 4, v10
	s_waitcnt lgkmcnt(0)
	s_barrier
	;; [unrolled: 12-line block ×3, first 2 shown]
	s_and_saveexec_b64 s[0:1], vcc
	s_cbranch_execz .LBB234_25
; %bb.24:
	ds_read2_b32 v[2:3], v1 offset1:2
	s_waitcnt lgkmcnt(0)
	v_add_u32_e32 v2, v2, v3
	ds_write_b32 v1, v2
.LBB234_25:
	s_or_b64 exec, exec, s[0:1]
	v_cmp_gt_u32_e32 vcc, 27, v0
	v_mov_b32_e32 v2, v9
	s_waitcnt lgkmcnt(0)
	s_barrier
	s_and_saveexec_b64 s[0:1], vcc
	s_cbranch_execz .LBB234_27
; %bb.26:
	s_movk_i32 s2, 0x68
	v_mad_u32_u24 v2, v0, s2, v1
	ds_read2_b32 v[2:3], v2 offset1:1
	s_waitcnt lgkmcnt(0)
	v_add_u32_e32 v2, v3, v2
.LBB234_27:
	s_or_b64 exec, exec, s[0:1]
	s_branch .LBB234_40
.LBB234_28:
                                        ; implicit-def: $vgpr2
	s_cbranch_execz .LBB234_40
; %bb.29:
	s_movk_i32 s0, 0x129
	v_cmp_gt_u32_e32 vcc, s0, v0
	s_and_saveexec_b64 s[0:1], vcc
	s_cbranch_execz .LBB234_31
; %bb.30:
	ds_read_b32 v2, v1 offset:1728
	ds_read_b32 v3, v1
	s_waitcnt lgkmcnt(0)
	v_add_u32_e32 v2, v3, v2
	ds_write_b32 v1, v2
.LBB234_31:
	s_or_b64 exec, exec, s[0:1]
	s_movk_i32 s0, 0xd8
	v_cmp_gt_u32_e32 vcc, s0, v0
	s_waitcnt lgkmcnt(0)
	s_barrier
	s_and_saveexec_b64 s[0:1], vcc
	s_cbranch_execz .LBB234_33
; %bb.32:
	ds_read2_b32 v[2:3], v1 offset1:216
	s_waitcnt lgkmcnt(0)
	v_add_u32_e32 v2, v2, v3
	ds_write_b32 v1, v2
.LBB234_33:
	s_or_b64 exec, exec, s[0:1]
	s_movk_i32 s0, 0x6c
	v_cmp_gt_u32_e32 vcc, s0, v0
	s_waitcnt lgkmcnt(0)
	s_barrier
	s_and_saveexec_b64 s[0:1], vcc
	s_cbranch_execz .LBB234_35
; %bb.34:
	ds_read2_b32 v[2:3], v1 offset1:108
	s_waitcnt lgkmcnt(0)
	v_add_u32_e32 v2, v2, v3
	ds_write_b32 v1, v2
.LBB234_35:
	s_or_b64 exec, exec, s[0:1]
	v_cmp_gt_u32_e32 vcc, 54, v0
	s_waitcnt lgkmcnt(0)
	s_barrier
	s_and_saveexec_b64 s[0:1], vcc
	s_cbranch_execz .LBB234_37
; %bb.36:
	ds_read2_b32 v[2:3], v1 offset1:54
	s_waitcnt lgkmcnt(0)
	v_add_u32_e32 v2, v2, v3
	ds_write_b32 v1, v2
.LBB234_37:
	s_or_b64 exec, exec, s[0:1]
	v_cmp_gt_u32_e32 vcc, 27, v0
	s_waitcnt lgkmcnt(0)
	s_and_saveexec_b64 s[0:1], vcc
	s_cbranch_execz .LBB234_39
; %bb.38:
	ds_read2_b32 v[2:3], v1 offset1:27
	s_waitcnt lgkmcnt(0)
	v_add_u32_e32 v9, v3, v2
.LBB234_39:
	s_or_b64 exec, exec, s[0:1]
	v_mov_b32_e32 v2, v9
.LBB234_40:
	v_cmp_gt_u32_e32 vcc, 27, v0
	s_and_saveexec_b64 s[0:1], vcc
	s_cbranch_execz .LBB234_44
; %bb.41:
	v_mul_lo_u32 v0, v2, s15
	s_cmp_eq_u32 s20, 0
	s_mul_i32 s2, s7, 0x6c
	s_mul_hi_u32 s3, s6, 0x6c
	s_mul_i32 s4, s6, 0x6c
	s_cbranch_scc1 .LBB234_45
; %bb.42:
	s_add_i32 s1, s3, s2
	s_add_u32 s0, s12, s4
	s_addc_u32 s1, s13, s1
	global_load_dword v2, v1, s[0:1]
	s_waitcnt vmcnt(0)
	v_mad_u64_u32 v[2:3], s[6:7], v2, s20, v[0:1]
	global_store_dword v1, v2, s[0:1]
	s_cbranch_execnz .LBB234_44
.LBB234_43:
	s_add_i32 s3, s3, s2
	s_add_u32 s0, s12, s4
	s_addc_u32 s1, s13, s3
	global_store_dword v1, v0, s[0:1]
.LBB234_44:
	s_endpgm
.LBB234_45:
	s_branch .LBB234_43
	.section	.rodata,"a",@progbits
	.p2align	6, 0x0
	.amdhsa_kernel _ZN9rocsparseL20bsrxmvn_17_32_kernelILj27EillaaiEEvT2_20rocsparse_direction_NS_24const_host_device_scalarIT0_EES1_PKS1_PKT1_SA_S7_PKT3_PKT4_S5_PT5_21rocsparse_index_base_b
		.amdhsa_group_segment_fixed_size 2916
		.amdhsa_private_segment_fixed_size 0
		.amdhsa_kernarg_size 104
		.amdhsa_user_sgpr_count 6
		.amdhsa_user_sgpr_private_segment_buffer 1
		.amdhsa_user_sgpr_dispatch_ptr 0
		.amdhsa_user_sgpr_queue_ptr 0
		.amdhsa_user_sgpr_kernarg_segment_ptr 1
		.amdhsa_user_sgpr_dispatch_id 0
		.amdhsa_user_sgpr_flat_scratch_init 0
		.amdhsa_user_sgpr_private_segment_size 0
		.amdhsa_uses_dynamic_stack 0
		.amdhsa_system_sgpr_private_segment_wavefront_offset 0
		.amdhsa_system_sgpr_workgroup_id_x 1
		.amdhsa_system_sgpr_workgroup_id_y 0
		.amdhsa_system_sgpr_workgroup_id_z 0
		.amdhsa_system_sgpr_workgroup_info 0
		.amdhsa_system_vgpr_workitem_id 0
		.amdhsa_next_free_vgpr 25
		.amdhsa_next_free_sgpr 61
		.amdhsa_reserve_vcc 1
		.amdhsa_reserve_flat_scratch 0
		.amdhsa_float_round_mode_32 0
		.amdhsa_float_round_mode_16_64 0
		.amdhsa_float_denorm_mode_32 3
		.amdhsa_float_denorm_mode_16_64 3
		.amdhsa_dx10_clamp 1
		.amdhsa_ieee_mode 1
		.amdhsa_fp16_overflow 0
		.amdhsa_exception_fp_ieee_invalid_op 0
		.amdhsa_exception_fp_denorm_src 0
		.amdhsa_exception_fp_ieee_div_zero 0
		.amdhsa_exception_fp_ieee_overflow 0
		.amdhsa_exception_fp_ieee_underflow 0
		.amdhsa_exception_fp_ieee_inexact 0
		.amdhsa_exception_int_div_zero 0
	.end_amdhsa_kernel
	.section	.text._ZN9rocsparseL20bsrxmvn_17_32_kernelILj27EillaaiEEvT2_20rocsparse_direction_NS_24const_host_device_scalarIT0_EES1_PKS1_PKT1_SA_S7_PKT3_PKT4_S5_PT5_21rocsparse_index_base_b,"axG",@progbits,_ZN9rocsparseL20bsrxmvn_17_32_kernelILj27EillaaiEEvT2_20rocsparse_direction_NS_24const_host_device_scalarIT0_EES1_PKS1_PKT1_SA_S7_PKT3_PKT4_S5_PT5_21rocsparse_index_base_b,comdat
.Lfunc_end234:
	.size	_ZN9rocsparseL20bsrxmvn_17_32_kernelILj27EillaaiEEvT2_20rocsparse_direction_NS_24const_host_device_scalarIT0_EES1_PKS1_PKT1_SA_S7_PKT3_PKT4_S5_PT5_21rocsparse_index_base_b, .Lfunc_end234-_ZN9rocsparseL20bsrxmvn_17_32_kernelILj27EillaaiEEvT2_20rocsparse_direction_NS_24const_host_device_scalarIT0_EES1_PKS1_PKT1_SA_S7_PKT3_PKT4_S5_PT5_21rocsparse_index_base_b
                                        ; -- End function
	.set _ZN9rocsparseL20bsrxmvn_17_32_kernelILj27EillaaiEEvT2_20rocsparse_direction_NS_24const_host_device_scalarIT0_EES1_PKS1_PKT1_SA_S7_PKT3_PKT4_S5_PT5_21rocsparse_index_base_b.num_vgpr, 15
	.set _ZN9rocsparseL20bsrxmvn_17_32_kernelILj27EillaaiEEvT2_20rocsparse_direction_NS_24const_host_device_scalarIT0_EES1_PKS1_PKT1_SA_S7_PKT3_PKT4_S5_PT5_21rocsparse_index_base_b.num_agpr, 0
	.set _ZN9rocsparseL20bsrxmvn_17_32_kernelILj27EillaaiEEvT2_20rocsparse_direction_NS_24const_host_device_scalarIT0_EES1_PKS1_PKT1_SA_S7_PKT3_PKT4_S5_PT5_21rocsparse_index_base_b.numbered_sgpr, 24
	.set _ZN9rocsparseL20bsrxmvn_17_32_kernelILj27EillaaiEEvT2_20rocsparse_direction_NS_24const_host_device_scalarIT0_EES1_PKS1_PKT1_SA_S7_PKT3_PKT4_S5_PT5_21rocsparse_index_base_b.num_named_barrier, 0
	.set _ZN9rocsparseL20bsrxmvn_17_32_kernelILj27EillaaiEEvT2_20rocsparse_direction_NS_24const_host_device_scalarIT0_EES1_PKS1_PKT1_SA_S7_PKT3_PKT4_S5_PT5_21rocsparse_index_base_b.private_seg_size, 0
	.set _ZN9rocsparseL20bsrxmvn_17_32_kernelILj27EillaaiEEvT2_20rocsparse_direction_NS_24const_host_device_scalarIT0_EES1_PKS1_PKT1_SA_S7_PKT3_PKT4_S5_PT5_21rocsparse_index_base_b.uses_vcc, 1
	.set _ZN9rocsparseL20bsrxmvn_17_32_kernelILj27EillaaiEEvT2_20rocsparse_direction_NS_24const_host_device_scalarIT0_EES1_PKS1_PKT1_SA_S7_PKT3_PKT4_S5_PT5_21rocsparse_index_base_b.uses_flat_scratch, 0
	.set _ZN9rocsparseL20bsrxmvn_17_32_kernelILj27EillaaiEEvT2_20rocsparse_direction_NS_24const_host_device_scalarIT0_EES1_PKS1_PKT1_SA_S7_PKT3_PKT4_S5_PT5_21rocsparse_index_base_b.has_dyn_sized_stack, 0
	.set _ZN9rocsparseL20bsrxmvn_17_32_kernelILj27EillaaiEEvT2_20rocsparse_direction_NS_24const_host_device_scalarIT0_EES1_PKS1_PKT1_SA_S7_PKT3_PKT4_S5_PT5_21rocsparse_index_base_b.has_recursion, 0
	.set _ZN9rocsparseL20bsrxmvn_17_32_kernelILj27EillaaiEEvT2_20rocsparse_direction_NS_24const_host_device_scalarIT0_EES1_PKS1_PKT1_SA_S7_PKT3_PKT4_S5_PT5_21rocsparse_index_base_b.has_indirect_call, 0
	.section	.AMDGPU.csdata,"",@progbits
; Kernel info:
; codeLenInByte = 1364
; TotalNumSgprs: 28
; NumVgprs: 15
; ScratchSize: 0
; MemoryBound: 0
; FloatMode: 240
; IeeeMode: 1
; LDSByteSize: 2916 bytes/workgroup (compile time only)
; SGPRBlocks: 8
; VGPRBlocks: 6
; NumSGPRsForWavesPerEU: 65
; NumVGPRsForWavesPerEU: 25
; Occupancy: 9
; WaveLimiterHint : 1
; COMPUTE_PGM_RSRC2:SCRATCH_EN: 0
; COMPUTE_PGM_RSRC2:USER_SGPR: 6
; COMPUTE_PGM_RSRC2:TRAP_HANDLER: 0
; COMPUTE_PGM_RSRC2:TGID_X_EN: 1
; COMPUTE_PGM_RSRC2:TGID_Y_EN: 0
; COMPUTE_PGM_RSRC2:TGID_Z_EN: 0
; COMPUTE_PGM_RSRC2:TIDIG_COMP_CNT: 0
	.section	.text._ZN9rocsparseL20bsrxmvn_17_32_kernelILj28EillaaiEEvT2_20rocsparse_direction_NS_24const_host_device_scalarIT0_EES1_PKS1_PKT1_SA_S7_PKT3_PKT4_S5_PT5_21rocsparse_index_base_b,"axG",@progbits,_ZN9rocsparseL20bsrxmvn_17_32_kernelILj28EillaaiEEvT2_20rocsparse_direction_NS_24const_host_device_scalarIT0_EES1_PKS1_PKT1_SA_S7_PKT3_PKT4_S5_PT5_21rocsparse_index_base_b,comdat
	.globl	_ZN9rocsparseL20bsrxmvn_17_32_kernelILj28EillaaiEEvT2_20rocsparse_direction_NS_24const_host_device_scalarIT0_EES1_PKS1_PKT1_SA_S7_PKT3_PKT4_S5_PT5_21rocsparse_index_base_b ; -- Begin function _ZN9rocsparseL20bsrxmvn_17_32_kernelILj28EillaaiEEvT2_20rocsparse_direction_NS_24const_host_device_scalarIT0_EES1_PKS1_PKT1_SA_S7_PKT3_PKT4_S5_PT5_21rocsparse_index_base_b
	.p2align	8
	.type	_ZN9rocsparseL20bsrxmvn_17_32_kernelILj28EillaaiEEvT2_20rocsparse_direction_NS_24const_host_device_scalarIT0_EES1_PKS1_PKT1_SA_S7_PKT3_PKT4_S5_PT5_21rocsparse_index_base_b,@function
_ZN9rocsparseL20bsrxmvn_17_32_kernelILj28EillaaiEEvT2_20rocsparse_direction_NS_24const_host_device_scalarIT0_EES1_PKS1_PKT1_SA_S7_PKT3_PKT4_S5_PT5_21rocsparse_index_base_b: ; @_ZN9rocsparseL20bsrxmvn_17_32_kernelILj28EillaaiEEvT2_20rocsparse_direction_NS_24const_host_device_scalarIT0_EES1_PKS1_PKT1_SA_S7_PKT3_PKT4_S5_PT5_21rocsparse_index_base_b
; %bb.0:
	s_load_dwordx2 s[14:15], s[4:5], 0x60
	s_load_dwordx2 s[8:9], s[4:5], 0x10
	s_mov_b64 s[10:11], -1
	s_waitcnt lgkmcnt(0)
	s_bitcmp1_b32 s15, 0
	s_cselect_b64 s[0:1], -1, 0
	s_xor_b64 s[2:3], s[0:1], -1
	s_and_b64 vcc, exec, s[2:3]
                                        ; implicit-def: $sgpr15
	s_cbranch_vccnz .LBB235_4
; %bb.1:
	s_load_dwordx2 s[0:1], s[4:5], 0x50
	s_andn2_b64 vcc, exec, s[10:11]
	s_cbranch_vccz .LBB235_5
.LBB235_2:
	s_and_b64 vcc, exec, s[2:3]
	s_cbranch_vccz .LBB235_6
.LBB235_3:
	s_waitcnt lgkmcnt(0)
	s_load_dword s20, s[0:1], 0x0
	s_cbranch_execz .LBB235_7
	s_branch .LBB235_8
.LBB235_4:
	s_load_dword s15, s[8:9], 0x0
	s_load_dwordx2 s[0:1], s[4:5], 0x50
	s_cbranch_execnz .LBB235_2
.LBB235_5:
	s_waitcnt lgkmcnt(0)
	s_mov_b32 s15, s8
	s_and_b64 vcc, exec, s[2:3]
	s_cbranch_vccnz .LBB235_3
.LBB235_6:
                                        ; implicit-def: $sgpr20
.LBB235_7:
	s_waitcnt lgkmcnt(0)
	s_mov_b32 s20, s0
.LBB235_8:
	s_waitcnt lgkmcnt(0)
	s_cmp_lg_u32 s15, 0
	s_cselect_b64 s[0:1], -1, 0
	s_cmp_lg_u32 s20, 1
	s_cselect_b64 s[2:3], -1, 0
	s_or_b64 s[0:1], s[0:1], s[2:3]
	s_andn2_b64 vcc, exec, s[0:1]
	s_mov_b32 s7, 0
	s_cbranch_vccnz .LBB235_44
; %bb.9:
	s_load_dwordx4 s[0:3], s[4:5], 0x20
	s_load_dwordx2 s[8:9], s[4:5], 0x30
	s_waitcnt lgkmcnt(0)
	s_cmp_eq_u64 s[0:1], 0
	s_cbranch_scc1 .LBB235_11
; %bb.10:
	s_lshl_b64 s[6:7], s[6:7], 3
	s_add_u32 s0, s0, s6
	s_addc_u32 s1, s1, s7
	s_load_dwordx2 s[0:1], s[0:1], 0x0
	s_waitcnt lgkmcnt(0)
	s_sub_u32 s6, s0, s14
	s_subb_u32 s7, s1, 0
.LBB235_11:
	s_load_dword s10, s[4:5], 0x8
	s_load_dwordx2 s[12:13], s[4:5], 0x58
	v_mul_u32_u24_e32 v1, 0x925, v0
	v_mov_b32_e32 v2, 28
	v_mul_lo_u16_sdwa v2, v1, v2 dst_sel:DWORD dst_unused:UNUSED_PAD src0_sel:WORD_1 src1_sel:DWORD
	s_waitcnt lgkmcnt(0)
	s_cmp_eq_u32 s10, 1
	s_cselect_b64 s[0:1], -1, 0
	s_cmp_lg_u32 s10, 1
	s_cselect_b64 s[16:17], -1, 0
	s_lshl_b64 s[10:11], s[6:7], 3
	s_add_u32 s22, s2, s10
	s_addc_u32 s23, s3, s11
	s_add_u32 s2, s22, 8
	s_addc_u32 s3, s23, 0
	;; [unrolled: 2-line block ×3, first 2 shown]
	s_cmp_eq_u64 s[8:9], 0
	s_cselect_b32 s9, s3, s11
	s_cselect_b32 s8, s2, s10
	s_load_dwordx2 s[2:3], s[8:9], 0x0
	s_load_dwordx2 s[18:19], s[22:23], 0x0
	v_sub_u16_e32 v10, v0, v2
	v_mov_b32_e32 v9, 0
	s_waitcnt lgkmcnt(0)
	v_mov_b32_e32 v2, s2
	v_mov_b32_e32 v3, s3
	v_cmp_ge_i64_e32 vcc, s[18:19], v[2:3]
	s_cbranch_vccnz .LBB235_16
; %bb.12:
	s_load_dwordx4 s[8:11], s[4:5], 0x38
	s_load_dwordx2 s[22:23], s[4:5], 0x48
	s_mov_b32 s4, 0xffff
	s_sub_u32 s2, s2, s14
	s_movk_i32 s5, 0x310
	v_and_b32_sdwa v1, s4, v1 dst_sel:DWORD dst_unused:UNUSED_PAD src0_sel:DWORD src1_sel:WORD_1
	s_subb_u32 s3, s3, 0
	v_subrev_u32_e32 v2, 28, v1
	v_cmp_gt_u32_e32 vcc, s5, v0
	s_sub_u32 s4, s18, s14
	v_cndmask_b32_e32 v1, v2, v1, vcc
	s_subb_u32 s5, s19, 0
	v_cndmask_b32_e64 v1, v10, v1, s[0:1]
	s_mul_i32 s0, s5, 0x310
	s_mul_hi_u32 s1, s4, 0x310
	s_add_i32 s1, s1, s0
	s_mul_i32 s0, s4, 0x310
	s_waitcnt lgkmcnt(0)
	v_mov_b32_e32 v2, s23
	v_add_co_u32_e32 v1, vcc, s22, v1
	s_add_u32 s0, s10, s0
	v_addc_co_u32_e32 v2, vcc, 0, v2, vcc
	s_addc_u32 s1, s11, s1
	v_mov_b32_e32 v4, s1
	v_add_co_u32_e32 v3, vcc, s0, v0
	v_addc_co_u32_e32 v4, vcc, 0, v4, vcc
	s_movk_i32 s0, 0x30f
	v_cmp_lt_u32_e32 vcc, s0, v0
	v_cndmask_b32_e64 v11, 0, 1, vcc
	v_mov_b32_e32 v5, s19
	v_add_co_u32_e32 v6, vcc, s18, v11
	v_addc_co_u32_e32 v7, vcc, 0, v5, vcc
	v_subrev_co_u32_e32 v5, vcc, s14, v6
	v_subbrev_co_u32_e32 v6, vcc, 0, v7, vcc
	v_lshlrev_b64 v[5:6], 3, v[5:6]
	v_mov_b32_e32 v7, s9
	v_add_co_u32_e32 v5, vcc, s8, v5
	v_addc_co_u32_e32 v6, vcc, v7, v6, vcc
	v_mov_b32_e32 v8, s3
	v_mov_b32_e32 v9, 0
	;; [unrolled: 1-line block ×3, first 2 shown]
	s_branch .LBB235_14
.LBB235_13:                             ;   in Loop: Header=BB235_14 Depth=1
	s_or_b64 exec, exec, s[0:1]
	s_add_u32 s4, s4, 1
	s_addc_u32 s5, s5, 0
	v_cmp_lt_i64_e32 vcc, s[4:5], v[7:8]
	v_add_co_u32_e64 v5, s[0:1], 8, v5
	v_addc_co_u32_e64 v6, s[0:1], 0, v6, s[0:1]
	s_cbranch_vccz .LBB235_16
.LBB235_14:                             ; =>This Inner Loop Header: Depth=1
	v_mov_b32_e32 v13, s5
	v_add_co_u32_e32 v12, vcc, s4, v11
	v_addc_co_u32_e32 v13, vcc, 0, v13, vcc
	v_cmp_gt_i64_e32 vcc, s[2:3], v[12:13]
	s_and_saveexec_b64 s[0:1], vcc
	s_cbranch_execz .LBB235_13
; %bb.15:                               ;   in Loop: Header=BB235_14 Depth=1
	global_load_dwordx2 v[12:13], v[5:6], off
	s_waitcnt vmcnt(0)
	v_subrev_co_u32_e32 v12, vcc, s14, v12
	v_subbrev_co_u32_e32 v14, vcc, 0, v13, vcc
	v_mad_u64_u32 v[12:13], s[8:9], v12, 28, v[1:2]
	v_mad_u64_u32 v[13:14], s[8:9], v14, 28, v[13:14]
	global_load_sbyte v14, v[3:4], off
	s_nop 0
	global_load_sbyte v12, v[12:13], off
	v_add_co_u32_e32 v3, vcc, 0x310, v3
	v_addc_co_u32_e32 v4, vcc, 0, v4, vcc
	s_waitcnt vmcnt(0)
	v_mad_i32_i24 v9, v12, v14, v9
	s_branch .LBB235_13
.LBB235_16:
	v_lshlrev_b32_e32 v1, 2, v0
	s_and_b64 vcc, exec, s[16:17]
	ds_write_b32 v1, v9
	s_waitcnt lgkmcnt(0)
	s_barrier
	s_cbranch_vccz .LBB235_28
; %bb.17:
	v_cmp_gt_u16_e32 vcc, 12, v10
	s_and_saveexec_b64 s[0:1], vcc
	s_cbranch_execz .LBB235_19
; %bb.18:
	ds_read2_b32 v[2:3], v1 offset1:16
	s_waitcnt lgkmcnt(0)
	v_add_u32_e32 v2, v2, v3
	ds_write_b32 v1, v2
.LBB235_19:
	s_or_b64 exec, exec, s[0:1]
	v_cmp_gt_u16_e32 vcc, 8, v10
	s_waitcnt lgkmcnt(0)
	s_barrier
	s_and_saveexec_b64 s[0:1], vcc
	s_cbranch_execz .LBB235_21
; %bb.20:
	ds_read2_b32 v[2:3], v1 offset1:8
	s_waitcnt lgkmcnt(0)
	v_add_u32_e32 v2, v2, v3
	ds_write_b32 v1, v2
.LBB235_21:
	s_or_b64 exec, exec, s[0:1]
	v_cmp_gt_u16_e32 vcc, 4, v10
	s_waitcnt lgkmcnt(0)
	s_barrier
	;; [unrolled: 12-line block ×3, first 2 shown]
	s_and_saveexec_b64 s[0:1], vcc
	s_cbranch_execz .LBB235_25
; %bb.24:
	ds_read2_b32 v[2:3], v1 offset1:2
	s_waitcnt lgkmcnt(0)
	v_add_u32_e32 v2, v2, v3
	ds_write_b32 v1, v2
.LBB235_25:
	s_or_b64 exec, exec, s[0:1]
	v_cmp_gt_u32_e32 vcc, 28, v0
	v_mov_b32_e32 v2, v9
	s_waitcnt lgkmcnt(0)
	s_barrier
	s_and_saveexec_b64 s[0:1], vcc
	s_cbranch_execz .LBB235_27
; %bb.26:
	s_movk_i32 s2, 0x6c
	v_mad_u32_u24 v2, v0, s2, v1
	ds_read_b64 v[2:3], v2
	s_waitcnt lgkmcnt(0)
	v_add_u32_e32 v2, v3, v2
.LBB235_27:
	s_or_b64 exec, exec, s[0:1]
	s_branch .LBB235_40
.LBB235_28:
                                        ; implicit-def: $vgpr2
	s_cbranch_execz .LBB235_40
; %bb.29:
	s_movk_i32 s0, 0x150
	v_cmp_gt_u32_e32 vcc, s0, v0
	s_and_saveexec_b64 s[0:1], vcc
	s_cbranch_execz .LBB235_31
; %bb.30:
	ds_read2st64_b32 v[2:3], v1 offset1:7
	s_waitcnt lgkmcnt(0)
	v_add_u32_e32 v2, v2, v3
	ds_write_b32 v1, v2
.LBB235_31:
	s_or_b64 exec, exec, s[0:1]
	s_movk_i32 s0, 0xe0
	v_cmp_gt_u32_e32 vcc, s0, v0
	s_waitcnt lgkmcnt(0)
	s_barrier
	s_and_saveexec_b64 s[0:1], vcc
	s_cbranch_execz .LBB235_33
; %bb.32:
	ds_read2_b32 v[2:3], v1 offset1:224
	s_waitcnt lgkmcnt(0)
	v_add_u32_e32 v2, v2, v3
	ds_write_b32 v1, v2
.LBB235_33:
	s_or_b64 exec, exec, s[0:1]
	s_movk_i32 s0, 0x70
	v_cmp_gt_u32_e32 vcc, s0, v0
	s_waitcnt lgkmcnt(0)
	s_barrier
	s_and_saveexec_b64 s[0:1], vcc
	s_cbranch_execz .LBB235_35
; %bb.34:
	ds_read2_b32 v[2:3], v1 offset1:112
	s_waitcnt lgkmcnt(0)
	v_add_u32_e32 v2, v2, v3
	ds_write_b32 v1, v2
.LBB235_35:
	s_or_b64 exec, exec, s[0:1]
	v_cmp_gt_u32_e32 vcc, 56, v0
	s_waitcnt lgkmcnt(0)
	s_barrier
	s_and_saveexec_b64 s[0:1], vcc
	s_cbranch_execz .LBB235_37
; %bb.36:
	ds_read2_b32 v[2:3], v1 offset1:56
	s_waitcnt lgkmcnt(0)
	v_add_u32_e32 v2, v2, v3
	ds_write_b32 v1, v2
.LBB235_37:
	s_or_b64 exec, exec, s[0:1]
	v_cmp_gt_u32_e32 vcc, 28, v0
	s_waitcnt lgkmcnt(0)
	s_and_saveexec_b64 s[0:1], vcc
	s_cbranch_execz .LBB235_39
; %bb.38:
	ds_read2_b32 v[2:3], v1 offset1:28
	s_waitcnt lgkmcnt(0)
	v_add_u32_e32 v9, v3, v2
.LBB235_39:
	s_or_b64 exec, exec, s[0:1]
	v_mov_b32_e32 v2, v9
.LBB235_40:
	v_cmp_gt_u32_e32 vcc, 28, v0
	s_and_saveexec_b64 s[0:1], vcc
	s_cbranch_execz .LBB235_44
; %bb.41:
	v_mul_lo_u32 v0, v2, s15
	s_cmp_eq_u32 s20, 0
	s_mul_i32 s2, s7, 0x70
	s_mul_hi_u32 s3, s6, 0x70
	s_mul_i32 s4, s6, 0x70
	s_cbranch_scc1 .LBB235_45
; %bb.42:
	s_add_i32 s1, s3, s2
	s_add_u32 s0, s12, s4
	s_addc_u32 s1, s13, s1
	global_load_dword v2, v1, s[0:1]
	s_waitcnt vmcnt(0)
	v_mad_u64_u32 v[2:3], s[6:7], v2, s20, v[0:1]
	global_store_dword v1, v2, s[0:1]
	s_cbranch_execnz .LBB235_44
.LBB235_43:
	s_add_i32 s3, s3, s2
	s_add_u32 s0, s12, s4
	s_addc_u32 s1, s13, s3
	global_store_dword v1, v0, s[0:1]
.LBB235_44:
	s_endpgm
.LBB235_45:
	s_branch .LBB235_43
	.section	.rodata,"a",@progbits
	.p2align	6, 0x0
	.amdhsa_kernel _ZN9rocsparseL20bsrxmvn_17_32_kernelILj28EillaaiEEvT2_20rocsparse_direction_NS_24const_host_device_scalarIT0_EES1_PKS1_PKT1_SA_S7_PKT3_PKT4_S5_PT5_21rocsparse_index_base_b
		.amdhsa_group_segment_fixed_size 3136
		.amdhsa_private_segment_fixed_size 0
		.amdhsa_kernarg_size 104
		.amdhsa_user_sgpr_count 6
		.amdhsa_user_sgpr_private_segment_buffer 1
		.amdhsa_user_sgpr_dispatch_ptr 0
		.amdhsa_user_sgpr_queue_ptr 0
		.amdhsa_user_sgpr_kernarg_segment_ptr 1
		.amdhsa_user_sgpr_dispatch_id 0
		.amdhsa_user_sgpr_flat_scratch_init 0
		.amdhsa_user_sgpr_private_segment_size 0
		.amdhsa_uses_dynamic_stack 0
		.amdhsa_system_sgpr_private_segment_wavefront_offset 0
		.amdhsa_system_sgpr_workgroup_id_x 1
		.amdhsa_system_sgpr_workgroup_id_y 0
		.amdhsa_system_sgpr_workgroup_id_z 0
		.amdhsa_system_sgpr_workgroup_info 0
		.amdhsa_system_vgpr_workitem_id 0
		.amdhsa_next_free_vgpr 15
		.amdhsa_next_free_sgpr 24
		.amdhsa_reserve_vcc 1
		.amdhsa_reserve_flat_scratch 0
		.amdhsa_float_round_mode_32 0
		.amdhsa_float_round_mode_16_64 0
		.amdhsa_float_denorm_mode_32 3
		.amdhsa_float_denorm_mode_16_64 3
		.amdhsa_dx10_clamp 1
		.amdhsa_ieee_mode 1
		.amdhsa_fp16_overflow 0
		.amdhsa_exception_fp_ieee_invalid_op 0
		.amdhsa_exception_fp_denorm_src 0
		.amdhsa_exception_fp_ieee_div_zero 0
		.amdhsa_exception_fp_ieee_overflow 0
		.amdhsa_exception_fp_ieee_underflow 0
		.amdhsa_exception_fp_ieee_inexact 0
		.amdhsa_exception_int_div_zero 0
	.end_amdhsa_kernel
	.section	.text._ZN9rocsparseL20bsrxmvn_17_32_kernelILj28EillaaiEEvT2_20rocsparse_direction_NS_24const_host_device_scalarIT0_EES1_PKS1_PKT1_SA_S7_PKT3_PKT4_S5_PT5_21rocsparse_index_base_b,"axG",@progbits,_ZN9rocsparseL20bsrxmvn_17_32_kernelILj28EillaaiEEvT2_20rocsparse_direction_NS_24const_host_device_scalarIT0_EES1_PKS1_PKT1_SA_S7_PKT3_PKT4_S5_PT5_21rocsparse_index_base_b,comdat
.Lfunc_end235:
	.size	_ZN9rocsparseL20bsrxmvn_17_32_kernelILj28EillaaiEEvT2_20rocsparse_direction_NS_24const_host_device_scalarIT0_EES1_PKS1_PKT1_SA_S7_PKT3_PKT4_S5_PT5_21rocsparse_index_base_b, .Lfunc_end235-_ZN9rocsparseL20bsrxmvn_17_32_kernelILj28EillaaiEEvT2_20rocsparse_direction_NS_24const_host_device_scalarIT0_EES1_PKS1_PKT1_SA_S7_PKT3_PKT4_S5_PT5_21rocsparse_index_base_b
                                        ; -- End function
	.set _ZN9rocsparseL20bsrxmvn_17_32_kernelILj28EillaaiEEvT2_20rocsparse_direction_NS_24const_host_device_scalarIT0_EES1_PKS1_PKT1_SA_S7_PKT3_PKT4_S5_PT5_21rocsparse_index_base_b.num_vgpr, 15
	.set _ZN9rocsparseL20bsrxmvn_17_32_kernelILj28EillaaiEEvT2_20rocsparse_direction_NS_24const_host_device_scalarIT0_EES1_PKS1_PKT1_SA_S7_PKT3_PKT4_S5_PT5_21rocsparse_index_base_b.num_agpr, 0
	.set _ZN9rocsparseL20bsrxmvn_17_32_kernelILj28EillaaiEEvT2_20rocsparse_direction_NS_24const_host_device_scalarIT0_EES1_PKS1_PKT1_SA_S7_PKT3_PKT4_S5_PT5_21rocsparse_index_base_b.numbered_sgpr, 24
	.set _ZN9rocsparseL20bsrxmvn_17_32_kernelILj28EillaaiEEvT2_20rocsparse_direction_NS_24const_host_device_scalarIT0_EES1_PKS1_PKT1_SA_S7_PKT3_PKT4_S5_PT5_21rocsparse_index_base_b.num_named_barrier, 0
	.set _ZN9rocsparseL20bsrxmvn_17_32_kernelILj28EillaaiEEvT2_20rocsparse_direction_NS_24const_host_device_scalarIT0_EES1_PKS1_PKT1_SA_S7_PKT3_PKT4_S5_PT5_21rocsparse_index_base_b.private_seg_size, 0
	.set _ZN9rocsparseL20bsrxmvn_17_32_kernelILj28EillaaiEEvT2_20rocsparse_direction_NS_24const_host_device_scalarIT0_EES1_PKS1_PKT1_SA_S7_PKT3_PKT4_S5_PT5_21rocsparse_index_base_b.uses_vcc, 1
	.set _ZN9rocsparseL20bsrxmvn_17_32_kernelILj28EillaaiEEvT2_20rocsparse_direction_NS_24const_host_device_scalarIT0_EES1_PKS1_PKT1_SA_S7_PKT3_PKT4_S5_PT5_21rocsparse_index_base_b.uses_flat_scratch, 0
	.set _ZN9rocsparseL20bsrxmvn_17_32_kernelILj28EillaaiEEvT2_20rocsparse_direction_NS_24const_host_device_scalarIT0_EES1_PKS1_PKT1_SA_S7_PKT3_PKT4_S5_PT5_21rocsparse_index_base_b.has_dyn_sized_stack, 0
	.set _ZN9rocsparseL20bsrxmvn_17_32_kernelILj28EillaaiEEvT2_20rocsparse_direction_NS_24const_host_device_scalarIT0_EES1_PKS1_PKT1_SA_S7_PKT3_PKT4_S5_PT5_21rocsparse_index_base_b.has_recursion, 0
	.set _ZN9rocsparseL20bsrxmvn_17_32_kernelILj28EillaaiEEvT2_20rocsparse_direction_NS_24const_host_device_scalarIT0_EES1_PKS1_PKT1_SA_S7_PKT3_PKT4_S5_PT5_21rocsparse_index_base_b.has_indirect_call, 0
	.section	.AMDGPU.csdata,"",@progbits
; Kernel info:
; codeLenInByte = 1356
; TotalNumSgprs: 28
; NumVgprs: 15
; ScratchSize: 0
; MemoryBound: 0
; FloatMode: 240
; IeeeMode: 1
; LDSByteSize: 3136 bytes/workgroup (compile time only)
; SGPRBlocks: 3
; VGPRBlocks: 3
; NumSGPRsForWavesPerEU: 28
; NumVGPRsForWavesPerEU: 15
; Occupancy: 10
; WaveLimiterHint : 1
; COMPUTE_PGM_RSRC2:SCRATCH_EN: 0
; COMPUTE_PGM_RSRC2:USER_SGPR: 6
; COMPUTE_PGM_RSRC2:TRAP_HANDLER: 0
; COMPUTE_PGM_RSRC2:TGID_X_EN: 1
; COMPUTE_PGM_RSRC2:TGID_Y_EN: 0
; COMPUTE_PGM_RSRC2:TGID_Z_EN: 0
; COMPUTE_PGM_RSRC2:TIDIG_COMP_CNT: 0
	.section	.text._ZN9rocsparseL20bsrxmvn_17_32_kernelILj29EillaaiEEvT2_20rocsparse_direction_NS_24const_host_device_scalarIT0_EES1_PKS1_PKT1_SA_S7_PKT3_PKT4_S5_PT5_21rocsparse_index_base_b,"axG",@progbits,_ZN9rocsparseL20bsrxmvn_17_32_kernelILj29EillaaiEEvT2_20rocsparse_direction_NS_24const_host_device_scalarIT0_EES1_PKS1_PKT1_SA_S7_PKT3_PKT4_S5_PT5_21rocsparse_index_base_b,comdat
	.globl	_ZN9rocsparseL20bsrxmvn_17_32_kernelILj29EillaaiEEvT2_20rocsparse_direction_NS_24const_host_device_scalarIT0_EES1_PKS1_PKT1_SA_S7_PKT3_PKT4_S5_PT5_21rocsparse_index_base_b ; -- Begin function _ZN9rocsparseL20bsrxmvn_17_32_kernelILj29EillaaiEEvT2_20rocsparse_direction_NS_24const_host_device_scalarIT0_EES1_PKS1_PKT1_SA_S7_PKT3_PKT4_S5_PT5_21rocsparse_index_base_b
	.p2align	8
	.type	_ZN9rocsparseL20bsrxmvn_17_32_kernelILj29EillaaiEEvT2_20rocsparse_direction_NS_24const_host_device_scalarIT0_EES1_PKS1_PKT1_SA_S7_PKT3_PKT4_S5_PT5_21rocsparse_index_base_b,@function
_ZN9rocsparseL20bsrxmvn_17_32_kernelILj29EillaaiEEvT2_20rocsparse_direction_NS_24const_host_device_scalarIT0_EES1_PKS1_PKT1_SA_S7_PKT3_PKT4_S5_PT5_21rocsparse_index_base_b: ; @_ZN9rocsparseL20bsrxmvn_17_32_kernelILj29EillaaiEEvT2_20rocsparse_direction_NS_24const_host_device_scalarIT0_EES1_PKS1_PKT1_SA_S7_PKT3_PKT4_S5_PT5_21rocsparse_index_base_b
; %bb.0:
	s_load_dwordx2 s[14:15], s[4:5], 0x60
	s_load_dwordx2 s[8:9], s[4:5], 0x10
	s_mov_b64 s[10:11], -1
	s_waitcnt lgkmcnt(0)
	s_bitcmp1_b32 s15, 0
	s_cselect_b64 s[0:1], -1, 0
	s_xor_b64 s[2:3], s[0:1], -1
	s_and_b64 vcc, exec, s[2:3]
                                        ; implicit-def: $sgpr15
	s_cbranch_vccnz .LBB236_4
; %bb.1:
	s_load_dwordx2 s[0:1], s[4:5], 0x50
	s_andn2_b64 vcc, exec, s[10:11]
	s_cbranch_vccz .LBB236_5
.LBB236_2:
	s_and_b64 vcc, exec, s[2:3]
	s_cbranch_vccz .LBB236_6
.LBB236_3:
	s_waitcnt lgkmcnt(0)
	s_load_dword s20, s[0:1], 0x0
	s_cbranch_execz .LBB236_7
	s_branch .LBB236_8
.LBB236_4:
	s_load_dword s15, s[8:9], 0x0
	s_load_dwordx2 s[0:1], s[4:5], 0x50
	s_cbranch_execnz .LBB236_2
.LBB236_5:
	s_waitcnt lgkmcnt(0)
	s_mov_b32 s15, s8
	s_and_b64 vcc, exec, s[2:3]
	s_cbranch_vccnz .LBB236_3
.LBB236_6:
                                        ; implicit-def: $sgpr20
.LBB236_7:
	s_waitcnt lgkmcnt(0)
	s_mov_b32 s20, s0
.LBB236_8:
	s_waitcnt lgkmcnt(0)
	s_cmp_lg_u32 s15, 0
	s_cselect_b64 s[0:1], -1, 0
	s_cmp_lg_u32 s20, 1
	s_cselect_b64 s[2:3], -1, 0
	s_or_b64 s[0:1], s[0:1], s[2:3]
	s_andn2_b64 vcc, exec, s[0:1]
	s_mov_b32 s7, 0
	s_cbranch_vccnz .LBB236_44
; %bb.9:
	s_load_dwordx4 s[0:3], s[4:5], 0x20
	s_load_dwordx2 s[8:9], s[4:5], 0x30
	s_waitcnt lgkmcnt(0)
	s_cmp_eq_u64 s[0:1], 0
	s_cbranch_scc1 .LBB236_11
; %bb.10:
	s_lshl_b64 s[6:7], s[6:7], 3
	s_add_u32 s0, s0, s6
	s_addc_u32 s1, s1, s7
	s_load_dwordx2 s[0:1], s[0:1], 0x0
	s_waitcnt lgkmcnt(0)
	s_sub_u32 s6, s0, s14
	s_subb_u32 s7, s1, 0
.LBB236_11:
	s_load_dword s10, s[4:5], 0x8
	s_load_dwordx2 s[12:13], s[4:5], 0x58
	v_mul_u32_u24_e32 v1, 0x8d4, v0
	v_mov_b32_e32 v2, 29
	v_mul_lo_u16_sdwa v2, v1, v2 dst_sel:DWORD dst_unused:UNUSED_PAD src0_sel:WORD_1 src1_sel:DWORD
	s_waitcnt lgkmcnt(0)
	s_cmp_eq_u32 s10, 1
	s_cselect_b64 s[0:1], -1, 0
	s_cmp_lg_u32 s10, 1
	s_cselect_b64 s[16:17], -1, 0
	s_lshl_b64 s[10:11], s[6:7], 3
	s_add_u32 s22, s2, s10
	s_addc_u32 s23, s3, s11
	s_add_u32 s2, s22, 8
	s_addc_u32 s3, s23, 0
	s_add_u32 s10, s8, s10
	s_addc_u32 s11, s9, s11
	s_cmp_eq_u64 s[8:9], 0
	s_cselect_b32 s9, s3, s11
	s_cselect_b32 s8, s2, s10
	s_load_dwordx2 s[2:3], s[8:9], 0x0
	s_load_dwordx2 s[18:19], s[22:23], 0x0
	v_sub_u16_e32 v10, v0, v2
	v_mov_b32_e32 v9, 0
	s_waitcnt lgkmcnt(0)
	v_mov_b32_e32 v2, s2
	v_mov_b32_e32 v3, s3
	v_cmp_ge_i64_e32 vcc, s[18:19], v[2:3]
	s_cbranch_vccnz .LBB236_16
; %bb.12:
	s_load_dwordx4 s[8:11], s[4:5], 0x38
	s_load_dwordx2 s[22:23], s[4:5], 0x48
	s_mov_b32 s4, 0xffff
	s_sub_u32 s2, s2, s14
	s_movk_i32 s5, 0x349
	v_and_b32_sdwa v1, s4, v1 dst_sel:DWORD dst_unused:UNUSED_PAD src0_sel:DWORD src1_sel:WORD_1
	s_subb_u32 s3, s3, 0
	v_subrev_u32_e32 v2, 29, v1
	v_cmp_gt_u32_e32 vcc, s5, v0
	s_sub_u32 s4, s18, s14
	v_cndmask_b32_e32 v1, v2, v1, vcc
	s_subb_u32 s5, s19, 0
	v_cndmask_b32_e64 v1, v10, v1, s[0:1]
	s_mul_i32 s0, s5, 0x349
	s_mul_hi_u32 s1, s4, 0x349
	s_add_i32 s1, s1, s0
	s_mul_i32 s0, s4, 0x349
	s_waitcnt lgkmcnt(0)
	v_mov_b32_e32 v2, s23
	v_add_co_u32_e32 v1, vcc, s22, v1
	s_add_u32 s0, s10, s0
	v_addc_co_u32_e32 v2, vcc, 0, v2, vcc
	s_addc_u32 s1, s11, s1
	v_mov_b32_e32 v4, s1
	v_add_co_u32_e32 v3, vcc, s0, v0
	v_addc_co_u32_e32 v4, vcc, 0, v4, vcc
	s_movk_i32 s0, 0x348
	v_cmp_lt_u32_e32 vcc, s0, v0
	v_cndmask_b32_e64 v11, 0, 1, vcc
	v_mov_b32_e32 v5, s19
	v_add_co_u32_e32 v6, vcc, s18, v11
	v_addc_co_u32_e32 v7, vcc, 0, v5, vcc
	v_subrev_co_u32_e32 v5, vcc, s14, v6
	v_subbrev_co_u32_e32 v6, vcc, 0, v7, vcc
	v_lshlrev_b64 v[5:6], 3, v[5:6]
	v_mov_b32_e32 v7, s9
	v_add_co_u32_e32 v5, vcc, s8, v5
	v_addc_co_u32_e32 v6, vcc, v7, v6, vcc
	v_mov_b32_e32 v8, s3
	v_mov_b32_e32 v9, 0
	v_mov_b32_e32 v7, s2
	s_branch .LBB236_14
.LBB236_13:                             ;   in Loop: Header=BB236_14 Depth=1
	s_or_b64 exec, exec, s[0:1]
	s_add_u32 s4, s4, 1
	s_addc_u32 s5, s5, 0
	v_cmp_lt_i64_e32 vcc, s[4:5], v[7:8]
	v_add_co_u32_e64 v5, s[0:1], 8, v5
	v_addc_co_u32_e64 v6, s[0:1], 0, v6, s[0:1]
	s_cbranch_vccz .LBB236_16
.LBB236_14:                             ; =>This Inner Loop Header: Depth=1
	v_mov_b32_e32 v13, s5
	v_add_co_u32_e32 v12, vcc, s4, v11
	v_addc_co_u32_e32 v13, vcc, 0, v13, vcc
	v_cmp_gt_i64_e32 vcc, s[2:3], v[12:13]
	s_and_saveexec_b64 s[0:1], vcc
	s_cbranch_execz .LBB236_13
; %bb.15:                               ;   in Loop: Header=BB236_14 Depth=1
	global_load_dwordx2 v[12:13], v[5:6], off
	s_waitcnt vmcnt(0)
	v_subrev_co_u32_e32 v12, vcc, s14, v12
	v_subbrev_co_u32_e32 v14, vcc, 0, v13, vcc
	v_mad_u64_u32 v[12:13], s[8:9], v12, 29, v[1:2]
	v_mad_u64_u32 v[13:14], s[8:9], v14, 29, v[13:14]
	global_load_sbyte v14, v[3:4], off
	s_nop 0
	global_load_sbyte v12, v[12:13], off
	v_add_co_u32_e32 v3, vcc, 0x349, v3
	v_addc_co_u32_e32 v4, vcc, 0, v4, vcc
	s_waitcnt vmcnt(0)
	v_mad_i32_i24 v9, v12, v14, v9
	s_branch .LBB236_13
.LBB236_16:
	v_lshlrev_b32_e32 v1, 2, v0
	s_and_b64 vcc, exec, s[16:17]
	ds_write_b32 v1, v9
	s_waitcnt lgkmcnt(0)
	s_barrier
	s_cbranch_vccz .LBB236_28
; %bb.17:
	v_cmp_gt_u16_e32 vcc, 13, v10
	s_and_saveexec_b64 s[0:1], vcc
	s_cbranch_execz .LBB236_19
; %bb.18:
	ds_read2_b32 v[2:3], v1 offset1:16
	s_waitcnt lgkmcnt(0)
	v_add_u32_e32 v2, v2, v3
	ds_write_b32 v1, v2
.LBB236_19:
	s_or_b64 exec, exec, s[0:1]
	v_cmp_gt_u16_e32 vcc, 8, v10
	s_waitcnt lgkmcnt(0)
	s_barrier
	s_and_saveexec_b64 s[0:1], vcc
	s_cbranch_execz .LBB236_21
; %bb.20:
	ds_read2_b32 v[2:3], v1 offset1:8
	s_waitcnt lgkmcnt(0)
	v_add_u32_e32 v2, v2, v3
	ds_write_b32 v1, v2
.LBB236_21:
	s_or_b64 exec, exec, s[0:1]
	v_cmp_gt_u16_e32 vcc, 4, v10
	s_waitcnt lgkmcnt(0)
	s_barrier
	s_and_saveexec_b64 s[0:1], vcc
	s_cbranch_execz .LBB236_23
; %bb.22:
	ds_read2_b32 v[2:3], v1 offset1:4
	s_waitcnt lgkmcnt(0)
	v_add_u32_e32 v2, v2, v3
	ds_write_b32 v1, v2
.LBB236_23:
	s_or_b64 exec, exec, s[0:1]
	v_cmp_gt_u16_e32 vcc, 2, v10
	s_waitcnt lgkmcnt(0)
	s_barrier
	s_and_saveexec_b64 s[0:1], vcc
	s_cbranch_execz .LBB236_25
; %bb.24:
	ds_read2_b32 v[2:3], v1 offset1:2
	s_waitcnt lgkmcnt(0)
	v_add_u32_e32 v2, v2, v3
	ds_write_b32 v1, v2
.LBB236_25:
	s_or_b64 exec, exec, s[0:1]
	v_cmp_gt_u32_e32 vcc, 29, v0
	v_mov_b32_e32 v2, v9
	s_waitcnt lgkmcnt(0)
	s_barrier
	s_and_saveexec_b64 s[0:1], vcc
	s_cbranch_execz .LBB236_27
; %bb.26:
	s_movk_i32 s2, 0x70
	v_mad_u32_u24 v2, v0, s2, v1
	ds_read2_b32 v[2:3], v2 offset1:1
	s_waitcnt lgkmcnt(0)
	v_add_u32_e32 v2, v3, v2
.LBB236_27:
	s_or_b64 exec, exec, s[0:1]
	s_branch .LBB236_40
.LBB236_28:
                                        ; implicit-def: $vgpr2
	s_cbranch_execz .LBB236_40
; %bb.29:
	s_movk_i32 s0, 0x179
	v_cmp_gt_u32_e32 vcc, s0, v0
	s_and_saveexec_b64 s[0:1], vcc
	s_cbranch_execz .LBB236_31
; %bb.30:
	ds_read_b32 v2, v1 offset:1856
	ds_read_b32 v3, v1
	s_waitcnt lgkmcnt(0)
	v_add_u32_e32 v2, v3, v2
	ds_write_b32 v1, v2
.LBB236_31:
	s_or_b64 exec, exec, s[0:1]
	s_movk_i32 s0, 0xe8
	v_cmp_gt_u32_e32 vcc, s0, v0
	s_waitcnt lgkmcnt(0)
	s_barrier
	s_and_saveexec_b64 s[0:1], vcc
	s_cbranch_execz .LBB236_33
; %bb.32:
	ds_read2_b32 v[2:3], v1 offset1:232
	s_waitcnt lgkmcnt(0)
	v_add_u32_e32 v2, v2, v3
	ds_write_b32 v1, v2
.LBB236_33:
	s_or_b64 exec, exec, s[0:1]
	s_movk_i32 s0, 0x74
	v_cmp_gt_u32_e32 vcc, s0, v0
	s_waitcnt lgkmcnt(0)
	s_barrier
	s_and_saveexec_b64 s[0:1], vcc
	s_cbranch_execz .LBB236_35
; %bb.34:
	ds_read2_b32 v[2:3], v1 offset1:116
	s_waitcnt lgkmcnt(0)
	v_add_u32_e32 v2, v2, v3
	ds_write_b32 v1, v2
.LBB236_35:
	s_or_b64 exec, exec, s[0:1]
	v_cmp_gt_u32_e32 vcc, 58, v0
	s_waitcnt lgkmcnt(0)
	s_barrier
	s_and_saveexec_b64 s[0:1], vcc
	s_cbranch_execz .LBB236_37
; %bb.36:
	ds_read2_b32 v[2:3], v1 offset1:58
	s_waitcnt lgkmcnt(0)
	v_add_u32_e32 v2, v2, v3
	ds_write_b32 v1, v2
.LBB236_37:
	s_or_b64 exec, exec, s[0:1]
	v_cmp_gt_u32_e32 vcc, 29, v0
	s_waitcnt lgkmcnt(0)
	s_and_saveexec_b64 s[0:1], vcc
	s_cbranch_execz .LBB236_39
; %bb.38:
	ds_read2_b32 v[2:3], v1 offset1:29
	s_waitcnt lgkmcnt(0)
	v_add_u32_e32 v9, v3, v2
.LBB236_39:
	s_or_b64 exec, exec, s[0:1]
	v_mov_b32_e32 v2, v9
.LBB236_40:
	v_cmp_gt_u32_e32 vcc, 29, v0
	s_and_saveexec_b64 s[0:1], vcc
	s_cbranch_execz .LBB236_44
; %bb.41:
	v_mul_lo_u32 v0, v2, s15
	s_cmp_eq_u32 s20, 0
	s_mul_i32 s2, s7, 0x74
	s_mul_hi_u32 s3, s6, 0x74
	s_mul_i32 s4, s6, 0x74
	s_cbranch_scc1 .LBB236_45
; %bb.42:
	s_add_i32 s1, s3, s2
	s_add_u32 s0, s12, s4
	s_addc_u32 s1, s13, s1
	global_load_dword v2, v1, s[0:1]
	s_waitcnt vmcnt(0)
	v_mad_u64_u32 v[2:3], s[6:7], v2, s20, v[0:1]
	global_store_dword v1, v2, s[0:1]
	s_cbranch_execnz .LBB236_44
.LBB236_43:
	s_add_i32 s3, s3, s2
	s_add_u32 s0, s12, s4
	s_addc_u32 s1, s13, s3
	global_store_dword v1, v0, s[0:1]
.LBB236_44:
	s_endpgm
.LBB236_45:
	s_branch .LBB236_43
	.section	.rodata,"a",@progbits
	.p2align	6, 0x0
	.amdhsa_kernel _ZN9rocsparseL20bsrxmvn_17_32_kernelILj29EillaaiEEvT2_20rocsparse_direction_NS_24const_host_device_scalarIT0_EES1_PKS1_PKT1_SA_S7_PKT3_PKT4_S5_PT5_21rocsparse_index_base_b
		.amdhsa_group_segment_fixed_size 3364
		.amdhsa_private_segment_fixed_size 0
		.amdhsa_kernarg_size 104
		.amdhsa_user_sgpr_count 6
		.amdhsa_user_sgpr_private_segment_buffer 1
		.amdhsa_user_sgpr_dispatch_ptr 0
		.amdhsa_user_sgpr_queue_ptr 0
		.amdhsa_user_sgpr_kernarg_segment_ptr 1
		.amdhsa_user_sgpr_dispatch_id 0
		.amdhsa_user_sgpr_flat_scratch_init 0
		.amdhsa_user_sgpr_private_segment_size 0
		.amdhsa_uses_dynamic_stack 0
		.amdhsa_system_sgpr_private_segment_wavefront_offset 0
		.amdhsa_system_sgpr_workgroup_id_x 1
		.amdhsa_system_sgpr_workgroup_id_y 0
		.amdhsa_system_sgpr_workgroup_id_z 0
		.amdhsa_system_sgpr_workgroup_info 0
		.amdhsa_system_vgpr_workitem_id 0
		.amdhsa_next_free_vgpr 33
		.amdhsa_next_free_sgpr 77
		.amdhsa_reserve_vcc 1
		.amdhsa_reserve_flat_scratch 0
		.amdhsa_float_round_mode_32 0
		.amdhsa_float_round_mode_16_64 0
		.amdhsa_float_denorm_mode_32 3
		.amdhsa_float_denorm_mode_16_64 3
		.amdhsa_dx10_clamp 1
		.amdhsa_ieee_mode 1
		.amdhsa_fp16_overflow 0
		.amdhsa_exception_fp_ieee_invalid_op 0
		.amdhsa_exception_fp_denorm_src 0
		.amdhsa_exception_fp_ieee_div_zero 0
		.amdhsa_exception_fp_ieee_overflow 0
		.amdhsa_exception_fp_ieee_underflow 0
		.amdhsa_exception_fp_ieee_inexact 0
		.amdhsa_exception_int_div_zero 0
	.end_amdhsa_kernel
	.section	.text._ZN9rocsparseL20bsrxmvn_17_32_kernelILj29EillaaiEEvT2_20rocsparse_direction_NS_24const_host_device_scalarIT0_EES1_PKS1_PKT1_SA_S7_PKT3_PKT4_S5_PT5_21rocsparse_index_base_b,"axG",@progbits,_ZN9rocsparseL20bsrxmvn_17_32_kernelILj29EillaaiEEvT2_20rocsparse_direction_NS_24const_host_device_scalarIT0_EES1_PKS1_PKT1_SA_S7_PKT3_PKT4_S5_PT5_21rocsparse_index_base_b,comdat
.Lfunc_end236:
	.size	_ZN9rocsparseL20bsrxmvn_17_32_kernelILj29EillaaiEEvT2_20rocsparse_direction_NS_24const_host_device_scalarIT0_EES1_PKS1_PKT1_SA_S7_PKT3_PKT4_S5_PT5_21rocsparse_index_base_b, .Lfunc_end236-_ZN9rocsparseL20bsrxmvn_17_32_kernelILj29EillaaiEEvT2_20rocsparse_direction_NS_24const_host_device_scalarIT0_EES1_PKS1_PKT1_SA_S7_PKT3_PKT4_S5_PT5_21rocsparse_index_base_b
                                        ; -- End function
	.set _ZN9rocsparseL20bsrxmvn_17_32_kernelILj29EillaaiEEvT2_20rocsparse_direction_NS_24const_host_device_scalarIT0_EES1_PKS1_PKT1_SA_S7_PKT3_PKT4_S5_PT5_21rocsparse_index_base_b.num_vgpr, 15
	.set _ZN9rocsparseL20bsrxmvn_17_32_kernelILj29EillaaiEEvT2_20rocsparse_direction_NS_24const_host_device_scalarIT0_EES1_PKS1_PKT1_SA_S7_PKT3_PKT4_S5_PT5_21rocsparse_index_base_b.num_agpr, 0
	.set _ZN9rocsparseL20bsrxmvn_17_32_kernelILj29EillaaiEEvT2_20rocsparse_direction_NS_24const_host_device_scalarIT0_EES1_PKS1_PKT1_SA_S7_PKT3_PKT4_S5_PT5_21rocsparse_index_base_b.numbered_sgpr, 24
	.set _ZN9rocsparseL20bsrxmvn_17_32_kernelILj29EillaaiEEvT2_20rocsparse_direction_NS_24const_host_device_scalarIT0_EES1_PKS1_PKT1_SA_S7_PKT3_PKT4_S5_PT5_21rocsparse_index_base_b.num_named_barrier, 0
	.set _ZN9rocsparseL20bsrxmvn_17_32_kernelILj29EillaaiEEvT2_20rocsparse_direction_NS_24const_host_device_scalarIT0_EES1_PKS1_PKT1_SA_S7_PKT3_PKT4_S5_PT5_21rocsparse_index_base_b.private_seg_size, 0
	.set _ZN9rocsparseL20bsrxmvn_17_32_kernelILj29EillaaiEEvT2_20rocsparse_direction_NS_24const_host_device_scalarIT0_EES1_PKS1_PKT1_SA_S7_PKT3_PKT4_S5_PT5_21rocsparse_index_base_b.uses_vcc, 1
	.set _ZN9rocsparseL20bsrxmvn_17_32_kernelILj29EillaaiEEvT2_20rocsparse_direction_NS_24const_host_device_scalarIT0_EES1_PKS1_PKT1_SA_S7_PKT3_PKT4_S5_PT5_21rocsparse_index_base_b.uses_flat_scratch, 0
	.set _ZN9rocsparseL20bsrxmvn_17_32_kernelILj29EillaaiEEvT2_20rocsparse_direction_NS_24const_host_device_scalarIT0_EES1_PKS1_PKT1_SA_S7_PKT3_PKT4_S5_PT5_21rocsparse_index_base_b.has_dyn_sized_stack, 0
	.set _ZN9rocsparseL20bsrxmvn_17_32_kernelILj29EillaaiEEvT2_20rocsparse_direction_NS_24const_host_device_scalarIT0_EES1_PKS1_PKT1_SA_S7_PKT3_PKT4_S5_PT5_21rocsparse_index_base_b.has_recursion, 0
	.set _ZN9rocsparseL20bsrxmvn_17_32_kernelILj29EillaaiEEvT2_20rocsparse_direction_NS_24const_host_device_scalarIT0_EES1_PKS1_PKT1_SA_S7_PKT3_PKT4_S5_PT5_21rocsparse_index_base_b.has_indirect_call, 0
	.section	.AMDGPU.csdata,"",@progbits
; Kernel info:
; codeLenInByte = 1364
; TotalNumSgprs: 28
; NumVgprs: 15
; ScratchSize: 0
; MemoryBound: 0
; FloatMode: 240
; IeeeMode: 1
; LDSByteSize: 3364 bytes/workgroup (compile time only)
; SGPRBlocks: 10
; VGPRBlocks: 8
; NumSGPRsForWavesPerEU: 81
; NumVGPRsForWavesPerEU: 33
; Occupancy: 7
; WaveLimiterHint : 1
; COMPUTE_PGM_RSRC2:SCRATCH_EN: 0
; COMPUTE_PGM_RSRC2:USER_SGPR: 6
; COMPUTE_PGM_RSRC2:TRAP_HANDLER: 0
; COMPUTE_PGM_RSRC2:TGID_X_EN: 1
; COMPUTE_PGM_RSRC2:TGID_Y_EN: 0
; COMPUTE_PGM_RSRC2:TGID_Z_EN: 0
; COMPUTE_PGM_RSRC2:TIDIG_COMP_CNT: 0
	.section	.text._ZN9rocsparseL20bsrxmvn_17_32_kernelILj30EillaaiEEvT2_20rocsparse_direction_NS_24const_host_device_scalarIT0_EES1_PKS1_PKT1_SA_S7_PKT3_PKT4_S5_PT5_21rocsparse_index_base_b,"axG",@progbits,_ZN9rocsparseL20bsrxmvn_17_32_kernelILj30EillaaiEEvT2_20rocsparse_direction_NS_24const_host_device_scalarIT0_EES1_PKS1_PKT1_SA_S7_PKT3_PKT4_S5_PT5_21rocsparse_index_base_b,comdat
	.globl	_ZN9rocsparseL20bsrxmvn_17_32_kernelILj30EillaaiEEvT2_20rocsparse_direction_NS_24const_host_device_scalarIT0_EES1_PKS1_PKT1_SA_S7_PKT3_PKT4_S5_PT5_21rocsparse_index_base_b ; -- Begin function _ZN9rocsparseL20bsrxmvn_17_32_kernelILj30EillaaiEEvT2_20rocsparse_direction_NS_24const_host_device_scalarIT0_EES1_PKS1_PKT1_SA_S7_PKT3_PKT4_S5_PT5_21rocsparse_index_base_b
	.p2align	8
	.type	_ZN9rocsparseL20bsrxmvn_17_32_kernelILj30EillaaiEEvT2_20rocsparse_direction_NS_24const_host_device_scalarIT0_EES1_PKS1_PKT1_SA_S7_PKT3_PKT4_S5_PT5_21rocsparse_index_base_b,@function
_ZN9rocsparseL20bsrxmvn_17_32_kernelILj30EillaaiEEvT2_20rocsparse_direction_NS_24const_host_device_scalarIT0_EES1_PKS1_PKT1_SA_S7_PKT3_PKT4_S5_PT5_21rocsparse_index_base_b: ; @_ZN9rocsparseL20bsrxmvn_17_32_kernelILj30EillaaiEEvT2_20rocsparse_direction_NS_24const_host_device_scalarIT0_EES1_PKS1_PKT1_SA_S7_PKT3_PKT4_S5_PT5_21rocsparse_index_base_b
; %bb.0:
	s_load_dwordx2 s[14:15], s[4:5], 0x60
	s_load_dwordx2 s[8:9], s[4:5], 0x10
	s_mov_b64 s[10:11], -1
	s_waitcnt lgkmcnt(0)
	s_bitcmp1_b32 s15, 0
	s_cselect_b64 s[0:1], -1, 0
	s_xor_b64 s[2:3], s[0:1], -1
	s_and_b64 vcc, exec, s[2:3]
                                        ; implicit-def: $sgpr15
	s_cbranch_vccnz .LBB237_4
; %bb.1:
	s_load_dwordx2 s[0:1], s[4:5], 0x50
	s_andn2_b64 vcc, exec, s[10:11]
	s_cbranch_vccz .LBB237_5
.LBB237_2:
	s_and_b64 vcc, exec, s[2:3]
	s_cbranch_vccz .LBB237_6
.LBB237_3:
	s_waitcnt lgkmcnt(0)
	s_load_dword s20, s[0:1], 0x0
	s_cbranch_execz .LBB237_7
	s_branch .LBB237_8
.LBB237_4:
	s_load_dword s15, s[8:9], 0x0
	s_load_dwordx2 s[0:1], s[4:5], 0x50
	s_cbranch_execnz .LBB237_2
.LBB237_5:
	s_waitcnt lgkmcnt(0)
	s_mov_b32 s15, s8
	s_and_b64 vcc, exec, s[2:3]
	s_cbranch_vccnz .LBB237_3
.LBB237_6:
                                        ; implicit-def: $sgpr20
.LBB237_7:
	s_waitcnt lgkmcnt(0)
	s_mov_b32 s20, s0
.LBB237_8:
	s_waitcnt lgkmcnt(0)
	s_cmp_lg_u32 s15, 0
	s_cselect_b64 s[0:1], -1, 0
	s_cmp_lg_u32 s20, 1
	s_cselect_b64 s[2:3], -1, 0
	s_or_b64 s[0:1], s[0:1], s[2:3]
	s_andn2_b64 vcc, exec, s[0:1]
	s_mov_b32 s7, 0
	s_cbranch_vccnz .LBB237_44
; %bb.9:
	s_load_dwordx4 s[0:3], s[4:5], 0x20
	s_load_dwordx2 s[8:9], s[4:5], 0x30
	s_waitcnt lgkmcnt(0)
	s_cmp_eq_u64 s[0:1], 0
	s_cbranch_scc1 .LBB237_11
; %bb.10:
	s_lshl_b64 s[6:7], s[6:7], 3
	s_add_u32 s0, s0, s6
	s_addc_u32 s1, s1, s7
	s_load_dwordx2 s[0:1], s[0:1], 0x0
	s_waitcnt lgkmcnt(0)
	s_sub_u32 s6, s0, s14
	s_subb_u32 s7, s1, 0
.LBB237_11:
	s_load_dword s10, s[4:5], 0x8
	s_load_dwordx2 s[12:13], s[4:5], 0x58
	v_mul_u32_u24_e32 v1, 0x889, v0
	v_mov_b32_e32 v2, 30
	v_mul_lo_u16_sdwa v2, v1, v2 dst_sel:DWORD dst_unused:UNUSED_PAD src0_sel:WORD_1 src1_sel:DWORD
	s_waitcnt lgkmcnt(0)
	s_cmp_eq_u32 s10, 1
	s_cselect_b64 s[0:1], -1, 0
	s_cmp_lg_u32 s10, 1
	s_cselect_b64 s[16:17], -1, 0
	s_lshl_b64 s[10:11], s[6:7], 3
	s_add_u32 s22, s2, s10
	s_addc_u32 s23, s3, s11
	s_add_u32 s2, s22, 8
	s_addc_u32 s3, s23, 0
	;; [unrolled: 2-line block ×3, first 2 shown]
	s_cmp_eq_u64 s[8:9], 0
	s_cselect_b32 s9, s3, s11
	s_cselect_b32 s8, s2, s10
	s_load_dwordx2 s[2:3], s[8:9], 0x0
	s_load_dwordx2 s[18:19], s[22:23], 0x0
	v_sub_u16_e32 v10, v0, v2
	v_mov_b32_e32 v9, 0
	s_waitcnt lgkmcnt(0)
	v_mov_b32_e32 v2, s2
	v_mov_b32_e32 v3, s3
	v_cmp_ge_i64_e32 vcc, s[18:19], v[2:3]
	s_cbranch_vccnz .LBB237_16
; %bb.12:
	s_load_dwordx4 s[8:11], s[4:5], 0x38
	s_load_dwordx2 s[22:23], s[4:5], 0x48
	s_mov_b32 s4, 0xffff
	s_sub_u32 s2, s2, s14
	s_movk_i32 s5, 0x384
	v_and_b32_sdwa v1, s4, v1 dst_sel:DWORD dst_unused:UNUSED_PAD src0_sel:DWORD src1_sel:WORD_1
	s_subb_u32 s3, s3, 0
	v_subrev_u32_e32 v2, 30, v1
	v_cmp_gt_u32_e32 vcc, s5, v0
	s_sub_u32 s4, s18, s14
	v_cndmask_b32_e32 v1, v2, v1, vcc
	s_subb_u32 s5, s19, 0
	v_cndmask_b32_e64 v1, v10, v1, s[0:1]
	s_mul_i32 s0, s5, 0x384
	s_mul_hi_u32 s1, s4, 0x384
	s_add_i32 s1, s1, s0
	s_mul_i32 s0, s4, 0x384
	s_waitcnt lgkmcnt(0)
	v_mov_b32_e32 v2, s23
	v_add_co_u32_e32 v1, vcc, s22, v1
	s_add_u32 s0, s10, s0
	v_addc_co_u32_e32 v2, vcc, 0, v2, vcc
	s_addc_u32 s1, s11, s1
	v_mov_b32_e32 v4, s1
	v_add_co_u32_e32 v3, vcc, s0, v0
	v_addc_co_u32_e32 v4, vcc, 0, v4, vcc
	s_movk_i32 s0, 0x383
	v_cmp_lt_u32_e32 vcc, s0, v0
	v_cndmask_b32_e64 v11, 0, 1, vcc
	v_mov_b32_e32 v5, s19
	v_add_co_u32_e32 v6, vcc, s18, v11
	v_addc_co_u32_e32 v7, vcc, 0, v5, vcc
	v_subrev_co_u32_e32 v5, vcc, s14, v6
	v_subbrev_co_u32_e32 v6, vcc, 0, v7, vcc
	v_lshlrev_b64 v[5:6], 3, v[5:6]
	v_mov_b32_e32 v7, s9
	v_add_co_u32_e32 v5, vcc, s8, v5
	v_addc_co_u32_e32 v6, vcc, v7, v6, vcc
	v_mov_b32_e32 v8, s3
	v_mov_b32_e32 v9, 0
	;; [unrolled: 1-line block ×3, first 2 shown]
	s_branch .LBB237_14
.LBB237_13:                             ;   in Loop: Header=BB237_14 Depth=1
	s_or_b64 exec, exec, s[0:1]
	s_add_u32 s4, s4, 1
	s_addc_u32 s5, s5, 0
	v_cmp_lt_i64_e32 vcc, s[4:5], v[7:8]
	v_add_co_u32_e64 v5, s[0:1], 8, v5
	v_addc_co_u32_e64 v6, s[0:1], 0, v6, s[0:1]
	s_cbranch_vccz .LBB237_16
.LBB237_14:                             ; =>This Inner Loop Header: Depth=1
	v_mov_b32_e32 v13, s5
	v_add_co_u32_e32 v12, vcc, s4, v11
	v_addc_co_u32_e32 v13, vcc, 0, v13, vcc
	v_cmp_gt_i64_e32 vcc, s[2:3], v[12:13]
	s_and_saveexec_b64 s[0:1], vcc
	s_cbranch_execz .LBB237_13
; %bb.15:                               ;   in Loop: Header=BB237_14 Depth=1
	global_load_dwordx2 v[12:13], v[5:6], off
	s_waitcnt vmcnt(0)
	v_subrev_co_u32_e32 v12, vcc, s14, v12
	v_subbrev_co_u32_e32 v14, vcc, 0, v13, vcc
	v_mad_u64_u32 v[12:13], s[8:9], v12, 30, v[1:2]
	v_mad_u64_u32 v[13:14], s[8:9], v14, 30, v[13:14]
	global_load_sbyte v14, v[3:4], off
	s_nop 0
	global_load_sbyte v12, v[12:13], off
	v_add_co_u32_e32 v3, vcc, 0x384, v3
	v_addc_co_u32_e32 v4, vcc, 0, v4, vcc
	s_waitcnt vmcnt(0)
	v_mad_i32_i24 v9, v12, v14, v9
	s_branch .LBB237_13
.LBB237_16:
	v_lshlrev_b32_e32 v1, 2, v0
	s_and_b64 vcc, exec, s[16:17]
	ds_write_b32 v1, v9
	s_waitcnt lgkmcnt(0)
	s_barrier
	s_cbranch_vccz .LBB237_28
; %bb.17:
	v_cmp_gt_u16_e32 vcc, 14, v10
	s_and_saveexec_b64 s[0:1], vcc
	s_cbranch_execz .LBB237_19
; %bb.18:
	ds_read2_b32 v[2:3], v1 offset1:16
	s_waitcnt lgkmcnt(0)
	v_add_u32_e32 v2, v2, v3
	ds_write_b32 v1, v2
.LBB237_19:
	s_or_b64 exec, exec, s[0:1]
	v_cmp_gt_u16_e32 vcc, 8, v10
	s_waitcnt lgkmcnt(0)
	s_barrier
	s_and_saveexec_b64 s[0:1], vcc
	s_cbranch_execz .LBB237_21
; %bb.20:
	ds_read2_b32 v[2:3], v1 offset1:8
	s_waitcnt lgkmcnt(0)
	v_add_u32_e32 v2, v2, v3
	ds_write_b32 v1, v2
.LBB237_21:
	s_or_b64 exec, exec, s[0:1]
	v_cmp_gt_u16_e32 vcc, 4, v10
	s_waitcnt lgkmcnt(0)
	s_barrier
	;; [unrolled: 12-line block ×3, first 2 shown]
	s_and_saveexec_b64 s[0:1], vcc
	s_cbranch_execz .LBB237_25
; %bb.24:
	ds_read2_b32 v[2:3], v1 offset1:2
	s_waitcnt lgkmcnt(0)
	v_add_u32_e32 v2, v2, v3
	ds_write_b32 v1, v2
.LBB237_25:
	s_or_b64 exec, exec, s[0:1]
	v_cmp_gt_u32_e32 vcc, 30, v0
	v_mov_b32_e32 v2, v9
	s_waitcnt lgkmcnt(0)
	s_barrier
	s_and_saveexec_b64 s[0:1], vcc
	s_cbranch_execz .LBB237_27
; %bb.26:
	s_movk_i32 s2, 0x74
	v_mad_u32_u24 v2, v0, s2, v1
	ds_read_b64 v[2:3], v2
	s_waitcnt lgkmcnt(0)
	v_add_u32_e32 v2, v3, v2
.LBB237_27:
	s_or_b64 exec, exec, s[0:1]
	s_branch .LBB237_40
.LBB237_28:
                                        ; implicit-def: $vgpr2
	s_cbranch_execz .LBB237_40
; %bb.29:
	s_movk_i32 s0, 0x1a4
	v_cmp_gt_u32_e32 vcc, s0, v0
	s_and_saveexec_b64 s[0:1], vcc
	s_cbranch_execz .LBB237_31
; %bb.30:
	ds_read_b32 v2, v1 offset:1920
	ds_read_b32 v3, v1
	s_waitcnt lgkmcnt(0)
	v_add_u32_e32 v2, v3, v2
	ds_write_b32 v1, v2
.LBB237_31:
	s_or_b64 exec, exec, s[0:1]
	s_movk_i32 s0, 0xf0
	v_cmp_gt_u32_e32 vcc, s0, v0
	s_waitcnt lgkmcnt(0)
	s_barrier
	s_and_saveexec_b64 s[0:1], vcc
	s_cbranch_execz .LBB237_33
; %bb.32:
	ds_read2_b32 v[2:3], v1 offset1:240
	s_waitcnt lgkmcnt(0)
	v_add_u32_e32 v2, v2, v3
	ds_write_b32 v1, v2
.LBB237_33:
	s_or_b64 exec, exec, s[0:1]
	s_movk_i32 s0, 0x78
	v_cmp_gt_u32_e32 vcc, s0, v0
	s_waitcnt lgkmcnt(0)
	s_barrier
	s_and_saveexec_b64 s[0:1], vcc
	s_cbranch_execz .LBB237_35
; %bb.34:
	ds_read2_b32 v[2:3], v1 offset1:120
	s_waitcnt lgkmcnt(0)
	v_add_u32_e32 v2, v2, v3
	ds_write_b32 v1, v2
.LBB237_35:
	s_or_b64 exec, exec, s[0:1]
	v_cmp_gt_u32_e32 vcc, 60, v0
	s_waitcnt lgkmcnt(0)
	s_barrier
	s_and_saveexec_b64 s[0:1], vcc
	s_cbranch_execz .LBB237_37
; %bb.36:
	ds_read2_b32 v[2:3], v1 offset1:60
	s_waitcnt lgkmcnt(0)
	v_add_u32_e32 v2, v2, v3
	ds_write_b32 v1, v2
.LBB237_37:
	s_or_b64 exec, exec, s[0:1]
	v_cmp_gt_u32_e32 vcc, 30, v0
	s_waitcnt lgkmcnt(0)
	s_and_saveexec_b64 s[0:1], vcc
	s_cbranch_execz .LBB237_39
; %bb.38:
	ds_read2_b32 v[2:3], v1 offset1:30
	s_waitcnt lgkmcnt(0)
	v_add_u32_e32 v9, v3, v2
.LBB237_39:
	s_or_b64 exec, exec, s[0:1]
	v_mov_b32_e32 v2, v9
.LBB237_40:
	v_cmp_gt_u32_e32 vcc, 30, v0
	s_and_saveexec_b64 s[0:1], vcc
	s_cbranch_execz .LBB237_44
; %bb.41:
	v_mul_lo_u32 v0, v2, s15
	s_cmp_eq_u32 s20, 0
	s_mul_i32 s2, s7, 0x78
	s_mul_hi_u32 s3, s6, 0x78
	s_mul_i32 s4, s6, 0x78
	s_cbranch_scc1 .LBB237_45
; %bb.42:
	s_add_i32 s1, s3, s2
	s_add_u32 s0, s12, s4
	s_addc_u32 s1, s13, s1
	global_load_dword v2, v1, s[0:1]
	s_waitcnt vmcnt(0)
	v_mad_u64_u32 v[2:3], s[6:7], v2, s20, v[0:1]
	global_store_dword v1, v2, s[0:1]
	s_cbranch_execnz .LBB237_44
.LBB237_43:
	s_add_i32 s3, s3, s2
	s_add_u32 s0, s12, s4
	s_addc_u32 s1, s13, s3
	global_store_dword v1, v0, s[0:1]
.LBB237_44:
	s_endpgm
.LBB237_45:
	s_branch .LBB237_43
	.section	.rodata,"a",@progbits
	.p2align	6, 0x0
	.amdhsa_kernel _ZN9rocsparseL20bsrxmvn_17_32_kernelILj30EillaaiEEvT2_20rocsparse_direction_NS_24const_host_device_scalarIT0_EES1_PKS1_PKT1_SA_S7_PKT3_PKT4_S5_PT5_21rocsparse_index_base_b
		.amdhsa_group_segment_fixed_size 3600
		.amdhsa_private_segment_fixed_size 0
		.amdhsa_kernarg_size 104
		.amdhsa_user_sgpr_count 6
		.amdhsa_user_sgpr_private_segment_buffer 1
		.amdhsa_user_sgpr_dispatch_ptr 0
		.amdhsa_user_sgpr_queue_ptr 0
		.amdhsa_user_sgpr_kernarg_segment_ptr 1
		.amdhsa_user_sgpr_dispatch_id 0
		.amdhsa_user_sgpr_flat_scratch_init 0
		.amdhsa_user_sgpr_private_segment_size 0
		.amdhsa_uses_dynamic_stack 0
		.amdhsa_system_sgpr_private_segment_wavefront_offset 0
		.amdhsa_system_sgpr_workgroup_id_x 1
		.amdhsa_system_sgpr_workgroup_id_y 0
		.amdhsa_system_sgpr_workgroup_id_z 0
		.amdhsa_system_sgpr_workgroup_info 0
		.amdhsa_system_vgpr_workitem_id 0
		.amdhsa_next_free_vgpr 29
		.amdhsa_next_free_sgpr 61
		.amdhsa_reserve_vcc 1
		.amdhsa_reserve_flat_scratch 0
		.amdhsa_float_round_mode_32 0
		.amdhsa_float_round_mode_16_64 0
		.amdhsa_float_denorm_mode_32 3
		.amdhsa_float_denorm_mode_16_64 3
		.amdhsa_dx10_clamp 1
		.amdhsa_ieee_mode 1
		.amdhsa_fp16_overflow 0
		.amdhsa_exception_fp_ieee_invalid_op 0
		.amdhsa_exception_fp_denorm_src 0
		.amdhsa_exception_fp_ieee_div_zero 0
		.amdhsa_exception_fp_ieee_overflow 0
		.amdhsa_exception_fp_ieee_underflow 0
		.amdhsa_exception_fp_ieee_inexact 0
		.amdhsa_exception_int_div_zero 0
	.end_amdhsa_kernel
	.section	.text._ZN9rocsparseL20bsrxmvn_17_32_kernelILj30EillaaiEEvT2_20rocsparse_direction_NS_24const_host_device_scalarIT0_EES1_PKS1_PKT1_SA_S7_PKT3_PKT4_S5_PT5_21rocsparse_index_base_b,"axG",@progbits,_ZN9rocsparseL20bsrxmvn_17_32_kernelILj30EillaaiEEvT2_20rocsparse_direction_NS_24const_host_device_scalarIT0_EES1_PKS1_PKT1_SA_S7_PKT3_PKT4_S5_PT5_21rocsparse_index_base_b,comdat
.Lfunc_end237:
	.size	_ZN9rocsparseL20bsrxmvn_17_32_kernelILj30EillaaiEEvT2_20rocsparse_direction_NS_24const_host_device_scalarIT0_EES1_PKS1_PKT1_SA_S7_PKT3_PKT4_S5_PT5_21rocsparse_index_base_b, .Lfunc_end237-_ZN9rocsparseL20bsrxmvn_17_32_kernelILj30EillaaiEEvT2_20rocsparse_direction_NS_24const_host_device_scalarIT0_EES1_PKS1_PKT1_SA_S7_PKT3_PKT4_S5_PT5_21rocsparse_index_base_b
                                        ; -- End function
	.set _ZN9rocsparseL20bsrxmvn_17_32_kernelILj30EillaaiEEvT2_20rocsparse_direction_NS_24const_host_device_scalarIT0_EES1_PKS1_PKT1_SA_S7_PKT3_PKT4_S5_PT5_21rocsparse_index_base_b.num_vgpr, 15
	.set _ZN9rocsparseL20bsrxmvn_17_32_kernelILj30EillaaiEEvT2_20rocsparse_direction_NS_24const_host_device_scalarIT0_EES1_PKS1_PKT1_SA_S7_PKT3_PKT4_S5_PT5_21rocsparse_index_base_b.num_agpr, 0
	.set _ZN9rocsparseL20bsrxmvn_17_32_kernelILj30EillaaiEEvT2_20rocsparse_direction_NS_24const_host_device_scalarIT0_EES1_PKS1_PKT1_SA_S7_PKT3_PKT4_S5_PT5_21rocsparse_index_base_b.numbered_sgpr, 24
	.set _ZN9rocsparseL20bsrxmvn_17_32_kernelILj30EillaaiEEvT2_20rocsparse_direction_NS_24const_host_device_scalarIT0_EES1_PKS1_PKT1_SA_S7_PKT3_PKT4_S5_PT5_21rocsparse_index_base_b.num_named_barrier, 0
	.set _ZN9rocsparseL20bsrxmvn_17_32_kernelILj30EillaaiEEvT2_20rocsparse_direction_NS_24const_host_device_scalarIT0_EES1_PKS1_PKT1_SA_S7_PKT3_PKT4_S5_PT5_21rocsparse_index_base_b.private_seg_size, 0
	.set _ZN9rocsparseL20bsrxmvn_17_32_kernelILj30EillaaiEEvT2_20rocsparse_direction_NS_24const_host_device_scalarIT0_EES1_PKS1_PKT1_SA_S7_PKT3_PKT4_S5_PT5_21rocsparse_index_base_b.uses_vcc, 1
	.set _ZN9rocsparseL20bsrxmvn_17_32_kernelILj30EillaaiEEvT2_20rocsparse_direction_NS_24const_host_device_scalarIT0_EES1_PKS1_PKT1_SA_S7_PKT3_PKT4_S5_PT5_21rocsparse_index_base_b.uses_flat_scratch, 0
	.set _ZN9rocsparseL20bsrxmvn_17_32_kernelILj30EillaaiEEvT2_20rocsparse_direction_NS_24const_host_device_scalarIT0_EES1_PKS1_PKT1_SA_S7_PKT3_PKT4_S5_PT5_21rocsparse_index_base_b.has_dyn_sized_stack, 0
	.set _ZN9rocsparseL20bsrxmvn_17_32_kernelILj30EillaaiEEvT2_20rocsparse_direction_NS_24const_host_device_scalarIT0_EES1_PKS1_PKT1_SA_S7_PKT3_PKT4_S5_PT5_21rocsparse_index_base_b.has_recursion, 0
	.set _ZN9rocsparseL20bsrxmvn_17_32_kernelILj30EillaaiEEvT2_20rocsparse_direction_NS_24const_host_device_scalarIT0_EES1_PKS1_PKT1_SA_S7_PKT3_PKT4_S5_PT5_21rocsparse_index_base_b.has_indirect_call, 0
	.section	.AMDGPU.csdata,"",@progbits
; Kernel info:
; codeLenInByte = 1364
; TotalNumSgprs: 28
; NumVgprs: 15
; ScratchSize: 0
; MemoryBound: 0
; FloatMode: 240
; IeeeMode: 1
; LDSByteSize: 3600 bytes/workgroup (compile time only)
; SGPRBlocks: 8
; VGPRBlocks: 7
; NumSGPRsForWavesPerEU: 65
; NumVGPRsForWavesPerEU: 29
; Occupancy: 8
; WaveLimiterHint : 1
; COMPUTE_PGM_RSRC2:SCRATCH_EN: 0
; COMPUTE_PGM_RSRC2:USER_SGPR: 6
; COMPUTE_PGM_RSRC2:TRAP_HANDLER: 0
; COMPUTE_PGM_RSRC2:TGID_X_EN: 1
; COMPUTE_PGM_RSRC2:TGID_Y_EN: 0
; COMPUTE_PGM_RSRC2:TGID_Z_EN: 0
; COMPUTE_PGM_RSRC2:TIDIG_COMP_CNT: 0
	.section	.text._ZN9rocsparseL20bsrxmvn_17_32_kernelILj31EillaaiEEvT2_20rocsparse_direction_NS_24const_host_device_scalarIT0_EES1_PKS1_PKT1_SA_S7_PKT3_PKT4_S5_PT5_21rocsparse_index_base_b,"axG",@progbits,_ZN9rocsparseL20bsrxmvn_17_32_kernelILj31EillaaiEEvT2_20rocsparse_direction_NS_24const_host_device_scalarIT0_EES1_PKS1_PKT1_SA_S7_PKT3_PKT4_S5_PT5_21rocsparse_index_base_b,comdat
	.globl	_ZN9rocsparseL20bsrxmvn_17_32_kernelILj31EillaaiEEvT2_20rocsparse_direction_NS_24const_host_device_scalarIT0_EES1_PKS1_PKT1_SA_S7_PKT3_PKT4_S5_PT5_21rocsparse_index_base_b ; -- Begin function _ZN9rocsparseL20bsrxmvn_17_32_kernelILj31EillaaiEEvT2_20rocsparse_direction_NS_24const_host_device_scalarIT0_EES1_PKS1_PKT1_SA_S7_PKT3_PKT4_S5_PT5_21rocsparse_index_base_b
	.p2align	8
	.type	_ZN9rocsparseL20bsrxmvn_17_32_kernelILj31EillaaiEEvT2_20rocsparse_direction_NS_24const_host_device_scalarIT0_EES1_PKS1_PKT1_SA_S7_PKT3_PKT4_S5_PT5_21rocsparse_index_base_b,@function
_ZN9rocsparseL20bsrxmvn_17_32_kernelILj31EillaaiEEvT2_20rocsparse_direction_NS_24const_host_device_scalarIT0_EES1_PKS1_PKT1_SA_S7_PKT3_PKT4_S5_PT5_21rocsparse_index_base_b: ; @_ZN9rocsparseL20bsrxmvn_17_32_kernelILj31EillaaiEEvT2_20rocsparse_direction_NS_24const_host_device_scalarIT0_EES1_PKS1_PKT1_SA_S7_PKT3_PKT4_S5_PT5_21rocsparse_index_base_b
; %bb.0:
	s_load_dwordx2 s[14:15], s[4:5], 0x60
	s_load_dwordx2 s[8:9], s[4:5], 0x10
	s_mov_b64 s[10:11], -1
	s_waitcnt lgkmcnt(0)
	s_bitcmp1_b32 s15, 0
	s_cselect_b64 s[0:1], -1, 0
	s_xor_b64 s[2:3], s[0:1], -1
	s_and_b64 vcc, exec, s[2:3]
                                        ; implicit-def: $sgpr15
	s_cbranch_vccnz .LBB238_4
; %bb.1:
	s_load_dwordx2 s[0:1], s[4:5], 0x50
	s_andn2_b64 vcc, exec, s[10:11]
	s_cbranch_vccz .LBB238_5
.LBB238_2:
	s_and_b64 vcc, exec, s[2:3]
	s_cbranch_vccz .LBB238_6
.LBB238_3:
	s_waitcnt lgkmcnt(0)
	s_load_dword s20, s[0:1], 0x0
	s_cbranch_execz .LBB238_7
	s_branch .LBB238_8
.LBB238_4:
	s_load_dword s15, s[8:9], 0x0
	s_load_dwordx2 s[0:1], s[4:5], 0x50
	s_cbranch_execnz .LBB238_2
.LBB238_5:
	s_waitcnt lgkmcnt(0)
	s_mov_b32 s15, s8
	s_and_b64 vcc, exec, s[2:3]
	s_cbranch_vccnz .LBB238_3
.LBB238_6:
                                        ; implicit-def: $sgpr20
.LBB238_7:
	s_waitcnt lgkmcnt(0)
	s_mov_b32 s20, s0
.LBB238_8:
	s_waitcnt lgkmcnt(0)
	s_cmp_lg_u32 s15, 0
	s_cselect_b64 s[0:1], -1, 0
	s_cmp_lg_u32 s20, 1
	s_cselect_b64 s[2:3], -1, 0
	s_or_b64 s[0:1], s[0:1], s[2:3]
	s_andn2_b64 vcc, exec, s[0:1]
	s_mov_b32 s7, 0
	s_cbranch_vccnz .LBB238_44
; %bb.9:
	s_load_dwordx4 s[0:3], s[4:5], 0x20
	s_load_dwordx2 s[8:9], s[4:5], 0x30
	s_waitcnt lgkmcnt(0)
	s_cmp_eq_u64 s[0:1], 0
	s_cbranch_scc1 .LBB238_11
; %bb.10:
	s_lshl_b64 s[6:7], s[6:7], 3
	s_add_u32 s0, s0, s6
	s_addc_u32 s1, s1, s7
	s_load_dwordx2 s[0:1], s[0:1], 0x0
	s_waitcnt lgkmcnt(0)
	s_sub_u32 s6, s0, s14
	s_subb_u32 s7, s1, 0
.LBB238_11:
	s_load_dword s10, s[4:5], 0x8
	s_load_dwordx2 s[12:13], s[4:5], 0x58
	v_mul_u32_u24_e32 v1, 0x843, v0
	v_mov_b32_e32 v2, 31
	v_mul_lo_u16_sdwa v2, v1, v2 dst_sel:DWORD dst_unused:UNUSED_PAD src0_sel:WORD_1 src1_sel:DWORD
	s_waitcnt lgkmcnt(0)
	s_cmp_eq_u32 s10, 1
	s_cselect_b64 s[0:1], -1, 0
	s_cmp_lg_u32 s10, 1
	s_cselect_b64 s[16:17], -1, 0
	s_lshl_b64 s[10:11], s[6:7], 3
	s_add_u32 s22, s2, s10
	s_addc_u32 s23, s3, s11
	s_add_u32 s2, s22, 8
	s_addc_u32 s3, s23, 0
	;; [unrolled: 2-line block ×3, first 2 shown]
	s_cmp_eq_u64 s[8:9], 0
	s_cselect_b32 s9, s3, s11
	s_cselect_b32 s8, s2, s10
	s_load_dwordx2 s[2:3], s[8:9], 0x0
	s_load_dwordx2 s[18:19], s[22:23], 0x0
	v_sub_u16_e32 v10, v0, v2
	v_mov_b32_e32 v9, 0
	s_waitcnt lgkmcnt(0)
	v_mov_b32_e32 v2, s2
	v_mov_b32_e32 v3, s3
	v_cmp_ge_i64_e32 vcc, s[18:19], v[2:3]
	s_cbranch_vccnz .LBB238_16
; %bb.12:
	s_load_dwordx4 s[8:11], s[4:5], 0x38
	s_load_dwordx2 s[22:23], s[4:5], 0x48
	s_mov_b32 s4, 0xffff
	s_sub_u32 s2, s2, s14
	s_movk_i32 s5, 0x3c1
	v_and_b32_sdwa v1, s4, v1 dst_sel:DWORD dst_unused:UNUSED_PAD src0_sel:DWORD src1_sel:WORD_1
	s_subb_u32 s3, s3, 0
	v_subrev_u32_e32 v2, 31, v1
	v_cmp_gt_u32_e32 vcc, s5, v0
	s_sub_u32 s4, s18, s14
	v_cndmask_b32_e32 v1, v2, v1, vcc
	s_subb_u32 s5, s19, 0
	v_cndmask_b32_e64 v1, v10, v1, s[0:1]
	s_mul_i32 s0, s5, 0x3c1
	s_mul_hi_u32 s1, s4, 0x3c1
	s_add_i32 s1, s1, s0
	s_mul_i32 s0, s4, 0x3c1
	s_waitcnt lgkmcnt(0)
	v_mov_b32_e32 v2, s23
	v_add_co_u32_e32 v1, vcc, s22, v1
	s_add_u32 s0, s10, s0
	v_addc_co_u32_e32 v2, vcc, 0, v2, vcc
	s_addc_u32 s1, s11, s1
	v_mov_b32_e32 v4, s1
	v_add_co_u32_e32 v3, vcc, s0, v0
	v_addc_co_u32_e32 v4, vcc, 0, v4, vcc
	s_movk_i32 s0, 0x3c0
	v_cmp_lt_u32_e32 vcc, s0, v0
	v_cndmask_b32_e64 v11, 0, 1, vcc
	v_mov_b32_e32 v5, s19
	v_add_co_u32_e32 v6, vcc, s18, v11
	v_addc_co_u32_e32 v7, vcc, 0, v5, vcc
	v_subrev_co_u32_e32 v5, vcc, s14, v6
	v_subbrev_co_u32_e32 v6, vcc, 0, v7, vcc
	v_lshlrev_b64 v[5:6], 3, v[5:6]
	v_mov_b32_e32 v7, s9
	v_add_co_u32_e32 v5, vcc, s8, v5
	v_addc_co_u32_e32 v6, vcc, v7, v6, vcc
	v_mov_b32_e32 v8, s3
	v_mov_b32_e32 v9, 0
	;; [unrolled: 1-line block ×3, first 2 shown]
	s_branch .LBB238_14
.LBB238_13:                             ;   in Loop: Header=BB238_14 Depth=1
	s_or_b64 exec, exec, s[0:1]
	s_add_u32 s4, s4, 1
	s_addc_u32 s5, s5, 0
	v_cmp_lt_i64_e32 vcc, s[4:5], v[7:8]
	v_add_co_u32_e64 v5, s[0:1], 8, v5
	v_addc_co_u32_e64 v6, s[0:1], 0, v6, s[0:1]
	s_cbranch_vccz .LBB238_16
.LBB238_14:                             ; =>This Inner Loop Header: Depth=1
	v_mov_b32_e32 v13, s5
	v_add_co_u32_e32 v12, vcc, s4, v11
	v_addc_co_u32_e32 v13, vcc, 0, v13, vcc
	v_cmp_gt_i64_e32 vcc, s[2:3], v[12:13]
	s_and_saveexec_b64 s[0:1], vcc
	s_cbranch_execz .LBB238_13
; %bb.15:                               ;   in Loop: Header=BB238_14 Depth=1
	global_load_dwordx2 v[12:13], v[5:6], off
	s_waitcnt vmcnt(0)
	v_subrev_co_u32_e32 v12, vcc, s14, v12
	v_subbrev_co_u32_e32 v14, vcc, 0, v13, vcc
	v_mad_u64_u32 v[12:13], s[8:9], v12, 31, v[1:2]
	v_mad_u64_u32 v[13:14], s[8:9], v14, 31, v[13:14]
	global_load_sbyte v14, v[3:4], off
	s_nop 0
	global_load_sbyte v12, v[12:13], off
	v_add_co_u32_e32 v3, vcc, 0x3c1, v3
	v_addc_co_u32_e32 v4, vcc, 0, v4, vcc
	s_waitcnt vmcnt(0)
	v_mad_i32_i24 v9, v12, v14, v9
	s_branch .LBB238_13
.LBB238_16:
	v_lshlrev_b32_e32 v1, 2, v0
	s_and_b64 vcc, exec, s[16:17]
	ds_write_b32 v1, v9
	s_waitcnt lgkmcnt(0)
	s_barrier
	s_cbranch_vccz .LBB238_28
; %bb.17:
	v_cmp_gt_u16_e32 vcc, 15, v10
	s_and_saveexec_b64 s[0:1], vcc
	s_cbranch_execz .LBB238_19
; %bb.18:
	ds_read2_b32 v[2:3], v1 offset1:16
	s_waitcnt lgkmcnt(0)
	v_add_u32_e32 v2, v2, v3
	ds_write_b32 v1, v2
.LBB238_19:
	s_or_b64 exec, exec, s[0:1]
	v_cmp_gt_u16_e32 vcc, 8, v10
	s_waitcnt lgkmcnt(0)
	s_barrier
	s_and_saveexec_b64 s[0:1], vcc
	s_cbranch_execz .LBB238_21
; %bb.20:
	ds_read2_b32 v[2:3], v1 offset1:8
	s_waitcnt lgkmcnt(0)
	v_add_u32_e32 v2, v2, v3
	ds_write_b32 v1, v2
.LBB238_21:
	s_or_b64 exec, exec, s[0:1]
	v_cmp_gt_u16_e32 vcc, 4, v10
	s_waitcnt lgkmcnt(0)
	s_barrier
	s_and_saveexec_b64 s[0:1], vcc
	s_cbranch_execz .LBB238_23
; %bb.22:
	ds_read2_b32 v[2:3], v1 offset1:4
	s_waitcnt lgkmcnt(0)
	v_add_u32_e32 v2, v2, v3
	ds_write_b32 v1, v2
.LBB238_23:
	s_or_b64 exec, exec, s[0:1]
	v_cmp_gt_u16_e32 vcc, 2, v10
	s_waitcnt lgkmcnt(0)
	s_barrier
	s_and_saveexec_b64 s[0:1], vcc
	s_cbranch_execz .LBB238_25
; %bb.24:
	ds_read2_b32 v[2:3], v1 offset1:2
	s_waitcnt lgkmcnt(0)
	v_add_u32_e32 v2, v2, v3
	ds_write_b32 v1, v2
.LBB238_25:
	s_or_b64 exec, exec, s[0:1]
	v_cmp_gt_u32_e32 vcc, 31, v0
	v_mov_b32_e32 v2, v9
	s_waitcnt lgkmcnt(0)
	s_barrier
	s_and_saveexec_b64 s[0:1], vcc
	s_cbranch_execz .LBB238_27
; %bb.26:
	s_movk_i32 s2, 0x78
	v_mad_u32_u24 v2, v0, s2, v1
	ds_read2_b32 v[2:3], v2 offset1:1
	s_waitcnt lgkmcnt(0)
	v_add_u32_e32 v2, v3, v2
.LBB238_27:
	s_or_b64 exec, exec, s[0:1]
	s_branch .LBB238_40
.LBB238_28:
                                        ; implicit-def: $vgpr2
	s_cbranch_execz .LBB238_40
; %bb.29:
	s_movk_i32 s0, 0x1d1
	v_cmp_gt_u32_e32 vcc, s0, v0
	s_and_saveexec_b64 s[0:1], vcc
	s_cbranch_execz .LBB238_31
; %bb.30:
	ds_read_b32 v2, v1 offset:1984
	ds_read_b32 v3, v1
	s_waitcnt lgkmcnt(0)
	v_add_u32_e32 v2, v3, v2
	ds_write_b32 v1, v2
.LBB238_31:
	s_or_b64 exec, exec, s[0:1]
	s_movk_i32 s0, 0xf8
	v_cmp_gt_u32_e32 vcc, s0, v0
	s_waitcnt lgkmcnt(0)
	s_barrier
	s_and_saveexec_b64 s[0:1], vcc
	s_cbranch_execz .LBB238_33
; %bb.32:
	ds_read2_b32 v[2:3], v1 offset1:248
	s_waitcnt lgkmcnt(0)
	v_add_u32_e32 v2, v2, v3
	ds_write_b32 v1, v2
.LBB238_33:
	s_or_b64 exec, exec, s[0:1]
	s_movk_i32 s0, 0x7c
	v_cmp_gt_u32_e32 vcc, s0, v0
	s_waitcnt lgkmcnt(0)
	s_barrier
	s_and_saveexec_b64 s[0:1], vcc
	s_cbranch_execz .LBB238_35
; %bb.34:
	ds_read2_b32 v[2:3], v1 offset1:124
	s_waitcnt lgkmcnt(0)
	v_add_u32_e32 v2, v2, v3
	ds_write_b32 v1, v2
.LBB238_35:
	s_or_b64 exec, exec, s[0:1]
	v_cmp_gt_u32_e32 vcc, 62, v0
	s_waitcnt lgkmcnt(0)
	s_barrier
	s_and_saveexec_b64 s[0:1], vcc
	s_cbranch_execz .LBB238_37
; %bb.36:
	ds_read2_b32 v[2:3], v1 offset1:62
	s_waitcnt lgkmcnt(0)
	v_add_u32_e32 v2, v2, v3
	ds_write_b32 v1, v2
.LBB238_37:
	s_or_b64 exec, exec, s[0:1]
	v_cmp_gt_u32_e32 vcc, 31, v0
	s_waitcnt lgkmcnt(0)
	s_and_saveexec_b64 s[0:1], vcc
	s_cbranch_execz .LBB238_39
; %bb.38:
	ds_read2_b32 v[2:3], v1 offset1:31
	s_waitcnt lgkmcnt(0)
	v_add_u32_e32 v9, v3, v2
.LBB238_39:
	s_or_b64 exec, exec, s[0:1]
	v_mov_b32_e32 v2, v9
.LBB238_40:
	v_cmp_gt_u32_e32 vcc, 31, v0
	s_and_saveexec_b64 s[0:1], vcc
	s_cbranch_execz .LBB238_44
; %bb.41:
	v_mul_lo_u32 v0, v2, s15
	s_cmp_eq_u32 s20, 0
	s_mul_i32 s2, s7, 0x7c
	s_mul_hi_u32 s3, s6, 0x7c
	s_mul_i32 s4, s6, 0x7c
	s_cbranch_scc1 .LBB238_45
; %bb.42:
	s_add_i32 s1, s3, s2
	s_add_u32 s0, s12, s4
	s_addc_u32 s1, s13, s1
	global_load_dword v2, v1, s[0:1]
	s_waitcnt vmcnt(0)
	v_mad_u64_u32 v[2:3], s[6:7], v2, s20, v[0:1]
	global_store_dword v1, v2, s[0:1]
	s_cbranch_execnz .LBB238_44
.LBB238_43:
	s_add_i32 s3, s3, s2
	s_add_u32 s0, s12, s4
	s_addc_u32 s1, s13, s3
	global_store_dword v1, v0, s[0:1]
.LBB238_44:
	s_endpgm
.LBB238_45:
	s_branch .LBB238_43
	.section	.rodata,"a",@progbits
	.p2align	6, 0x0
	.amdhsa_kernel _ZN9rocsparseL20bsrxmvn_17_32_kernelILj31EillaaiEEvT2_20rocsparse_direction_NS_24const_host_device_scalarIT0_EES1_PKS1_PKT1_SA_S7_PKT3_PKT4_S5_PT5_21rocsparse_index_base_b
		.amdhsa_group_segment_fixed_size 3844
		.amdhsa_private_segment_fixed_size 0
		.amdhsa_kernarg_size 104
		.amdhsa_user_sgpr_count 6
		.amdhsa_user_sgpr_private_segment_buffer 1
		.amdhsa_user_sgpr_dispatch_ptr 0
		.amdhsa_user_sgpr_queue_ptr 0
		.amdhsa_user_sgpr_kernarg_segment_ptr 1
		.amdhsa_user_sgpr_dispatch_id 0
		.amdhsa_user_sgpr_flat_scratch_init 0
		.amdhsa_user_sgpr_private_segment_size 0
		.amdhsa_uses_dynamic_stack 0
		.amdhsa_system_sgpr_private_segment_wavefront_offset 0
		.amdhsa_system_sgpr_workgroup_id_x 1
		.amdhsa_system_sgpr_workgroup_id_y 0
		.amdhsa_system_sgpr_workgroup_id_z 0
		.amdhsa_system_sgpr_workgroup_info 0
		.amdhsa_system_vgpr_workitem_id 0
		.amdhsa_next_free_vgpr 29
		.amdhsa_next_free_sgpr 61
		.amdhsa_reserve_vcc 1
		.amdhsa_reserve_flat_scratch 0
		.amdhsa_float_round_mode_32 0
		.amdhsa_float_round_mode_16_64 0
		.amdhsa_float_denorm_mode_32 3
		.amdhsa_float_denorm_mode_16_64 3
		.amdhsa_dx10_clamp 1
		.amdhsa_ieee_mode 1
		.amdhsa_fp16_overflow 0
		.amdhsa_exception_fp_ieee_invalid_op 0
		.amdhsa_exception_fp_denorm_src 0
		.amdhsa_exception_fp_ieee_div_zero 0
		.amdhsa_exception_fp_ieee_overflow 0
		.amdhsa_exception_fp_ieee_underflow 0
		.amdhsa_exception_fp_ieee_inexact 0
		.amdhsa_exception_int_div_zero 0
	.end_amdhsa_kernel
	.section	.text._ZN9rocsparseL20bsrxmvn_17_32_kernelILj31EillaaiEEvT2_20rocsparse_direction_NS_24const_host_device_scalarIT0_EES1_PKS1_PKT1_SA_S7_PKT3_PKT4_S5_PT5_21rocsparse_index_base_b,"axG",@progbits,_ZN9rocsparseL20bsrxmvn_17_32_kernelILj31EillaaiEEvT2_20rocsparse_direction_NS_24const_host_device_scalarIT0_EES1_PKS1_PKT1_SA_S7_PKT3_PKT4_S5_PT5_21rocsparse_index_base_b,comdat
.Lfunc_end238:
	.size	_ZN9rocsparseL20bsrxmvn_17_32_kernelILj31EillaaiEEvT2_20rocsparse_direction_NS_24const_host_device_scalarIT0_EES1_PKS1_PKT1_SA_S7_PKT3_PKT4_S5_PT5_21rocsparse_index_base_b, .Lfunc_end238-_ZN9rocsparseL20bsrxmvn_17_32_kernelILj31EillaaiEEvT2_20rocsparse_direction_NS_24const_host_device_scalarIT0_EES1_PKS1_PKT1_SA_S7_PKT3_PKT4_S5_PT5_21rocsparse_index_base_b
                                        ; -- End function
	.set _ZN9rocsparseL20bsrxmvn_17_32_kernelILj31EillaaiEEvT2_20rocsparse_direction_NS_24const_host_device_scalarIT0_EES1_PKS1_PKT1_SA_S7_PKT3_PKT4_S5_PT5_21rocsparse_index_base_b.num_vgpr, 15
	.set _ZN9rocsparseL20bsrxmvn_17_32_kernelILj31EillaaiEEvT2_20rocsparse_direction_NS_24const_host_device_scalarIT0_EES1_PKS1_PKT1_SA_S7_PKT3_PKT4_S5_PT5_21rocsparse_index_base_b.num_agpr, 0
	.set _ZN9rocsparseL20bsrxmvn_17_32_kernelILj31EillaaiEEvT2_20rocsparse_direction_NS_24const_host_device_scalarIT0_EES1_PKS1_PKT1_SA_S7_PKT3_PKT4_S5_PT5_21rocsparse_index_base_b.numbered_sgpr, 24
	.set _ZN9rocsparseL20bsrxmvn_17_32_kernelILj31EillaaiEEvT2_20rocsparse_direction_NS_24const_host_device_scalarIT0_EES1_PKS1_PKT1_SA_S7_PKT3_PKT4_S5_PT5_21rocsparse_index_base_b.num_named_barrier, 0
	.set _ZN9rocsparseL20bsrxmvn_17_32_kernelILj31EillaaiEEvT2_20rocsparse_direction_NS_24const_host_device_scalarIT0_EES1_PKS1_PKT1_SA_S7_PKT3_PKT4_S5_PT5_21rocsparse_index_base_b.private_seg_size, 0
	.set _ZN9rocsparseL20bsrxmvn_17_32_kernelILj31EillaaiEEvT2_20rocsparse_direction_NS_24const_host_device_scalarIT0_EES1_PKS1_PKT1_SA_S7_PKT3_PKT4_S5_PT5_21rocsparse_index_base_b.uses_vcc, 1
	.set _ZN9rocsparseL20bsrxmvn_17_32_kernelILj31EillaaiEEvT2_20rocsparse_direction_NS_24const_host_device_scalarIT0_EES1_PKS1_PKT1_SA_S7_PKT3_PKT4_S5_PT5_21rocsparse_index_base_b.uses_flat_scratch, 0
	.set _ZN9rocsparseL20bsrxmvn_17_32_kernelILj31EillaaiEEvT2_20rocsparse_direction_NS_24const_host_device_scalarIT0_EES1_PKS1_PKT1_SA_S7_PKT3_PKT4_S5_PT5_21rocsparse_index_base_b.has_dyn_sized_stack, 0
	.set _ZN9rocsparseL20bsrxmvn_17_32_kernelILj31EillaaiEEvT2_20rocsparse_direction_NS_24const_host_device_scalarIT0_EES1_PKS1_PKT1_SA_S7_PKT3_PKT4_S5_PT5_21rocsparse_index_base_b.has_recursion, 0
	.set _ZN9rocsparseL20bsrxmvn_17_32_kernelILj31EillaaiEEvT2_20rocsparse_direction_NS_24const_host_device_scalarIT0_EES1_PKS1_PKT1_SA_S7_PKT3_PKT4_S5_PT5_21rocsparse_index_base_b.has_indirect_call, 0
	.section	.AMDGPU.csdata,"",@progbits
; Kernel info:
; codeLenInByte = 1364
; TotalNumSgprs: 28
; NumVgprs: 15
; ScratchSize: 0
; MemoryBound: 0
; FloatMode: 240
; IeeeMode: 1
; LDSByteSize: 3844 bytes/workgroup (compile time only)
; SGPRBlocks: 8
; VGPRBlocks: 7
; NumSGPRsForWavesPerEU: 65
; NumVGPRsForWavesPerEU: 29
; Occupancy: 8
; WaveLimiterHint : 1
; COMPUTE_PGM_RSRC2:SCRATCH_EN: 0
; COMPUTE_PGM_RSRC2:USER_SGPR: 6
; COMPUTE_PGM_RSRC2:TRAP_HANDLER: 0
; COMPUTE_PGM_RSRC2:TGID_X_EN: 1
; COMPUTE_PGM_RSRC2:TGID_Y_EN: 0
; COMPUTE_PGM_RSRC2:TGID_Z_EN: 0
; COMPUTE_PGM_RSRC2:TIDIG_COMP_CNT: 0
	.section	.text._ZN9rocsparseL20bsrxmvn_17_32_kernelILj32EillaaiEEvT2_20rocsparse_direction_NS_24const_host_device_scalarIT0_EES1_PKS1_PKT1_SA_S7_PKT3_PKT4_S5_PT5_21rocsparse_index_base_b,"axG",@progbits,_ZN9rocsparseL20bsrxmvn_17_32_kernelILj32EillaaiEEvT2_20rocsparse_direction_NS_24const_host_device_scalarIT0_EES1_PKS1_PKT1_SA_S7_PKT3_PKT4_S5_PT5_21rocsparse_index_base_b,comdat
	.globl	_ZN9rocsparseL20bsrxmvn_17_32_kernelILj32EillaaiEEvT2_20rocsparse_direction_NS_24const_host_device_scalarIT0_EES1_PKS1_PKT1_SA_S7_PKT3_PKT4_S5_PT5_21rocsparse_index_base_b ; -- Begin function _ZN9rocsparseL20bsrxmvn_17_32_kernelILj32EillaaiEEvT2_20rocsparse_direction_NS_24const_host_device_scalarIT0_EES1_PKS1_PKT1_SA_S7_PKT3_PKT4_S5_PT5_21rocsparse_index_base_b
	.p2align	8
	.type	_ZN9rocsparseL20bsrxmvn_17_32_kernelILj32EillaaiEEvT2_20rocsparse_direction_NS_24const_host_device_scalarIT0_EES1_PKS1_PKT1_SA_S7_PKT3_PKT4_S5_PT5_21rocsparse_index_base_b,@function
_ZN9rocsparseL20bsrxmvn_17_32_kernelILj32EillaaiEEvT2_20rocsparse_direction_NS_24const_host_device_scalarIT0_EES1_PKS1_PKT1_SA_S7_PKT3_PKT4_S5_PT5_21rocsparse_index_base_b: ; @_ZN9rocsparseL20bsrxmvn_17_32_kernelILj32EillaaiEEvT2_20rocsparse_direction_NS_24const_host_device_scalarIT0_EES1_PKS1_PKT1_SA_S7_PKT3_PKT4_S5_PT5_21rocsparse_index_base_b
; %bb.0:
	s_load_dwordx2 s[8:9], s[4:5], 0x60
	s_load_dwordx2 s[10:11], s[4:5], 0x10
	s_mov_b64 s[12:13], -1
                                        ; implicit-def: $sgpr16
	s_waitcnt lgkmcnt(0)
	s_bitcmp1_b32 s9, 0
	s_cselect_b64 s[0:1], -1, 0
	s_xor_b64 s[2:3], s[0:1], -1
	s_and_b64 vcc, exec, s[2:3]
	s_cbranch_vccnz .LBB239_4
; %bb.1:
	s_load_dwordx2 s[0:1], s[4:5], 0x50
	s_andn2_b64 vcc, exec, s[12:13]
	s_cbranch_vccz .LBB239_5
.LBB239_2:
	s_and_b64 vcc, exec, s[2:3]
	s_cbranch_vccz .LBB239_6
.LBB239_3:
	s_waitcnt lgkmcnt(0)
	s_load_dword s17, s[0:1], 0x0
	s_cbranch_execz .LBB239_7
	s_branch .LBB239_8
.LBB239_4:
	s_load_dword s16, s[10:11], 0x0
	s_load_dwordx2 s[0:1], s[4:5], 0x50
	s_cbranch_execnz .LBB239_2
.LBB239_5:
	s_waitcnt lgkmcnt(0)
	s_mov_b32 s16, s10
	s_and_b64 vcc, exec, s[2:3]
	s_cbranch_vccnz .LBB239_3
.LBB239_6:
                                        ; implicit-def: $sgpr17
.LBB239_7:
	s_waitcnt lgkmcnt(0)
	s_mov_b32 s17, s0
.LBB239_8:
	s_waitcnt lgkmcnt(0)
	s_cmp_lg_u32 s16, 0
	s_cselect_b64 s[0:1], -1, 0
	s_cmp_lg_u32 s17, 1
	s_cselect_b64 s[2:3], -1, 0
	s_or_b64 s[0:1], s[0:1], s[2:3]
	s_andn2_b64 vcc, exec, s[0:1]
	s_mov_b32 s7, 0
	s_cbranch_vccnz .LBB239_42
; %bb.9:
	s_load_dwordx4 s[0:3], s[4:5], 0x20
	s_load_dwordx2 s[12:13], s[4:5], 0x30
	s_mov_b32 s9, s7
	s_waitcnt lgkmcnt(0)
	s_cmp_eq_u64 s[0:1], 0
	s_cbranch_scc1 .LBB239_11
; %bb.10:
	s_lshl_b64 s[6:7], s[6:7], 3
	s_add_u32 s0, s0, s6
	s_addc_u32 s1, s1, s7
	s_load_dwordx2 s[0:1], s[0:1], 0x0
	s_waitcnt lgkmcnt(0)
	s_sub_u32 s6, s0, s8
	s_subb_u32 s7, s1, 0
.LBB239_11:
	s_load_dword s10, s[4:5], 0x8
	v_and_b32_e32 v6, 31, v0
	v_mov_b32_e32 v5, 0
	s_waitcnt lgkmcnt(0)
	s_cmp_eq_u32 s10, 1
	s_cselect_b64 s[0:1], -1, 0
	s_cmp_lg_u32 s10, 1
	s_cselect_b64 s[10:11], -1, 0
	s_lshl_b64 s[14:15], s[6:7], 3
	s_add_u32 s18, s2, s14
	s_addc_u32 s19, s3, s15
	s_add_u32 s2, s18, 8
	s_addc_u32 s3, s19, 0
	;; [unrolled: 2-line block ×3, first 2 shown]
	s_cmp_eq_u64 s[12:13], 0
	s_cselect_b32 s21, s3, s15
	s_cselect_b32 s20, s2, s14
	s_load_dwordx2 s[14:15], s[20:21], 0x0
	s_load_dwordx2 s[12:13], s[18:19], 0x0
	;; [unrolled: 1-line block ×3, first 2 shown]
	s_waitcnt lgkmcnt(0)
	v_mov_b32_e32 v1, s14
	v_mov_b32_e32 v2, s15
	v_cmp_ge_i64_e32 vcc, s[12:13], v[1:2]
	s_cbranch_vccnz .LBB239_14
; %bb.12:
	s_load_dwordx4 s[20:23], s[4:5], 0x38
	s_load_dwordx2 s[18:19], s[4:5], 0x48
	s_sub_u32 s14, s14, s8
	v_lshrrev_b32_e32 v1, 5, v0
	s_subb_u32 s15, s15, 0
	v_cndmask_b32_e64 v1, v6, v1, s[0:1]
	s_sub_u32 s0, s12, s8
	s_subb_u32 s1, s13, 0
	s_lshl_b64 s[4:5], s[0:1], 10
	s_waitcnt lgkmcnt(0)
	v_mov_b32_e32 v2, s19
	v_add_co_u32_e32 v7, vcc, s18, v1
	s_add_u32 s4, s22, s4
	v_addc_co_u32_e32 v8, vcc, 0, v2, vcc
	s_addc_u32 s5, s23, s5
	v_mov_b32_e32 v2, s5
	v_add_co_u32_e32 v1, vcc, s4, v0
	s_lshl_b64 s[4:5], s[12:13], 3
	s_lshl_b64 s[12:13], s[8:9], 3
	s_sub_u32 s4, s4, s12
	s_subb_u32 s5, s5, s13
	s_add_u32 s4, s20, s4
	v_mov_b32_e32 v3, s14
	v_mov_b32_e32 v5, 0
	v_addc_co_u32_e32 v2, vcc, 0, v2, vcc
	s_addc_u32 s5, s21, s5
	v_mov_b32_e32 v4, s15
.LBB239_13:                             ; =>This Inner Loop Header: Depth=1
	s_load_dwordx2 s[12:13], s[4:5], 0x0
	global_load_sbyte v11, v[1:2], off
	s_waitcnt lgkmcnt(0)
	s_sub_u32 s12, s12, s8
	s_subb_u32 s13, s13, 0
	s_lshl_b64 s[12:13], s[12:13], 5
	v_mov_b32_e32 v10, s13
	v_add_co_u32_e32 v9, vcc, s12, v7
	v_addc_co_u32_e32 v10, vcc, v8, v10, vcc
	global_load_sbyte v9, v[9:10], off
	v_add_co_u32_e32 v1, vcc, 0x400, v1
	s_add_u32 s0, s0, 1
	v_addc_co_u32_e32 v2, vcc, 0, v2, vcc
	s_addc_u32 s1, s1, 0
	v_cmp_lt_i64_e32 vcc, s[0:1], v[3:4]
	s_add_u32 s4, s4, 8
	s_addc_u32 s5, s5, 0
	s_waitcnt vmcnt(0)
	v_mad_i32_i24 v5, v9, v11, v5
	s_cbranch_vccnz .LBB239_13
.LBB239_14:
	v_lshlrev_b32_e32 v1, 2, v0
	s_and_b64 vcc, exec, s[10:11]
	ds_write_b32 v1, v5
	s_waitcnt lgkmcnt(0)
	s_barrier
	s_cbranch_vccz .LBB239_26
; %bb.15:
	v_cmp_gt_u32_e32 vcc, 16, v6
	s_and_saveexec_b64 s[0:1], vcc
	s_cbranch_execz .LBB239_17
; %bb.16:
	ds_read2_b32 v[2:3], v1 offset1:16
	s_waitcnt lgkmcnt(0)
	v_add_u32_e32 v2, v2, v3
	ds_write_b32 v1, v2
.LBB239_17:
	s_or_b64 exec, exec, s[0:1]
	v_cmp_gt_u32_e32 vcc, 8, v6
	s_waitcnt lgkmcnt(0)
	s_barrier
	s_and_saveexec_b64 s[0:1], vcc
	s_cbranch_execz .LBB239_19
; %bb.18:
	ds_read2_b32 v[2:3], v1 offset1:8
	s_waitcnt lgkmcnt(0)
	v_add_u32_e32 v2, v2, v3
	ds_write_b32 v1, v2
.LBB239_19:
	s_or_b64 exec, exec, s[0:1]
	v_cmp_gt_u32_e32 vcc, 4, v6
	s_waitcnt lgkmcnt(0)
	s_barrier
	;; [unrolled: 12-line block ×3, first 2 shown]
	s_and_saveexec_b64 s[0:1], vcc
	s_cbranch_execz .LBB239_23
; %bb.22:
	ds_read2_b32 v[2:3], v1 offset1:2
	s_waitcnt lgkmcnt(0)
	v_add_u32_e32 v2, v2, v3
	ds_write_b32 v1, v2
.LBB239_23:
	s_or_b64 exec, exec, s[0:1]
	v_cmp_gt_u32_e32 vcc, 32, v0
	v_mov_b32_e32 v2, v5
	s_waitcnt lgkmcnt(0)
	s_barrier
	s_and_saveexec_b64 s[0:1], vcc
	s_cbranch_execz .LBB239_25
; %bb.24:
	s_movk_i32 s4, 0x7c
	v_mad_u32_u24 v2, v0, s4, v1
	ds_read_b64 v[2:3], v2
	s_waitcnt lgkmcnt(0)
	v_add_u32_e32 v2, v3, v2
.LBB239_25:
	s_or_b64 exec, exec, s[0:1]
	s_branch .LBB239_38
.LBB239_26:
                                        ; implicit-def: $vgpr2
	s_cbranch_execz .LBB239_38
; %bb.27:
	s_movk_i32 s0, 0x200
	v_cmp_gt_u32_e32 vcc, s0, v0
	s_and_saveexec_b64 s[0:1], vcc
	s_cbranch_execz .LBB239_29
; %bb.28:
	ds_read2st64_b32 v[2:3], v1 offset1:8
	s_waitcnt lgkmcnt(0)
	v_add_u32_e32 v2, v2, v3
	ds_write_b32 v1, v2
.LBB239_29:
	s_or_b64 exec, exec, s[0:1]
	s_movk_i32 s0, 0x100
	v_cmp_gt_u32_e32 vcc, s0, v0
	s_waitcnt lgkmcnt(0)
	s_barrier
	s_and_saveexec_b64 s[0:1], vcc
	s_cbranch_execz .LBB239_31
; %bb.30:
	ds_read2st64_b32 v[2:3], v1 offset1:4
	s_waitcnt lgkmcnt(0)
	v_add_u32_e32 v2, v2, v3
	ds_write_b32 v1, v2
.LBB239_31:
	s_or_b64 exec, exec, s[0:1]
	s_movk_i32 s0, 0x80
	v_cmp_gt_u32_e32 vcc, s0, v0
	s_waitcnt lgkmcnt(0)
	s_barrier
	s_and_saveexec_b64 s[0:1], vcc
	s_cbranch_execz .LBB239_33
; %bb.32:
	ds_read2st64_b32 v[2:3], v1 offset1:2
	s_waitcnt lgkmcnt(0)
	v_add_u32_e32 v2, v2, v3
	ds_write_b32 v1, v2
.LBB239_33:
	s_or_b64 exec, exec, s[0:1]
	v_cmp_gt_u32_e32 vcc, 64, v0
	s_waitcnt lgkmcnt(0)
	s_barrier
	s_and_saveexec_b64 s[0:1], vcc
	s_cbranch_execz .LBB239_35
; %bb.34:
	ds_read2st64_b32 v[2:3], v1 offset1:1
	s_waitcnt lgkmcnt(0)
	v_add_u32_e32 v2, v2, v3
	ds_write_b32 v1, v2
.LBB239_35:
	s_or_b64 exec, exec, s[0:1]
	v_cmp_gt_u32_e32 vcc, 32, v0
	s_waitcnt lgkmcnt(0)
	s_and_saveexec_b64 s[0:1], vcc
	s_cbranch_execz .LBB239_37
; %bb.36:
	ds_read2_b32 v[2:3], v1 offset1:32
	s_waitcnt lgkmcnt(0)
	v_add_u32_e32 v5, v3, v2
.LBB239_37:
	s_or_b64 exec, exec, s[0:1]
	v_mov_b32_e32 v2, v5
.LBB239_38:
	v_cmp_gt_u32_e32 vcc, 32, v0
	s_and_saveexec_b64 s[0:1], vcc
	s_cbranch_execz .LBB239_42
; %bb.39:
	v_mul_lo_u32 v0, v2, s16
	s_cmp_eq_u32 s17, 0
	s_cbranch_scc1 .LBB239_43
; %bb.40:
	s_lshl_b64 s[0:1], s[6:7], 7
	s_add_u32 s0, s2, s0
	s_addc_u32 s1, s3, s1
	global_load_dword v2, v1, s[0:1]
	s_waitcnt vmcnt(0)
	v_mad_u64_u32 v[2:3], s[4:5], v2, s17, v[0:1]
	global_store_dword v1, v2, s[0:1]
	s_cbranch_execnz .LBB239_42
.LBB239_41:
	s_lshl_b64 s[0:1], s[6:7], 7
	s_add_u32 s0, s2, s0
	s_addc_u32 s1, s3, s1
	global_store_dword v1, v0, s[0:1]
.LBB239_42:
	s_endpgm
.LBB239_43:
	s_branch .LBB239_41
	.section	.rodata,"a",@progbits
	.p2align	6, 0x0
	.amdhsa_kernel _ZN9rocsparseL20bsrxmvn_17_32_kernelILj32EillaaiEEvT2_20rocsparse_direction_NS_24const_host_device_scalarIT0_EES1_PKS1_PKT1_SA_S7_PKT3_PKT4_S5_PT5_21rocsparse_index_base_b
		.amdhsa_group_segment_fixed_size 4096
		.amdhsa_private_segment_fixed_size 0
		.amdhsa_kernarg_size 104
		.amdhsa_user_sgpr_count 6
		.amdhsa_user_sgpr_private_segment_buffer 1
		.amdhsa_user_sgpr_dispatch_ptr 0
		.amdhsa_user_sgpr_queue_ptr 0
		.amdhsa_user_sgpr_kernarg_segment_ptr 1
		.amdhsa_user_sgpr_dispatch_id 0
		.amdhsa_user_sgpr_flat_scratch_init 0
		.amdhsa_user_sgpr_private_segment_size 0
		.amdhsa_uses_dynamic_stack 0
		.amdhsa_system_sgpr_private_segment_wavefront_offset 0
		.amdhsa_system_sgpr_workgroup_id_x 1
		.amdhsa_system_sgpr_workgroup_id_y 0
		.amdhsa_system_sgpr_workgroup_id_z 0
		.amdhsa_system_sgpr_workgroup_info 0
		.amdhsa_system_vgpr_workitem_id 0
		.amdhsa_next_free_vgpr 29
		.amdhsa_next_free_sgpr 61
		.amdhsa_reserve_vcc 1
		.amdhsa_reserve_flat_scratch 0
		.amdhsa_float_round_mode_32 0
		.amdhsa_float_round_mode_16_64 0
		.amdhsa_float_denorm_mode_32 3
		.amdhsa_float_denorm_mode_16_64 3
		.amdhsa_dx10_clamp 1
		.amdhsa_ieee_mode 1
		.amdhsa_fp16_overflow 0
		.amdhsa_exception_fp_ieee_invalid_op 0
		.amdhsa_exception_fp_denorm_src 0
		.amdhsa_exception_fp_ieee_div_zero 0
		.amdhsa_exception_fp_ieee_overflow 0
		.amdhsa_exception_fp_ieee_underflow 0
		.amdhsa_exception_fp_ieee_inexact 0
		.amdhsa_exception_int_div_zero 0
	.end_amdhsa_kernel
	.section	.text._ZN9rocsparseL20bsrxmvn_17_32_kernelILj32EillaaiEEvT2_20rocsparse_direction_NS_24const_host_device_scalarIT0_EES1_PKS1_PKT1_SA_S7_PKT3_PKT4_S5_PT5_21rocsparse_index_base_b,"axG",@progbits,_ZN9rocsparseL20bsrxmvn_17_32_kernelILj32EillaaiEEvT2_20rocsparse_direction_NS_24const_host_device_scalarIT0_EES1_PKS1_PKT1_SA_S7_PKT3_PKT4_S5_PT5_21rocsparse_index_base_b,comdat
.Lfunc_end239:
	.size	_ZN9rocsparseL20bsrxmvn_17_32_kernelILj32EillaaiEEvT2_20rocsparse_direction_NS_24const_host_device_scalarIT0_EES1_PKS1_PKT1_SA_S7_PKT3_PKT4_S5_PT5_21rocsparse_index_base_b, .Lfunc_end239-_ZN9rocsparseL20bsrxmvn_17_32_kernelILj32EillaaiEEvT2_20rocsparse_direction_NS_24const_host_device_scalarIT0_EES1_PKS1_PKT1_SA_S7_PKT3_PKT4_S5_PT5_21rocsparse_index_base_b
                                        ; -- End function
	.set _ZN9rocsparseL20bsrxmvn_17_32_kernelILj32EillaaiEEvT2_20rocsparse_direction_NS_24const_host_device_scalarIT0_EES1_PKS1_PKT1_SA_S7_PKT3_PKT4_S5_PT5_21rocsparse_index_base_b.num_vgpr, 12
	.set _ZN9rocsparseL20bsrxmvn_17_32_kernelILj32EillaaiEEvT2_20rocsparse_direction_NS_24const_host_device_scalarIT0_EES1_PKS1_PKT1_SA_S7_PKT3_PKT4_S5_PT5_21rocsparse_index_base_b.num_agpr, 0
	.set _ZN9rocsparseL20bsrxmvn_17_32_kernelILj32EillaaiEEvT2_20rocsparse_direction_NS_24const_host_device_scalarIT0_EES1_PKS1_PKT1_SA_S7_PKT3_PKT4_S5_PT5_21rocsparse_index_base_b.numbered_sgpr, 24
	.set _ZN9rocsparseL20bsrxmvn_17_32_kernelILj32EillaaiEEvT2_20rocsparse_direction_NS_24const_host_device_scalarIT0_EES1_PKS1_PKT1_SA_S7_PKT3_PKT4_S5_PT5_21rocsparse_index_base_b.num_named_barrier, 0
	.set _ZN9rocsparseL20bsrxmvn_17_32_kernelILj32EillaaiEEvT2_20rocsparse_direction_NS_24const_host_device_scalarIT0_EES1_PKS1_PKT1_SA_S7_PKT3_PKT4_S5_PT5_21rocsparse_index_base_b.private_seg_size, 0
	.set _ZN9rocsparseL20bsrxmvn_17_32_kernelILj32EillaaiEEvT2_20rocsparse_direction_NS_24const_host_device_scalarIT0_EES1_PKS1_PKT1_SA_S7_PKT3_PKT4_S5_PT5_21rocsparse_index_base_b.uses_vcc, 1
	.set _ZN9rocsparseL20bsrxmvn_17_32_kernelILj32EillaaiEEvT2_20rocsparse_direction_NS_24const_host_device_scalarIT0_EES1_PKS1_PKT1_SA_S7_PKT3_PKT4_S5_PT5_21rocsparse_index_base_b.uses_flat_scratch, 0
	.set _ZN9rocsparseL20bsrxmvn_17_32_kernelILj32EillaaiEEvT2_20rocsparse_direction_NS_24const_host_device_scalarIT0_EES1_PKS1_PKT1_SA_S7_PKT3_PKT4_S5_PT5_21rocsparse_index_base_b.has_dyn_sized_stack, 0
	.set _ZN9rocsparseL20bsrxmvn_17_32_kernelILj32EillaaiEEvT2_20rocsparse_direction_NS_24const_host_device_scalarIT0_EES1_PKS1_PKT1_SA_S7_PKT3_PKT4_S5_PT5_21rocsparse_index_base_b.has_recursion, 0
	.set _ZN9rocsparseL20bsrxmvn_17_32_kernelILj32EillaaiEEvT2_20rocsparse_direction_NS_24const_host_device_scalarIT0_EES1_PKS1_PKT1_SA_S7_PKT3_PKT4_S5_PT5_21rocsparse_index_base_b.has_indirect_call, 0
	.section	.AMDGPU.csdata,"",@progbits
; Kernel info:
; codeLenInByte = 1184
; TotalNumSgprs: 28
; NumVgprs: 12
; ScratchSize: 0
; MemoryBound: 0
; FloatMode: 240
; IeeeMode: 1
; LDSByteSize: 4096 bytes/workgroup (compile time only)
; SGPRBlocks: 8
; VGPRBlocks: 7
; NumSGPRsForWavesPerEU: 65
; NumVGPRsForWavesPerEU: 29
; Occupancy: 8
; WaveLimiterHint : 1
; COMPUTE_PGM_RSRC2:SCRATCH_EN: 0
; COMPUTE_PGM_RSRC2:USER_SGPR: 6
; COMPUTE_PGM_RSRC2:TRAP_HANDLER: 0
; COMPUTE_PGM_RSRC2:TGID_X_EN: 1
; COMPUTE_PGM_RSRC2:TGID_Y_EN: 0
; COMPUTE_PGM_RSRC2:TGID_Z_EN: 0
; COMPUTE_PGM_RSRC2:TIDIG_COMP_CNT: 0
	.section	.text._ZN9rocsparseL20bsrxmvn_17_32_kernelILj17EfiiaafEEvT2_20rocsparse_direction_NS_24const_host_device_scalarIT0_EES1_PKS1_PKT1_SA_S7_PKT3_PKT4_S5_PT5_21rocsparse_index_base_b,"axG",@progbits,_ZN9rocsparseL20bsrxmvn_17_32_kernelILj17EfiiaafEEvT2_20rocsparse_direction_NS_24const_host_device_scalarIT0_EES1_PKS1_PKT1_SA_S7_PKT3_PKT4_S5_PT5_21rocsparse_index_base_b,comdat
	.globl	_ZN9rocsparseL20bsrxmvn_17_32_kernelILj17EfiiaafEEvT2_20rocsparse_direction_NS_24const_host_device_scalarIT0_EES1_PKS1_PKT1_SA_S7_PKT3_PKT4_S5_PT5_21rocsparse_index_base_b ; -- Begin function _ZN9rocsparseL20bsrxmvn_17_32_kernelILj17EfiiaafEEvT2_20rocsparse_direction_NS_24const_host_device_scalarIT0_EES1_PKS1_PKT1_SA_S7_PKT3_PKT4_S5_PT5_21rocsparse_index_base_b
	.p2align	8
	.type	_ZN9rocsparseL20bsrxmvn_17_32_kernelILj17EfiiaafEEvT2_20rocsparse_direction_NS_24const_host_device_scalarIT0_EES1_PKS1_PKT1_SA_S7_PKT3_PKT4_S5_PT5_21rocsparse_index_base_b,@function
_ZN9rocsparseL20bsrxmvn_17_32_kernelILj17EfiiaafEEvT2_20rocsparse_direction_NS_24const_host_device_scalarIT0_EES1_PKS1_PKT1_SA_S7_PKT3_PKT4_S5_PT5_21rocsparse_index_base_b: ; @_ZN9rocsparseL20bsrxmvn_17_32_kernelILj17EfiiaafEEvT2_20rocsparse_direction_NS_24const_host_device_scalarIT0_EES1_PKS1_PKT1_SA_S7_PKT3_PKT4_S5_PT5_21rocsparse_index_base_b
; %bb.0:
	s_load_dwordx2 s[14:15], s[4:5], 0x58
	s_load_dwordx2 s[10:11], s[4:5], 0x8
	s_load_dwordx2 s[8:9], s[4:5], 0x48
	s_waitcnt lgkmcnt(0)
	s_bitcmp1_b32 s15, 0
	s_cselect_b64 s[2:3], -1, 0
	s_xor_b64 s[0:1], s[2:3], -1
	s_and_b64 vcc, exec, s[2:3]
	s_cbranch_vccnz .LBB240_2
; %bb.1:
	s_load_dword s10, s[10:11], 0x0
.LBB240_2:
	s_andn2_b64 vcc, exec, s[0:1]
	s_cbranch_vccnz .LBB240_4
; %bb.3:
	s_load_dword s8, s[8:9], 0x0
.LBB240_4:
	s_waitcnt lgkmcnt(0)
	v_cmp_neq_f32_e64 s[0:1], s10, 0
	v_cmp_neq_f32_e64 s[2:3], s8, 1.0
	s_or_b64 s[0:1], s[0:1], s[2:3]
	s_andn2_b64 vcc, exec, s[0:1]
	s_cbranch_vccnz .LBB240_40
; %bb.5:
	s_load_dwordx4 s[0:3], s[4:5], 0x18
	s_load_dwordx2 s[18:19], s[4:5], 0x28
	s_waitcnt lgkmcnt(0)
	s_cmp_eq_u64 s[0:1], 0
	s_cbranch_scc1 .LBB240_7
; %bb.6:
	s_ashr_i32 s7, s6, 31
	s_lshl_b64 s[6:7], s[6:7], 2
	s_add_u32 s0, s0, s6
	s_addc_u32 s1, s1, s7
	s_load_dword s0, s[0:1], 0x0
	s_waitcnt lgkmcnt(0)
	s_sub_i32 s6, s0, s14
.LBB240_7:
	s_load_dword s0, s[4:5], 0x4
	s_load_dwordx2 s[12:13], s[4:5], 0x50
	v_mul_u32_u24_e32 v1, 0xf10, v0
	v_mov_b32_e32 v2, 17
	v_mul_lo_u16_sdwa v2, v1, v2 dst_sel:DWORD dst_unused:UNUSED_PAD src0_sel:WORD_1 src1_sel:DWORD
	s_waitcnt lgkmcnt(0)
	s_cmp_eq_u32 s0, 1
	s_cselect_b64 vcc, -1, 0
	s_cmp_lg_u32 s0, 1
	s_cselect_b64 s[16:17], -1, 0
	s_ashr_i32 s7, s6, 31
	s_lshl_b64 s[0:1], s[6:7], 2
	s_add_u32 s2, s2, s0
	s_addc_u32 s3, s3, s1
	s_load_dword s7, s[2:3], 0x0
	s_add_u32 s2, s2, 4
	s_addc_u32 s3, s3, 0
	s_add_u32 s0, s18, s0
	s_addc_u32 s1, s19, s1
	s_cmp_eq_u64 s[18:19], 0
	s_cselect_b32 s1, s3, s1
	s_cselect_b32 s0, s2, s0
	s_load_dword s9, s[0:1], 0x0
	v_sub_u16_e32 v7, v0, v2
	v_mov_b32_e32 v6, 0
	s_waitcnt lgkmcnt(0)
	s_cmp_ge_i32 s7, s9
	s_cbranch_scc1 .LBB240_12
; %bb.8:
	s_load_dwordx4 s[0:3], s[4:5], 0x30
	s_load_dwordx2 s[18:19], s[4:5], 0x40
	v_mov_b32_e32 v2, 31
	v_mul_lo_u16_sdwa v2, v1, v2 dst_sel:DWORD dst_unused:UNUSED_PAD src0_sel:WORD_1 src1_sel:DWORD
	v_lshrrev_b16_e32 v2, 9, v2
	s_sub_i32 s5, s7, s14
	s_sub_i32 s4, s9, s14
	v_mul_lo_u16_e32 v2, 17, v2
	s_mul_i32 s9, s5, 0x121
	v_sub_u16_sdwa v1, v1, v2 dst_sel:DWORD dst_unused:UNUSED_PAD src0_sel:WORD_1 src1_sel:DWORD
	s_mul_hi_i32 s7, s5, 0x121
	s_waitcnt lgkmcnt(0)
	s_add_u32 s2, s2, s9
	v_and_b32_e32 v1, 0xff, v1
	s_addc_u32 s3, s3, s7
	v_cndmask_b32_e32 v1, v7, v1, vcc
	v_mov_b32_e32 v3, s3
	v_add_co_u32_e32 v2, vcc, s2, v0
	s_movk_i32 s2, 0xe3
	v_mov_b32_e32 v6, 0
	v_addc_co_u32_e32 v3, vcc, 0, v3, vcc
	v_mul_u32_u24_sdwa v8, v0, s2 dst_sel:DWORD dst_unused:UNUSED_PAD src0_sel:WORD_0 src1_sel:DWORD
	s_branch .LBB240_10
.LBB240_9:                              ;   in Loop: Header=BB240_10 Depth=1
	s_or_b64 exec, exec, s[2:3]
	s_add_i32 s5, s5, 1
	s_cmp_lt_i32 s5, s4
	s_cbranch_scc0 .LBB240_12
.LBB240_10:                             ; =>This Inner Loop Header: Depth=1
	v_add_u32_sdwa v4, v8, s5 dst_sel:DWORD dst_unused:UNUSED_PAD src0_sel:WORD_1 src1_sel:DWORD
	v_cmp_gt_i32_e32 vcc, s4, v4
	s_and_saveexec_b64 s[2:3], vcc
	s_cbranch_execz .LBB240_9
; %bb.11:                               ;   in Loop: Header=BB240_10 Depth=1
	v_ashrrev_i32_e32 v5, 31, v4
	v_lshlrev_b64 v[4:5], 2, v[4:5]
	v_mov_b32_e32 v9, s1
	v_add_co_u32_e32 v4, vcc, s0, v4
	v_addc_co_u32_e32 v5, vcc, v9, v5, vcc
	global_load_dword v4, v[4:5], off
	s_waitcnt vmcnt(0)
	v_subrev_u32_e32 v4, s14, v4
	v_mad_u64_u32 v[4:5], s[20:21], v4, 17, v[1:2]
	v_mov_b32_e32 v5, s19
	global_load_sbyte v9, v[2:3], off
	v_ashrrev_i32_e32 v10, 31, v4
	v_add_co_u32_e32 v4, vcc, s18, v4
	v_addc_co_u32_e32 v5, vcc, v5, v10, vcc
	global_load_sbyte v4, v[4:5], off
	v_add_co_u32_e32 v2, vcc, 0x121, v2
	v_addc_co_u32_e32 v3, vcc, 0, v3, vcc
	s_waitcnt vmcnt(1)
	v_cvt_f32_i32_e32 v5, v9
	s_waitcnt vmcnt(0)
	v_cvt_f32_i32_e32 v4, v4
	v_fmac_f32_e32 v6, v5, v4
	s_branch .LBB240_9
.LBB240_12:
	v_lshlrev_b32_e32 v1, 2, v0
	s_and_b64 vcc, exec, s[16:17]
	ds_write_b32 v1, v6
	s_waitcnt lgkmcnt(0)
	s_barrier
	s_cbranch_vccz .LBB240_24
; %bb.13:
	v_cmp_eq_u16_e32 vcc, 0, v7
	s_and_saveexec_b64 s[0:1], vcc
	s_cbranch_execz .LBB240_15
; %bb.14:
	ds_read2_b32 v[2:3], v1 offset1:16
	s_waitcnt lgkmcnt(0)
	v_add_f32_e32 v2, v3, v2
	ds_write_b32 v1, v2
.LBB240_15:
	s_or_b64 exec, exec, s[0:1]
	v_cmp_gt_u16_e32 vcc, 8, v7
	s_waitcnt lgkmcnt(0)
	s_barrier
	s_and_saveexec_b64 s[0:1], vcc
	s_cbranch_execz .LBB240_17
; %bb.16:
	ds_read2_b32 v[2:3], v1 offset1:8
	s_waitcnt lgkmcnt(0)
	v_add_f32_e32 v2, v3, v2
	ds_write_b32 v1, v2
.LBB240_17:
	s_or_b64 exec, exec, s[0:1]
	v_cmp_gt_u16_e32 vcc, 4, v7
	s_waitcnt lgkmcnt(0)
	s_barrier
	;; [unrolled: 12-line block ×3, first 2 shown]
	s_and_saveexec_b64 s[0:1], vcc
	s_cbranch_execz .LBB240_21
; %bb.20:
	ds_read2_b32 v[2:3], v1 offset1:2
	s_waitcnt lgkmcnt(0)
	v_add_f32_e32 v2, v3, v2
	ds_write_b32 v1, v2
.LBB240_21:
	s_or_b64 exec, exec, s[0:1]
	v_cmp_gt_u32_e32 vcc, 17, v0
	v_mov_b32_e32 v2, v6
	s_waitcnt lgkmcnt(0)
	s_barrier
	s_and_saveexec_b64 s[0:1], vcc
	s_cbranch_execz .LBB240_23
; %bb.22:
	v_lshl_add_u32 v2, v0, 6, v1
	ds_read2_b32 v[2:3], v2 offset1:1
	s_waitcnt lgkmcnt(0)
	v_add_f32_e32 v2, v2, v3
.LBB240_23:
	s_or_b64 exec, exec, s[0:1]
	v_cmp_gt_u32_e64 s[0:1], 17, v0
	s_branch .LBB240_36
.LBB240_24:
                                        ; implicit-def: $vgpr2
	v_cmp_gt_u32_e64 s[0:1], 17, v0
	s_cbranch_execz .LBB240_36
; %bb.25:
	s_and_saveexec_b64 s[2:3], s[0:1]
	s_cbranch_execz .LBB240_27
; %bb.26:
	ds_read_b32 v2, v1 offset:1088
	ds_read_b32 v3, v1
	s_waitcnt lgkmcnt(0)
	v_add_f32_e32 v2, v2, v3
	ds_write_b32 v1, v2
.LBB240_27:
	s_or_b64 exec, exec, s[2:3]
	s_movk_i32 s2, 0x88
	v_cmp_gt_u32_e32 vcc, s2, v0
	s_waitcnt lgkmcnt(0)
	s_barrier
	s_and_saveexec_b64 s[2:3], vcc
	s_cbranch_execz .LBB240_29
; %bb.28:
	ds_read2_b32 v[2:3], v1 offset1:136
	s_waitcnt lgkmcnt(0)
	v_add_f32_e32 v2, v3, v2
	ds_write_b32 v1, v2
.LBB240_29:
	s_or_b64 exec, exec, s[2:3]
	s_movk_i32 s2, 0x44
	v_cmp_gt_u32_e32 vcc, s2, v0
	s_waitcnt lgkmcnt(0)
	s_barrier
	s_and_saveexec_b64 s[2:3], vcc
	s_cbranch_execz .LBB240_31
; %bb.30:
	ds_read2_b32 v[2:3], v1 offset1:68
	s_waitcnt lgkmcnt(0)
	v_add_f32_e32 v2, v3, v2
	ds_write_b32 v1, v2
.LBB240_31:
	s_or_b64 exec, exec, s[2:3]
	v_cmp_gt_u32_e32 vcc, 34, v0
	s_waitcnt lgkmcnt(0)
	s_barrier
	s_and_saveexec_b64 s[2:3], vcc
	s_cbranch_execz .LBB240_33
; %bb.32:
	ds_read2_b32 v[2:3], v1 offset1:34
	s_waitcnt lgkmcnt(0)
	v_add_f32_e32 v2, v3, v2
	ds_write_b32 v1, v2
.LBB240_33:
	s_or_b64 exec, exec, s[2:3]
	s_waitcnt lgkmcnt(0)
	s_and_saveexec_b64 s[2:3], s[0:1]
	s_cbranch_execz .LBB240_35
; %bb.34:
	ds_read2_b32 v[1:2], v1 offset1:17
	s_waitcnt lgkmcnt(0)
	v_add_f32_e32 v6, v1, v2
.LBB240_35:
	s_or_b64 exec, exec, s[2:3]
	v_mov_b32_e32 v2, v6
.LBB240_36:
	v_cmp_gt_u32_e32 vcc, 17, v0
	s_and_saveexec_b64 s[0:1], vcc
	s_cbranch_execz .LBB240_40
; %bb.37:
	v_cmp_eq_f32_e64 s[0:1], s8, 0
	s_and_b64 vcc, exec, s[0:1]
	v_mul_f32_e32 v1, s10, v2
	s_cbranch_vccz .LBB240_41
; %bb.38:
	v_mad_u64_u32 v[2:3], s[0:1], s6, 17, v[0:1]
	v_mov_b32_e32 v3, 0
	v_mov_b32_e32 v4, s13
	v_lshlrev_b64 v[2:3], 2, v[2:3]
	v_add_co_u32_e32 v2, vcc, s12, v2
	v_addc_co_u32_e32 v3, vcc, v4, v3, vcc
	global_store_dword v[2:3], v1, off
	s_cbranch_execnz .LBB240_40
.LBB240_39:
	v_mad_u64_u32 v[2:3], s[0:1], s6, 17, v[0:1]
	v_mov_b32_e32 v3, 0
	v_mov_b32_e32 v0, s13
	v_lshlrev_b64 v[2:3], 2, v[2:3]
	v_add_co_u32_e32 v2, vcc, s12, v2
	v_addc_co_u32_e32 v3, vcc, v0, v3, vcc
	global_load_dword v0, v[2:3], off
	s_waitcnt vmcnt(0)
	v_fmac_f32_e32 v1, s8, v0
	global_store_dword v[2:3], v1, off
.LBB240_40:
	s_endpgm
.LBB240_41:
	s_branch .LBB240_39
	.section	.rodata,"a",@progbits
	.p2align	6, 0x0
	.amdhsa_kernel _ZN9rocsparseL20bsrxmvn_17_32_kernelILj17EfiiaafEEvT2_20rocsparse_direction_NS_24const_host_device_scalarIT0_EES1_PKS1_PKT1_SA_S7_PKT3_PKT4_S5_PT5_21rocsparse_index_base_b
		.amdhsa_group_segment_fixed_size 1156
		.amdhsa_private_segment_fixed_size 0
		.amdhsa_kernarg_size 96
		.amdhsa_user_sgpr_count 6
		.amdhsa_user_sgpr_private_segment_buffer 1
		.amdhsa_user_sgpr_dispatch_ptr 0
		.amdhsa_user_sgpr_queue_ptr 0
		.amdhsa_user_sgpr_kernarg_segment_ptr 1
		.amdhsa_user_sgpr_dispatch_id 0
		.amdhsa_user_sgpr_flat_scratch_init 0
		.amdhsa_user_sgpr_private_segment_size 0
		.amdhsa_uses_dynamic_stack 0
		.amdhsa_system_sgpr_private_segment_wavefront_offset 0
		.amdhsa_system_sgpr_workgroup_id_x 1
		.amdhsa_system_sgpr_workgroup_id_y 0
		.amdhsa_system_sgpr_workgroup_id_z 0
		.amdhsa_system_sgpr_workgroup_info 0
		.amdhsa_system_vgpr_workitem_id 0
		.amdhsa_next_free_vgpr 11
		.amdhsa_next_free_sgpr 22
		.amdhsa_reserve_vcc 1
		.amdhsa_reserve_flat_scratch 0
		.amdhsa_float_round_mode_32 0
		.amdhsa_float_round_mode_16_64 0
		.amdhsa_float_denorm_mode_32 3
		.amdhsa_float_denorm_mode_16_64 3
		.amdhsa_dx10_clamp 1
		.amdhsa_ieee_mode 1
		.amdhsa_fp16_overflow 0
		.amdhsa_exception_fp_ieee_invalid_op 0
		.amdhsa_exception_fp_denorm_src 0
		.amdhsa_exception_fp_ieee_div_zero 0
		.amdhsa_exception_fp_ieee_overflow 0
		.amdhsa_exception_fp_ieee_underflow 0
		.amdhsa_exception_fp_ieee_inexact 0
		.amdhsa_exception_int_div_zero 0
	.end_amdhsa_kernel
	.section	.text._ZN9rocsparseL20bsrxmvn_17_32_kernelILj17EfiiaafEEvT2_20rocsparse_direction_NS_24const_host_device_scalarIT0_EES1_PKS1_PKT1_SA_S7_PKT3_PKT4_S5_PT5_21rocsparse_index_base_b,"axG",@progbits,_ZN9rocsparseL20bsrxmvn_17_32_kernelILj17EfiiaafEEvT2_20rocsparse_direction_NS_24const_host_device_scalarIT0_EES1_PKS1_PKT1_SA_S7_PKT3_PKT4_S5_PT5_21rocsparse_index_base_b,comdat
.Lfunc_end240:
	.size	_ZN9rocsparseL20bsrxmvn_17_32_kernelILj17EfiiaafEEvT2_20rocsparse_direction_NS_24const_host_device_scalarIT0_EES1_PKS1_PKT1_SA_S7_PKT3_PKT4_S5_PT5_21rocsparse_index_base_b, .Lfunc_end240-_ZN9rocsparseL20bsrxmvn_17_32_kernelILj17EfiiaafEEvT2_20rocsparse_direction_NS_24const_host_device_scalarIT0_EES1_PKS1_PKT1_SA_S7_PKT3_PKT4_S5_PT5_21rocsparse_index_base_b
                                        ; -- End function
	.set _ZN9rocsparseL20bsrxmvn_17_32_kernelILj17EfiiaafEEvT2_20rocsparse_direction_NS_24const_host_device_scalarIT0_EES1_PKS1_PKT1_SA_S7_PKT3_PKT4_S5_PT5_21rocsparse_index_base_b.num_vgpr, 11
	.set _ZN9rocsparseL20bsrxmvn_17_32_kernelILj17EfiiaafEEvT2_20rocsparse_direction_NS_24const_host_device_scalarIT0_EES1_PKS1_PKT1_SA_S7_PKT3_PKT4_S5_PT5_21rocsparse_index_base_b.num_agpr, 0
	.set _ZN9rocsparseL20bsrxmvn_17_32_kernelILj17EfiiaafEEvT2_20rocsparse_direction_NS_24const_host_device_scalarIT0_EES1_PKS1_PKT1_SA_S7_PKT3_PKT4_S5_PT5_21rocsparse_index_base_b.numbered_sgpr, 22
	.set _ZN9rocsparseL20bsrxmvn_17_32_kernelILj17EfiiaafEEvT2_20rocsparse_direction_NS_24const_host_device_scalarIT0_EES1_PKS1_PKT1_SA_S7_PKT3_PKT4_S5_PT5_21rocsparse_index_base_b.num_named_barrier, 0
	.set _ZN9rocsparseL20bsrxmvn_17_32_kernelILj17EfiiaafEEvT2_20rocsparse_direction_NS_24const_host_device_scalarIT0_EES1_PKS1_PKT1_SA_S7_PKT3_PKT4_S5_PT5_21rocsparse_index_base_b.private_seg_size, 0
	.set _ZN9rocsparseL20bsrxmvn_17_32_kernelILj17EfiiaafEEvT2_20rocsparse_direction_NS_24const_host_device_scalarIT0_EES1_PKS1_PKT1_SA_S7_PKT3_PKT4_S5_PT5_21rocsparse_index_base_b.uses_vcc, 1
	.set _ZN9rocsparseL20bsrxmvn_17_32_kernelILj17EfiiaafEEvT2_20rocsparse_direction_NS_24const_host_device_scalarIT0_EES1_PKS1_PKT1_SA_S7_PKT3_PKT4_S5_PT5_21rocsparse_index_base_b.uses_flat_scratch, 0
	.set _ZN9rocsparseL20bsrxmvn_17_32_kernelILj17EfiiaafEEvT2_20rocsparse_direction_NS_24const_host_device_scalarIT0_EES1_PKS1_PKT1_SA_S7_PKT3_PKT4_S5_PT5_21rocsparse_index_base_b.has_dyn_sized_stack, 0
	.set _ZN9rocsparseL20bsrxmvn_17_32_kernelILj17EfiiaafEEvT2_20rocsparse_direction_NS_24const_host_device_scalarIT0_EES1_PKS1_PKT1_SA_S7_PKT3_PKT4_S5_PT5_21rocsparse_index_base_b.has_recursion, 0
	.set _ZN9rocsparseL20bsrxmvn_17_32_kernelILj17EfiiaafEEvT2_20rocsparse_direction_NS_24const_host_device_scalarIT0_EES1_PKS1_PKT1_SA_S7_PKT3_PKT4_S5_PT5_21rocsparse_index_base_b.has_indirect_call, 0
	.section	.AMDGPU.csdata,"",@progbits
; Kernel info:
; codeLenInByte = 1236
; TotalNumSgprs: 26
; NumVgprs: 11
; ScratchSize: 0
; MemoryBound: 0
; FloatMode: 240
; IeeeMode: 1
; LDSByteSize: 1156 bytes/workgroup (compile time only)
; SGPRBlocks: 3
; VGPRBlocks: 2
; NumSGPRsForWavesPerEU: 26
; NumVGPRsForWavesPerEU: 11
; Occupancy: 10
; WaveLimiterHint : 1
; COMPUTE_PGM_RSRC2:SCRATCH_EN: 0
; COMPUTE_PGM_RSRC2:USER_SGPR: 6
; COMPUTE_PGM_RSRC2:TRAP_HANDLER: 0
; COMPUTE_PGM_RSRC2:TGID_X_EN: 1
; COMPUTE_PGM_RSRC2:TGID_Y_EN: 0
; COMPUTE_PGM_RSRC2:TGID_Z_EN: 0
; COMPUTE_PGM_RSRC2:TIDIG_COMP_CNT: 0
	.section	.text._ZN9rocsparseL20bsrxmvn_17_32_kernelILj18EfiiaafEEvT2_20rocsparse_direction_NS_24const_host_device_scalarIT0_EES1_PKS1_PKT1_SA_S7_PKT3_PKT4_S5_PT5_21rocsparse_index_base_b,"axG",@progbits,_ZN9rocsparseL20bsrxmvn_17_32_kernelILj18EfiiaafEEvT2_20rocsparse_direction_NS_24const_host_device_scalarIT0_EES1_PKS1_PKT1_SA_S7_PKT3_PKT4_S5_PT5_21rocsparse_index_base_b,comdat
	.globl	_ZN9rocsparseL20bsrxmvn_17_32_kernelILj18EfiiaafEEvT2_20rocsparse_direction_NS_24const_host_device_scalarIT0_EES1_PKS1_PKT1_SA_S7_PKT3_PKT4_S5_PT5_21rocsparse_index_base_b ; -- Begin function _ZN9rocsparseL20bsrxmvn_17_32_kernelILj18EfiiaafEEvT2_20rocsparse_direction_NS_24const_host_device_scalarIT0_EES1_PKS1_PKT1_SA_S7_PKT3_PKT4_S5_PT5_21rocsparse_index_base_b
	.p2align	8
	.type	_ZN9rocsparseL20bsrxmvn_17_32_kernelILj18EfiiaafEEvT2_20rocsparse_direction_NS_24const_host_device_scalarIT0_EES1_PKS1_PKT1_SA_S7_PKT3_PKT4_S5_PT5_21rocsparse_index_base_b,@function
_ZN9rocsparseL20bsrxmvn_17_32_kernelILj18EfiiaafEEvT2_20rocsparse_direction_NS_24const_host_device_scalarIT0_EES1_PKS1_PKT1_SA_S7_PKT3_PKT4_S5_PT5_21rocsparse_index_base_b: ; @_ZN9rocsparseL20bsrxmvn_17_32_kernelILj18EfiiaafEEvT2_20rocsparse_direction_NS_24const_host_device_scalarIT0_EES1_PKS1_PKT1_SA_S7_PKT3_PKT4_S5_PT5_21rocsparse_index_base_b
; %bb.0:
	s_load_dwordx2 s[14:15], s[4:5], 0x58
	s_load_dwordx2 s[10:11], s[4:5], 0x8
	;; [unrolled: 1-line block ×3, first 2 shown]
	s_waitcnt lgkmcnt(0)
	s_bitcmp1_b32 s15, 0
	s_cselect_b64 s[2:3], -1, 0
	s_xor_b64 s[0:1], s[2:3], -1
	s_and_b64 vcc, exec, s[2:3]
	s_cbranch_vccnz .LBB241_2
; %bb.1:
	s_load_dword s10, s[10:11], 0x0
.LBB241_2:
	s_andn2_b64 vcc, exec, s[0:1]
	s_cbranch_vccnz .LBB241_4
; %bb.3:
	s_load_dword s8, s[8:9], 0x0
.LBB241_4:
	s_waitcnt lgkmcnt(0)
	v_cmp_neq_f32_e64 s[0:1], s10, 0
	v_cmp_neq_f32_e64 s[2:3], s8, 1.0
	s_or_b64 s[0:1], s[0:1], s[2:3]
	s_andn2_b64 vcc, exec, s[0:1]
	s_cbranch_vccnz .LBB241_40
; %bb.5:
	s_load_dwordx4 s[0:3], s[4:5], 0x18
	s_load_dwordx2 s[18:19], s[4:5], 0x28
	s_waitcnt lgkmcnt(0)
	s_cmp_eq_u64 s[0:1], 0
	s_cbranch_scc1 .LBB241_7
; %bb.6:
	s_ashr_i32 s7, s6, 31
	s_lshl_b64 s[6:7], s[6:7], 2
	s_add_u32 s0, s0, s6
	s_addc_u32 s1, s1, s7
	s_load_dword s0, s[0:1], 0x0
	s_waitcnt lgkmcnt(0)
	s_sub_i32 s6, s0, s14
.LBB241_7:
	s_load_dword s0, s[4:5], 0x4
	s_load_dwordx2 s[12:13], s[4:5], 0x50
	v_mul_u32_u24_e32 v1, 0xe39, v0
	v_mov_b32_e32 v2, 18
	v_mul_lo_u16_sdwa v3, v1, v2 dst_sel:DWORD dst_unused:UNUSED_PAD src0_sel:WORD_1 src1_sel:DWORD
	s_waitcnt lgkmcnt(0)
	s_cmp_eq_u32 s0, 1
	s_cselect_b64 vcc, -1, 0
	s_cmp_lg_u32 s0, 1
	s_cselect_b64 s[16:17], -1, 0
	s_ashr_i32 s7, s6, 31
	s_lshl_b64 s[0:1], s[6:7], 2
	s_add_u32 s2, s2, s0
	s_addc_u32 s3, s3, s1
	s_load_dword s7, s[2:3], 0x0
	s_add_u32 s2, s2, 4
	s_addc_u32 s3, s3, 0
	s_add_u32 s0, s18, s0
	s_addc_u32 s1, s19, s1
	s_cmp_eq_u64 s[18:19], 0
	s_cselect_b32 s1, s3, s1
	s_cselect_b32 s0, s2, s0
	s_load_dword s9, s[0:1], 0x0
	v_sub_u16_e32 v7, v0, v3
	v_mov_b32_e32 v6, 0
	s_waitcnt lgkmcnt(0)
	s_cmp_ge_i32 s7, s9
	s_cbranch_scc1 .LBB241_12
; %bb.8:
	s_load_dwordx4 s[0:3], s[4:5], 0x30
	s_load_dwordx2 s[18:19], s[4:5], 0x40
	v_mov_b32_e32 v3, 15
	v_mul_lo_u16_sdwa v3, v1, v3 dst_sel:DWORD dst_unused:UNUSED_PAD src0_sel:WORD_1 src1_sel:DWORD
	v_mul_lo_u16_sdwa v2, v3, v2 dst_sel:DWORD dst_unused:UNUSED_PAD src0_sel:BYTE_1 src1_sel:DWORD
	s_sub_i32 s5, s7, s14
	s_sub_i32 s4, s9, s14
	v_sub_u16_sdwa v1, v1, v2 dst_sel:DWORD dst_unused:UNUSED_PAD src0_sel:WORD_1 src1_sel:DWORD
	s_mul_i32 s9, s5, 0x144
	v_and_b32_e32 v1, 0xff, v1
	s_mul_hi_i32 s7, s5, 0x144
	s_waitcnt lgkmcnt(0)
	s_add_u32 s2, s2, s9
	v_cndmask_b32_e32 v1, v7, v1, vcc
	s_addc_u32 s3, s3, s7
	v_add_co_u32_e32 v2, vcc, s2, v0
	s_movk_i32 s2, 0x195
	v_mov_b32_e32 v3, s3
	v_mul_u32_u24_sdwa v4, v0, s2 dst_sel:DWORD dst_unused:UNUSED_PAD src0_sel:WORD_0 src1_sel:DWORD
	v_mov_b32_e32 v6, 0
	v_addc_co_u32_e32 v3, vcc, 0, v3, vcc
	v_lshrrev_b32_e32 v8, 17, v4
	s_branch .LBB241_10
.LBB241_9:                              ;   in Loop: Header=BB241_10 Depth=1
	s_or_b64 exec, exec, s[2:3]
	s_add_i32 s5, s5, 1
	s_cmp_lt_i32 s5, s4
	s_cbranch_scc0 .LBB241_12
.LBB241_10:                             ; =>This Inner Loop Header: Depth=1
	v_add_u32_e32 v4, s5, v8
	v_cmp_gt_i32_e32 vcc, s4, v4
	s_and_saveexec_b64 s[2:3], vcc
	s_cbranch_execz .LBB241_9
; %bb.11:                               ;   in Loop: Header=BB241_10 Depth=1
	v_ashrrev_i32_e32 v5, 31, v4
	v_lshlrev_b64 v[4:5], 2, v[4:5]
	v_mov_b32_e32 v9, s1
	v_add_co_u32_e32 v4, vcc, s0, v4
	v_addc_co_u32_e32 v5, vcc, v9, v5, vcc
	global_load_dword v4, v[4:5], off
	s_waitcnt vmcnt(0)
	v_subrev_u32_e32 v4, s14, v4
	v_mad_u64_u32 v[4:5], s[20:21], v4, 18, v[1:2]
	v_mov_b32_e32 v5, s19
	global_load_sbyte v9, v[2:3], off
	v_ashrrev_i32_e32 v10, 31, v4
	v_add_co_u32_e32 v4, vcc, s18, v4
	v_addc_co_u32_e32 v5, vcc, v5, v10, vcc
	global_load_sbyte v4, v[4:5], off
	v_add_co_u32_e32 v2, vcc, 0x144, v2
	v_addc_co_u32_e32 v3, vcc, 0, v3, vcc
	s_waitcnt vmcnt(1)
	v_cvt_f32_i32_e32 v5, v9
	s_waitcnt vmcnt(0)
	v_cvt_f32_i32_e32 v4, v4
	v_fmac_f32_e32 v6, v5, v4
	s_branch .LBB241_9
.LBB241_12:
	v_lshlrev_b32_e32 v1, 2, v0
	s_and_b64 vcc, exec, s[16:17]
	ds_write_b32 v1, v6
	s_waitcnt lgkmcnt(0)
	s_barrier
	s_cbranch_vccz .LBB241_24
; %bb.13:
	v_cmp_gt_u16_e32 vcc, 2, v7
	s_and_saveexec_b64 s[0:1], vcc
	s_cbranch_execz .LBB241_15
; %bb.14:
	ds_read2_b32 v[2:3], v1 offset1:16
	s_waitcnt lgkmcnt(0)
	v_add_f32_e32 v2, v3, v2
	ds_write_b32 v1, v2
.LBB241_15:
	s_or_b64 exec, exec, s[0:1]
	v_cmp_gt_u16_e64 s[0:1], 8, v7
	s_waitcnt lgkmcnt(0)
	s_barrier
	s_and_saveexec_b64 s[2:3], s[0:1]
	s_cbranch_execz .LBB241_17
; %bb.16:
	ds_read2_b32 v[2:3], v1 offset1:8
	s_waitcnt lgkmcnt(0)
	v_add_f32_e32 v2, v3, v2
	ds_write_b32 v1, v2
.LBB241_17:
	s_or_b64 exec, exec, s[2:3]
	v_cmp_gt_u16_e64 s[0:1], 4, v7
	s_waitcnt lgkmcnt(0)
	s_barrier
	s_and_saveexec_b64 s[2:3], s[0:1]
	s_cbranch_execz .LBB241_19
; %bb.18:
	ds_read2_b32 v[2:3], v1 offset1:4
	s_waitcnt lgkmcnt(0)
	v_add_f32_e32 v2, v3, v2
	ds_write_b32 v1, v2
.LBB241_19:
	s_or_b64 exec, exec, s[2:3]
	s_waitcnt lgkmcnt(0)
	s_barrier
	s_and_saveexec_b64 s[0:1], vcc
	s_cbranch_execz .LBB241_21
; %bb.20:
	ds_read2_b32 v[2:3], v1 offset1:2
	s_waitcnt lgkmcnt(0)
	v_add_f32_e32 v2, v3, v2
	ds_write_b32 v1, v2
.LBB241_21:
	s_or_b64 exec, exec, s[0:1]
	v_cmp_gt_u32_e32 vcc, 18, v0
	v_mov_b32_e32 v2, v6
	s_waitcnt lgkmcnt(0)
	s_barrier
	s_and_saveexec_b64 s[0:1], vcc
	s_cbranch_execz .LBB241_23
; %bb.22:
	s_movk_i32 s2, 0x44
	v_mad_u32_u24 v2, v0, s2, v1
	ds_read_b64 v[2:3], v2
	s_waitcnt lgkmcnt(0)
	v_add_f32_e32 v2, v2, v3
.LBB241_23:
	s_or_b64 exec, exec, s[0:1]
	s_branch .LBB241_36
.LBB241_24:
                                        ; implicit-def: $vgpr2
	s_cbranch_execz .LBB241_36
; %bb.25:
	v_cmp_gt_u32_e32 vcc, 36, v0
	s_and_saveexec_b64 s[0:1], vcc
	s_cbranch_execz .LBB241_27
; %bb.26:
	ds_read_b32 v2, v1 offset:1152
	ds_read_b32 v3, v1
	s_waitcnt lgkmcnt(0)
	v_add_f32_e32 v2, v2, v3
	ds_write_b32 v1, v2
.LBB241_27:
	s_or_b64 exec, exec, s[0:1]
	s_movk_i32 s0, 0x90
	v_cmp_gt_u32_e64 s[0:1], s0, v0
	s_waitcnt lgkmcnt(0)
	s_barrier
	s_and_saveexec_b64 s[2:3], s[0:1]
	s_cbranch_execz .LBB241_29
; %bb.28:
	ds_read2_b32 v[2:3], v1 offset1:144
	s_waitcnt lgkmcnt(0)
	v_add_f32_e32 v2, v3, v2
	ds_write_b32 v1, v2
.LBB241_29:
	s_or_b64 exec, exec, s[2:3]
	s_movk_i32 s0, 0x48
	v_cmp_gt_u32_e64 s[0:1], s0, v0
	s_waitcnt lgkmcnt(0)
	s_barrier
	s_and_saveexec_b64 s[2:3], s[0:1]
	s_cbranch_execz .LBB241_31
; %bb.30:
	ds_read2_b32 v[2:3], v1 offset1:72
	s_waitcnt lgkmcnt(0)
	v_add_f32_e32 v2, v3, v2
	ds_write_b32 v1, v2
.LBB241_31:
	s_or_b64 exec, exec, s[2:3]
	s_waitcnt lgkmcnt(0)
	s_barrier
	s_and_saveexec_b64 s[0:1], vcc
	s_cbranch_execz .LBB241_33
; %bb.32:
	ds_read2_b32 v[2:3], v1 offset1:36
	s_waitcnt lgkmcnt(0)
	v_add_f32_e32 v2, v3, v2
	ds_write_b32 v1, v2
.LBB241_33:
	s_or_b64 exec, exec, s[0:1]
	v_cmp_gt_u32_e32 vcc, 18, v0
	s_waitcnt lgkmcnt(0)
	s_and_saveexec_b64 s[0:1], vcc
	s_cbranch_execz .LBB241_35
; %bb.34:
	ds_read2_b32 v[1:2], v1 offset1:18
	s_waitcnt lgkmcnt(0)
	v_add_f32_e32 v6, v1, v2
.LBB241_35:
	s_or_b64 exec, exec, s[0:1]
	v_mov_b32_e32 v2, v6
.LBB241_36:
	v_cmp_gt_u32_e32 vcc, 18, v0
	s_and_saveexec_b64 s[0:1], vcc
	s_cbranch_execz .LBB241_40
; %bb.37:
	v_cmp_eq_f32_e64 s[0:1], s8, 0
	s_and_b64 vcc, exec, s[0:1]
	v_mul_f32_e32 v1, s10, v2
	s_cbranch_vccz .LBB241_41
; %bb.38:
	v_mad_u64_u32 v[2:3], s[0:1], s6, 18, v[0:1]
	v_mov_b32_e32 v3, 0
	v_mov_b32_e32 v4, s13
	v_lshlrev_b64 v[2:3], 2, v[2:3]
	v_add_co_u32_e32 v2, vcc, s12, v2
	v_addc_co_u32_e32 v3, vcc, v4, v3, vcc
	global_store_dword v[2:3], v1, off
	s_cbranch_execnz .LBB241_40
.LBB241_39:
	v_mad_u64_u32 v[2:3], s[0:1], s6, 18, v[0:1]
	v_mov_b32_e32 v3, 0
	v_mov_b32_e32 v0, s13
	v_lshlrev_b64 v[2:3], 2, v[2:3]
	v_add_co_u32_e32 v2, vcc, s12, v2
	v_addc_co_u32_e32 v3, vcc, v0, v3, vcc
	global_load_dword v0, v[2:3], off
	s_waitcnt vmcnt(0)
	v_fmac_f32_e32 v1, s8, v0
	global_store_dword v[2:3], v1, off
.LBB241_40:
	s_endpgm
.LBB241_41:
	s_branch .LBB241_39
	.section	.rodata,"a",@progbits
	.p2align	6, 0x0
	.amdhsa_kernel _ZN9rocsparseL20bsrxmvn_17_32_kernelILj18EfiiaafEEvT2_20rocsparse_direction_NS_24const_host_device_scalarIT0_EES1_PKS1_PKT1_SA_S7_PKT3_PKT4_S5_PT5_21rocsparse_index_base_b
		.amdhsa_group_segment_fixed_size 1296
		.amdhsa_private_segment_fixed_size 0
		.amdhsa_kernarg_size 96
		.amdhsa_user_sgpr_count 6
		.amdhsa_user_sgpr_private_segment_buffer 1
		.amdhsa_user_sgpr_dispatch_ptr 0
		.amdhsa_user_sgpr_queue_ptr 0
		.amdhsa_user_sgpr_kernarg_segment_ptr 1
		.amdhsa_user_sgpr_dispatch_id 0
		.amdhsa_user_sgpr_flat_scratch_init 0
		.amdhsa_user_sgpr_private_segment_size 0
		.amdhsa_uses_dynamic_stack 0
		.amdhsa_system_sgpr_private_segment_wavefront_offset 0
		.amdhsa_system_sgpr_workgroup_id_x 1
		.amdhsa_system_sgpr_workgroup_id_y 0
		.amdhsa_system_sgpr_workgroup_id_z 0
		.amdhsa_system_sgpr_workgroup_info 0
		.amdhsa_system_vgpr_workitem_id 0
		.amdhsa_next_free_vgpr 11
		.amdhsa_next_free_sgpr 22
		.amdhsa_reserve_vcc 1
		.amdhsa_reserve_flat_scratch 0
		.amdhsa_float_round_mode_32 0
		.amdhsa_float_round_mode_16_64 0
		.amdhsa_float_denorm_mode_32 3
		.amdhsa_float_denorm_mode_16_64 3
		.amdhsa_dx10_clamp 1
		.amdhsa_ieee_mode 1
		.amdhsa_fp16_overflow 0
		.amdhsa_exception_fp_ieee_invalid_op 0
		.amdhsa_exception_fp_denorm_src 0
		.amdhsa_exception_fp_ieee_div_zero 0
		.amdhsa_exception_fp_ieee_overflow 0
		.amdhsa_exception_fp_ieee_underflow 0
		.amdhsa_exception_fp_ieee_inexact 0
		.amdhsa_exception_int_div_zero 0
	.end_amdhsa_kernel
	.section	.text._ZN9rocsparseL20bsrxmvn_17_32_kernelILj18EfiiaafEEvT2_20rocsparse_direction_NS_24const_host_device_scalarIT0_EES1_PKS1_PKT1_SA_S7_PKT3_PKT4_S5_PT5_21rocsparse_index_base_b,"axG",@progbits,_ZN9rocsparseL20bsrxmvn_17_32_kernelILj18EfiiaafEEvT2_20rocsparse_direction_NS_24const_host_device_scalarIT0_EES1_PKS1_PKT1_SA_S7_PKT3_PKT4_S5_PT5_21rocsparse_index_base_b,comdat
.Lfunc_end241:
	.size	_ZN9rocsparseL20bsrxmvn_17_32_kernelILj18EfiiaafEEvT2_20rocsparse_direction_NS_24const_host_device_scalarIT0_EES1_PKS1_PKT1_SA_S7_PKT3_PKT4_S5_PT5_21rocsparse_index_base_b, .Lfunc_end241-_ZN9rocsparseL20bsrxmvn_17_32_kernelILj18EfiiaafEEvT2_20rocsparse_direction_NS_24const_host_device_scalarIT0_EES1_PKS1_PKT1_SA_S7_PKT3_PKT4_S5_PT5_21rocsparse_index_base_b
                                        ; -- End function
	.set _ZN9rocsparseL20bsrxmvn_17_32_kernelILj18EfiiaafEEvT2_20rocsparse_direction_NS_24const_host_device_scalarIT0_EES1_PKS1_PKT1_SA_S7_PKT3_PKT4_S5_PT5_21rocsparse_index_base_b.num_vgpr, 11
	.set _ZN9rocsparseL20bsrxmvn_17_32_kernelILj18EfiiaafEEvT2_20rocsparse_direction_NS_24const_host_device_scalarIT0_EES1_PKS1_PKT1_SA_S7_PKT3_PKT4_S5_PT5_21rocsparse_index_base_b.num_agpr, 0
	.set _ZN9rocsparseL20bsrxmvn_17_32_kernelILj18EfiiaafEEvT2_20rocsparse_direction_NS_24const_host_device_scalarIT0_EES1_PKS1_PKT1_SA_S7_PKT3_PKT4_S5_PT5_21rocsparse_index_base_b.numbered_sgpr, 22
	.set _ZN9rocsparseL20bsrxmvn_17_32_kernelILj18EfiiaafEEvT2_20rocsparse_direction_NS_24const_host_device_scalarIT0_EES1_PKS1_PKT1_SA_S7_PKT3_PKT4_S5_PT5_21rocsparse_index_base_b.num_named_barrier, 0
	.set _ZN9rocsparseL20bsrxmvn_17_32_kernelILj18EfiiaafEEvT2_20rocsparse_direction_NS_24const_host_device_scalarIT0_EES1_PKS1_PKT1_SA_S7_PKT3_PKT4_S5_PT5_21rocsparse_index_base_b.private_seg_size, 0
	.set _ZN9rocsparseL20bsrxmvn_17_32_kernelILj18EfiiaafEEvT2_20rocsparse_direction_NS_24const_host_device_scalarIT0_EES1_PKS1_PKT1_SA_S7_PKT3_PKT4_S5_PT5_21rocsparse_index_base_b.uses_vcc, 1
	.set _ZN9rocsparseL20bsrxmvn_17_32_kernelILj18EfiiaafEEvT2_20rocsparse_direction_NS_24const_host_device_scalarIT0_EES1_PKS1_PKT1_SA_S7_PKT3_PKT4_S5_PT5_21rocsparse_index_base_b.uses_flat_scratch, 0
	.set _ZN9rocsparseL20bsrxmvn_17_32_kernelILj18EfiiaafEEvT2_20rocsparse_direction_NS_24const_host_device_scalarIT0_EES1_PKS1_PKT1_SA_S7_PKT3_PKT4_S5_PT5_21rocsparse_index_base_b.has_dyn_sized_stack, 0
	.set _ZN9rocsparseL20bsrxmvn_17_32_kernelILj18EfiiaafEEvT2_20rocsparse_direction_NS_24const_host_device_scalarIT0_EES1_PKS1_PKT1_SA_S7_PKT3_PKT4_S5_PT5_21rocsparse_index_base_b.has_recursion, 0
	.set _ZN9rocsparseL20bsrxmvn_17_32_kernelILj18EfiiaafEEvT2_20rocsparse_direction_NS_24const_host_device_scalarIT0_EES1_PKS1_PKT1_SA_S7_PKT3_PKT4_S5_PT5_21rocsparse_index_base_b.has_indirect_call, 0
	.section	.AMDGPU.csdata,"",@progbits
; Kernel info:
; codeLenInByte = 1240
; TotalNumSgprs: 26
; NumVgprs: 11
; ScratchSize: 0
; MemoryBound: 0
; FloatMode: 240
; IeeeMode: 1
; LDSByteSize: 1296 bytes/workgroup (compile time only)
; SGPRBlocks: 3
; VGPRBlocks: 2
; NumSGPRsForWavesPerEU: 26
; NumVGPRsForWavesPerEU: 11
; Occupancy: 10
; WaveLimiterHint : 1
; COMPUTE_PGM_RSRC2:SCRATCH_EN: 0
; COMPUTE_PGM_RSRC2:USER_SGPR: 6
; COMPUTE_PGM_RSRC2:TRAP_HANDLER: 0
; COMPUTE_PGM_RSRC2:TGID_X_EN: 1
; COMPUTE_PGM_RSRC2:TGID_Y_EN: 0
; COMPUTE_PGM_RSRC2:TGID_Z_EN: 0
; COMPUTE_PGM_RSRC2:TIDIG_COMP_CNT: 0
	.section	.text._ZN9rocsparseL20bsrxmvn_17_32_kernelILj19EfiiaafEEvT2_20rocsparse_direction_NS_24const_host_device_scalarIT0_EES1_PKS1_PKT1_SA_S7_PKT3_PKT4_S5_PT5_21rocsparse_index_base_b,"axG",@progbits,_ZN9rocsparseL20bsrxmvn_17_32_kernelILj19EfiiaafEEvT2_20rocsparse_direction_NS_24const_host_device_scalarIT0_EES1_PKS1_PKT1_SA_S7_PKT3_PKT4_S5_PT5_21rocsparse_index_base_b,comdat
	.globl	_ZN9rocsparseL20bsrxmvn_17_32_kernelILj19EfiiaafEEvT2_20rocsparse_direction_NS_24const_host_device_scalarIT0_EES1_PKS1_PKT1_SA_S7_PKT3_PKT4_S5_PT5_21rocsparse_index_base_b ; -- Begin function _ZN9rocsparseL20bsrxmvn_17_32_kernelILj19EfiiaafEEvT2_20rocsparse_direction_NS_24const_host_device_scalarIT0_EES1_PKS1_PKT1_SA_S7_PKT3_PKT4_S5_PT5_21rocsparse_index_base_b
	.p2align	8
	.type	_ZN9rocsparseL20bsrxmvn_17_32_kernelILj19EfiiaafEEvT2_20rocsparse_direction_NS_24const_host_device_scalarIT0_EES1_PKS1_PKT1_SA_S7_PKT3_PKT4_S5_PT5_21rocsparse_index_base_b,@function
_ZN9rocsparseL20bsrxmvn_17_32_kernelILj19EfiiaafEEvT2_20rocsparse_direction_NS_24const_host_device_scalarIT0_EES1_PKS1_PKT1_SA_S7_PKT3_PKT4_S5_PT5_21rocsparse_index_base_b: ; @_ZN9rocsparseL20bsrxmvn_17_32_kernelILj19EfiiaafEEvT2_20rocsparse_direction_NS_24const_host_device_scalarIT0_EES1_PKS1_PKT1_SA_S7_PKT3_PKT4_S5_PT5_21rocsparse_index_base_b
; %bb.0:
	s_load_dwordx2 s[14:15], s[4:5], 0x58
	s_load_dwordx2 s[10:11], s[4:5], 0x8
	;; [unrolled: 1-line block ×3, first 2 shown]
	s_waitcnt lgkmcnt(0)
	s_bitcmp1_b32 s15, 0
	s_cselect_b64 s[2:3], -1, 0
	s_xor_b64 s[0:1], s[2:3], -1
	s_and_b64 vcc, exec, s[2:3]
	s_cbranch_vccnz .LBB242_2
; %bb.1:
	s_load_dword s10, s[10:11], 0x0
.LBB242_2:
	s_andn2_b64 vcc, exec, s[0:1]
	s_cbranch_vccnz .LBB242_4
; %bb.3:
	s_load_dword s8, s[8:9], 0x0
.LBB242_4:
	s_waitcnt lgkmcnt(0)
	v_cmp_neq_f32_e64 s[0:1], s10, 0
	v_cmp_neq_f32_e64 s[2:3], s8, 1.0
	s_or_b64 s[0:1], s[0:1], s[2:3]
	s_andn2_b64 vcc, exec, s[0:1]
	s_cbranch_vccnz .LBB242_40
; %bb.5:
	s_load_dwordx4 s[0:3], s[4:5], 0x18
	s_load_dwordx2 s[18:19], s[4:5], 0x28
	s_waitcnt lgkmcnt(0)
	s_cmp_eq_u64 s[0:1], 0
	s_cbranch_scc1 .LBB242_7
; %bb.6:
	s_ashr_i32 s7, s6, 31
	s_lshl_b64 s[6:7], s[6:7], 2
	s_add_u32 s0, s0, s6
	s_addc_u32 s1, s1, s7
	s_load_dword s0, s[0:1], 0x0
	s_waitcnt lgkmcnt(0)
	s_sub_i32 s6, s0, s14
.LBB242_7:
	s_load_dword s0, s[4:5], 0x4
	s_load_dwordx2 s[12:13], s[4:5], 0x50
	v_mul_u32_u24_e32 v1, 0xd7a, v0
	v_mov_b32_e32 v2, 19
	v_mul_lo_u16_sdwa v3, v1, v2 dst_sel:DWORD dst_unused:UNUSED_PAD src0_sel:WORD_1 src1_sel:DWORD
	s_waitcnt lgkmcnt(0)
	s_cmp_eq_u32 s0, 1
	s_cselect_b64 vcc, -1, 0
	s_cmp_lg_u32 s0, 1
	s_cselect_b64 s[16:17], -1, 0
	s_ashr_i32 s7, s6, 31
	s_lshl_b64 s[0:1], s[6:7], 2
	s_add_u32 s2, s2, s0
	s_addc_u32 s3, s3, s1
	s_load_dword s7, s[2:3], 0x0
	s_add_u32 s2, s2, 4
	s_addc_u32 s3, s3, 0
	s_add_u32 s0, s18, s0
	s_addc_u32 s1, s19, s1
	s_cmp_eq_u64 s[18:19], 0
	s_cselect_b32 s1, s3, s1
	s_cselect_b32 s0, s2, s0
	s_load_dword s9, s[0:1], 0x0
	v_sub_u16_e32 v7, v0, v3
	v_mov_b32_e32 v6, 0
	s_waitcnt lgkmcnt(0)
	s_cmp_ge_i32 s7, s9
	s_cbranch_scc1 .LBB242_12
; %bb.8:
	s_load_dwordx4 s[0:3], s[4:5], 0x30
	s_load_dwordx2 s[18:19], s[4:5], 0x40
	v_mov_b32_e32 v3, 14
	v_mul_lo_u16_sdwa v3, v1, v3 dst_sel:DWORD dst_unused:UNUSED_PAD src0_sel:WORD_1 src1_sel:DWORD
	s_sub_i32 s5, s7, s14
	s_sub_i32 s4, s9, s14
	v_mul_lo_u16_sdwa v2, v3, v2 dst_sel:DWORD dst_unused:UNUSED_PAD src0_sel:BYTE_1 src1_sel:DWORD
	s_mul_i32 s9, s5, 0x169
	v_sub_u16_sdwa v1, v1, v2 dst_sel:DWORD dst_unused:UNUSED_PAD src0_sel:WORD_1 src1_sel:DWORD
	s_mul_hi_i32 s7, s5, 0x169
	s_waitcnt lgkmcnt(0)
	s_add_u32 s2, s2, s9
	v_and_b32_e32 v1, 0xff, v1
	s_addc_u32 s3, s3, s7
	v_cndmask_b32_e32 v1, v7, v1, vcc
	v_mov_b32_e32 v3, s3
	v_add_co_u32_e32 v2, vcc, s2, v0
	s_movk_i32 s2, 0xb6
	v_mov_b32_e32 v6, 0
	v_addc_co_u32_e32 v3, vcc, 0, v3, vcc
	v_mul_u32_u24_sdwa v8, v0, s2 dst_sel:DWORD dst_unused:UNUSED_PAD src0_sel:WORD_0 src1_sel:DWORD
	s_branch .LBB242_10
.LBB242_9:                              ;   in Loop: Header=BB242_10 Depth=1
	s_or_b64 exec, exec, s[2:3]
	s_add_i32 s5, s5, 1
	s_cmp_lt_i32 s5, s4
	s_cbranch_scc0 .LBB242_12
.LBB242_10:                             ; =>This Inner Loop Header: Depth=1
	v_add_u32_sdwa v4, v8, s5 dst_sel:DWORD dst_unused:UNUSED_PAD src0_sel:WORD_1 src1_sel:DWORD
	v_cmp_gt_i32_e32 vcc, s4, v4
	s_and_saveexec_b64 s[2:3], vcc
	s_cbranch_execz .LBB242_9
; %bb.11:                               ;   in Loop: Header=BB242_10 Depth=1
	v_ashrrev_i32_e32 v5, 31, v4
	v_lshlrev_b64 v[4:5], 2, v[4:5]
	v_mov_b32_e32 v9, s1
	v_add_co_u32_e32 v4, vcc, s0, v4
	v_addc_co_u32_e32 v5, vcc, v9, v5, vcc
	global_load_dword v4, v[4:5], off
	s_waitcnt vmcnt(0)
	v_subrev_u32_e32 v4, s14, v4
	v_mad_u64_u32 v[4:5], s[20:21], v4, 19, v[1:2]
	v_mov_b32_e32 v5, s19
	global_load_sbyte v9, v[2:3], off
	v_ashrrev_i32_e32 v10, 31, v4
	v_add_co_u32_e32 v4, vcc, s18, v4
	v_addc_co_u32_e32 v5, vcc, v5, v10, vcc
	global_load_sbyte v4, v[4:5], off
	v_add_co_u32_e32 v2, vcc, 0x169, v2
	v_addc_co_u32_e32 v3, vcc, 0, v3, vcc
	s_waitcnt vmcnt(1)
	v_cvt_f32_i32_e32 v5, v9
	s_waitcnt vmcnt(0)
	v_cvt_f32_i32_e32 v4, v4
	v_fmac_f32_e32 v6, v5, v4
	s_branch .LBB242_9
.LBB242_12:
	v_lshlrev_b32_e32 v1, 2, v0
	s_and_b64 vcc, exec, s[16:17]
	ds_write_b32 v1, v6
	s_waitcnt lgkmcnt(0)
	s_barrier
	s_cbranch_vccz .LBB242_24
; %bb.13:
	v_cmp_gt_u16_e32 vcc, 3, v7
	s_and_saveexec_b64 s[0:1], vcc
	s_cbranch_execz .LBB242_15
; %bb.14:
	ds_read2_b32 v[2:3], v1 offset1:16
	s_waitcnt lgkmcnt(0)
	v_add_f32_e32 v2, v3, v2
	ds_write_b32 v1, v2
.LBB242_15:
	s_or_b64 exec, exec, s[0:1]
	v_cmp_gt_u16_e32 vcc, 8, v7
	s_waitcnt lgkmcnt(0)
	s_barrier
	s_and_saveexec_b64 s[0:1], vcc
	s_cbranch_execz .LBB242_17
; %bb.16:
	ds_read2_b32 v[2:3], v1 offset1:8
	s_waitcnt lgkmcnt(0)
	v_add_f32_e32 v2, v3, v2
	ds_write_b32 v1, v2
.LBB242_17:
	s_or_b64 exec, exec, s[0:1]
	v_cmp_gt_u16_e32 vcc, 4, v7
	s_waitcnt lgkmcnt(0)
	s_barrier
	;; [unrolled: 12-line block ×3, first 2 shown]
	s_and_saveexec_b64 s[0:1], vcc
	s_cbranch_execz .LBB242_21
; %bb.20:
	ds_read2_b32 v[2:3], v1 offset1:2
	s_waitcnt lgkmcnt(0)
	v_add_f32_e32 v2, v3, v2
	ds_write_b32 v1, v2
.LBB242_21:
	s_or_b64 exec, exec, s[0:1]
	v_cmp_gt_u32_e32 vcc, 19, v0
	v_mov_b32_e32 v2, v6
	s_waitcnt lgkmcnt(0)
	s_barrier
	s_and_saveexec_b64 s[0:1], vcc
	s_cbranch_execz .LBB242_23
; %bb.22:
	s_movk_i32 s2, 0x48
	v_mad_u32_u24 v2, v0, s2, v1
	ds_read2_b32 v[2:3], v2 offset1:1
	s_waitcnt lgkmcnt(0)
	v_add_f32_e32 v2, v2, v3
.LBB242_23:
	s_or_b64 exec, exec, s[0:1]
	s_branch .LBB242_36
.LBB242_24:
                                        ; implicit-def: $vgpr2
	s_cbranch_execz .LBB242_36
; %bb.25:
	v_cmp_gt_u32_e32 vcc, 57, v0
	s_and_saveexec_b64 s[0:1], vcc
	s_cbranch_execz .LBB242_27
; %bb.26:
	ds_read_b32 v2, v1 offset:1216
	ds_read_b32 v3, v1
	s_waitcnt lgkmcnt(0)
	v_add_f32_e32 v2, v2, v3
	ds_write_b32 v1, v2
.LBB242_27:
	s_or_b64 exec, exec, s[0:1]
	s_movk_i32 s0, 0x98
	v_cmp_gt_u32_e32 vcc, s0, v0
	s_waitcnt lgkmcnt(0)
	s_barrier
	s_and_saveexec_b64 s[0:1], vcc
	s_cbranch_execz .LBB242_29
; %bb.28:
	ds_read2_b32 v[2:3], v1 offset1:152
	s_waitcnt lgkmcnt(0)
	v_add_f32_e32 v2, v3, v2
	ds_write_b32 v1, v2
.LBB242_29:
	s_or_b64 exec, exec, s[0:1]
	s_movk_i32 s0, 0x4c
	v_cmp_gt_u32_e32 vcc, s0, v0
	s_waitcnt lgkmcnt(0)
	s_barrier
	s_and_saveexec_b64 s[0:1], vcc
	s_cbranch_execz .LBB242_31
; %bb.30:
	ds_read2_b32 v[2:3], v1 offset1:76
	s_waitcnt lgkmcnt(0)
	v_add_f32_e32 v2, v3, v2
	ds_write_b32 v1, v2
.LBB242_31:
	s_or_b64 exec, exec, s[0:1]
	v_cmp_gt_u32_e32 vcc, 38, v0
	s_waitcnt lgkmcnt(0)
	s_barrier
	s_and_saveexec_b64 s[0:1], vcc
	s_cbranch_execz .LBB242_33
; %bb.32:
	ds_read2_b32 v[2:3], v1 offset1:38
	s_waitcnt lgkmcnt(0)
	v_add_f32_e32 v2, v3, v2
	ds_write_b32 v1, v2
.LBB242_33:
	s_or_b64 exec, exec, s[0:1]
	v_cmp_gt_u32_e32 vcc, 19, v0
	s_waitcnt lgkmcnt(0)
	s_and_saveexec_b64 s[0:1], vcc
	s_cbranch_execz .LBB242_35
; %bb.34:
	ds_read2_b32 v[1:2], v1 offset1:19
	s_waitcnt lgkmcnt(0)
	v_add_f32_e32 v6, v1, v2
.LBB242_35:
	s_or_b64 exec, exec, s[0:1]
	v_mov_b32_e32 v2, v6
.LBB242_36:
	v_cmp_gt_u32_e32 vcc, 19, v0
	s_and_saveexec_b64 s[0:1], vcc
	s_cbranch_execz .LBB242_40
; %bb.37:
	v_cmp_eq_f32_e64 s[0:1], s8, 0
	s_and_b64 vcc, exec, s[0:1]
	v_mul_f32_e32 v1, s10, v2
	s_cbranch_vccz .LBB242_41
; %bb.38:
	v_mad_u64_u32 v[2:3], s[0:1], s6, 19, v[0:1]
	v_mov_b32_e32 v3, 0
	v_mov_b32_e32 v4, s13
	v_lshlrev_b64 v[2:3], 2, v[2:3]
	v_add_co_u32_e32 v2, vcc, s12, v2
	v_addc_co_u32_e32 v3, vcc, v4, v3, vcc
	global_store_dword v[2:3], v1, off
	s_cbranch_execnz .LBB242_40
.LBB242_39:
	v_mad_u64_u32 v[2:3], s[0:1], s6, 19, v[0:1]
	v_mov_b32_e32 v3, 0
	v_mov_b32_e32 v0, s13
	v_lshlrev_b64 v[2:3], 2, v[2:3]
	v_add_co_u32_e32 v2, vcc, s12, v2
	v_addc_co_u32_e32 v3, vcc, v0, v3, vcc
	global_load_dword v0, v[2:3], off
	s_waitcnt vmcnt(0)
	v_fmac_f32_e32 v1, s8, v0
	global_store_dword v[2:3], v1, off
.LBB242_40:
	s_endpgm
.LBB242_41:
	s_branch .LBB242_39
	.section	.rodata,"a",@progbits
	.p2align	6, 0x0
	.amdhsa_kernel _ZN9rocsparseL20bsrxmvn_17_32_kernelILj19EfiiaafEEvT2_20rocsparse_direction_NS_24const_host_device_scalarIT0_EES1_PKS1_PKT1_SA_S7_PKT3_PKT4_S5_PT5_21rocsparse_index_base_b
		.amdhsa_group_segment_fixed_size 1444
		.amdhsa_private_segment_fixed_size 0
		.amdhsa_kernarg_size 96
		.amdhsa_user_sgpr_count 6
		.amdhsa_user_sgpr_private_segment_buffer 1
		.amdhsa_user_sgpr_dispatch_ptr 0
		.amdhsa_user_sgpr_queue_ptr 0
		.amdhsa_user_sgpr_kernarg_segment_ptr 1
		.amdhsa_user_sgpr_dispatch_id 0
		.amdhsa_user_sgpr_flat_scratch_init 0
		.amdhsa_user_sgpr_private_segment_size 0
		.amdhsa_uses_dynamic_stack 0
		.amdhsa_system_sgpr_private_segment_wavefront_offset 0
		.amdhsa_system_sgpr_workgroup_id_x 1
		.amdhsa_system_sgpr_workgroup_id_y 0
		.amdhsa_system_sgpr_workgroup_id_z 0
		.amdhsa_system_sgpr_workgroup_info 0
		.amdhsa_system_vgpr_workitem_id 0
		.amdhsa_next_free_vgpr 11
		.amdhsa_next_free_sgpr 22
		.amdhsa_reserve_vcc 1
		.amdhsa_reserve_flat_scratch 0
		.amdhsa_float_round_mode_32 0
		.amdhsa_float_round_mode_16_64 0
		.amdhsa_float_denorm_mode_32 3
		.amdhsa_float_denorm_mode_16_64 3
		.amdhsa_dx10_clamp 1
		.amdhsa_ieee_mode 1
		.amdhsa_fp16_overflow 0
		.amdhsa_exception_fp_ieee_invalid_op 0
		.amdhsa_exception_fp_denorm_src 0
		.amdhsa_exception_fp_ieee_div_zero 0
		.amdhsa_exception_fp_ieee_overflow 0
		.amdhsa_exception_fp_ieee_underflow 0
		.amdhsa_exception_fp_ieee_inexact 0
		.amdhsa_exception_int_div_zero 0
	.end_amdhsa_kernel
	.section	.text._ZN9rocsparseL20bsrxmvn_17_32_kernelILj19EfiiaafEEvT2_20rocsparse_direction_NS_24const_host_device_scalarIT0_EES1_PKS1_PKT1_SA_S7_PKT3_PKT4_S5_PT5_21rocsparse_index_base_b,"axG",@progbits,_ZN9rocsparseL20bsrxmvn_17_32_kernelILj19EfiiaafEEvT2_20rocsparse_direction_NS_24const_host_device_scalarIT0_EES1_PKS1_PKT1_SA_S7_PKT3_PKT4_S5_PT5_21rocsparse_index_base_b,comdat
.Lfunc_end242:
	.size	_ZN9rocsparseL20bsrxmvn_17_32_kernelILj19EfiiaafEEvT2_20rocsparse_direction_NS_24const_host_device_scalarIT0_EES1_PKS1_PKT1_SA_S7_PKT3_PKT4_S5_PT5_21rocsparse_index_base_b, .Lfunc_end242-_ZN9rocsparseL20bsrxmvn_17_32_kernelILj19EfiiaafEEvT2_20rocsparse_direction_NS_24const_host_device_scalarIT0_EES1_PKS1_PKT1_SA_S7_PKT3_PKT4_S5_PT5_21rocsparse_index_base_b
                                        ; -- End function
	.set _ZN9rocsparseL20bsrxmvn_17_32_kernelILj19EfiiaafEEvT2_20rocsparse_direction_NS_24const_host_device_scalarIT0_EES1_PKS1_PKT1_SA_S7_PKT3_PKT4_S5_PT5_21rocsparse_index_base_b.num_vgpr, 11
	.set _ZN9rocsparseL20bsrxmvn_17_32_kernelILj19EfiiaafEEvT2_20rocsparse_direction_NS_24const_host_device_scalarIT0_EES1_PKS1_PKT1_SA_S7_PKT3_PKT4_S5_PT5_21rocsparse_index_base_b.num_agpr, 0
	.set _ZN9rocsparseL20bsrxmvn_17_32_kernelILj19EfiiaafEEvT2_20rocsparse_direction_NS_24const_host_device_scalarIT0_EES1_PKS1_PKT1_SA_S7_PKT3_PKT4_S5_PT5_21rocsparse_index_base_b.numbered_sgpr, 22
	.set _ZN9rocsparseL20bsrxmvn_17_32_kernelILj19EfiiaafEEvT2_20rocsparse_direction_NS_24const_host_device_scalarIT0_EES1_PKS1_PKT1_SA_S7_PKT3_PKT4_S5_PT5_21rocsparse_index_base_b.num_named_barrier, 0
	.set _ZN9rocsparseL20bsrxmvn_17_32_kernelILj19EfiiaafEEvT2_20rocsparse_direction_NS_24const_host_device_scalarIT0_EES1_PKS1_PKT1_SA_S7_PKT3_PKT4_S5_PT5_21rocsparse_index_base_b.private_seg_size, 0
	.set _ZN9rocsparseL20bsrxmvn_17_32_kernelILj19EfiiaafEEvT2_20rocsparse_direction_NS_24const_host_device_scalarIT0_EES1_PKS1_PKT1_SA_S7_PKT3_PKT4_S5_PT5_21rocsparse_index_base_b.uses_vcc, 1
	.set _ZN9rocsparseL20bsrxmvn_17_32_kernelILj19EfiiaafEEvT2_20rocsparse_direction_NS_24const_host_device_scalarIT0_EES1_PKS1_PKT1_SA_S7_PKT3_PKT4_S5_PT5_21rocsparse_index_base_b.uses_flat_scratch, 0
	.set _ZN9rocsparseL20bsrxmvn_17_32_kernelILj19EfiiaafEEvT2_20rocsparse_direction_NS_24const_host_device_scalarIT0_EES1_PKS1_PKT1_SA_S7_PKT3_PKT4_S5_PT5_21rocsparse_index_base_b.has_dyn_sized_stack, 0
	.set _ZN9rocsparseL20bsrxmvn_17_32_kernelILj19EfiiaafEEvT2_20rocsparse_direction_NS_24const_host_device_scalarIT0_EES1_PKS1_PKT1_SA_S7_PKT3_PKT4_S5_PT5_21rocsparse_index_base_b.has_recursion, 0
	.set _ZN9rocsparseL20bsrxmvn_17_32_kernelILj19EfiiaafEEvT2_20rocsparse_direction_NS_24const_host_device_scalarIT0_EES1_PKS1_PKT1_SA_S7_PKT3_PKT4_S5_PT5_21rocsparse_index_base_b.has_indirect_call, 0
	.section	.AMDGPU.csdata,"",@progbits
; Kernel info:
; codeLenInByte = 1232
; TotalNumSgprs: 26
; NumVgprs: 11
; ScratchSize: 0
; MemoryBound: 0
; FloatMode: 240
; IeeeMode: 1
; LDSByteSize: 1444 bytes/workgroup (compile time only)
; SGPRBlocks: 3
; VGPRBlocks: 2
; NumSGPRsForWavesPerEU: 26
; NumVGPRsForWavesPerEU: 11
; Occupancy: 10
; WaveLimiterHint : 1
; COMPUTE_PGM_RSRC2:SCRATCH_EN: 0
; COMPUTE_PGM_RSRC2:USER_SGPR: 6
; COMPUTE_PGM_RSRC2:TRAP_HANDLER: 0
; COMPUTE_PGM_RSRC2:TGID_X_EN: 1
; COMPUTE_PGM_RSRC2:TGID_Y_EN: 0
; COMPUTE_PGM_RSRC2:TGID_Z_EN: 0
; COMPUTE_PGM_RSRC2:TIDIG_COMP_CNT: 0
	.section	.text._ZN9rocsparseL20bsrxmvn_17_32_kernelILj20EfiiaafEEvT2_20rocsparse_direction_NS_24const_host_device_scalarIT0_EES1_PKS1_PKT1_SA_S7_PKT3_PKT4_S5_PT5_21rocsparse_index_base_b,"axG",@progbits,_ZN9rocsparseL20bsrxmvn_17_32_kernelILj20EfiiaafEEvT2_20rocsparse_direction_NS_24const_host_device_scalarIT0_EES1_PKS1_PKT1_SA_S7_PKT3_PKT4_S5_PT5_21rocsparse_index_base_b,comdat
	.globl	_ZN9rocsparseL20bsrxmvn_17_32_kernelILj20EfiiaafEEvT2_20rocsparse_direction_NS_24const_host_device_scalarIT0_EES1_PKS1_PKT1_SA_S7_PKT3_PKT4_S5_PT5_21rocsparse_index_base_b ; -- Begin function _ZN9rocsparseL20bsrxmvn_17_32_kernelILj20EfiiaafEEvT2_20rocsparse_direction_NS_24const_host_device_scalarIT0_EES1_PKS1_PKT1_SA_S7_PKT3_PKT4_S5_PT5_21rocsparse_index_base_b
	.p2align	8
	.type	_ZN9rocsparseL20bsrxmvn_17_32_kernelILj20EfiiaafEEvT2_20rocsparse_direction_NS_24const_host_device_scalarIT0_EES1_PKS1_PKT1_SA_S7_PKT3_PKT4_S5_PT5_21rocsparse_index_base_b,@function
_ZN9rocsparseL20bsrxmvn_17_32_kernelILj20EfiiaafEEvT2_20rocsparse_direction_NS_24const_host_device_scalarIT0_EES1_PKS1_PKT1_SA_S7_PKT3_PKT4_S5_PT5_21rocsparse_index_base_b: ; @_ZN9rocsparseL20bsrxmvn_17_32_kernelILj20EfiiaafEEvT2_20rocsparse_direction_NS_24const_host_device_scalarIT0_EES1_PKS1_PKT1_SA_S7_PKT3_PKT4_S5_PT5_21rocsparse_index_base_b
; %bb.0:
	s_load_dwordx2 s[14:15], s[4:5], 0x58
	s_load_dwordx2 s[10:11], s[4:5], 0x8
	;; [unrolled: 1-line block ×3, first 2 shown]
	s_waitcnt lgkmcnt(0)
	s_bitcmp1_b32 s15, 0
	s_cselect_b64 s[2:3], -1, 0
	s_xor_b64 s[0:1], s[2:3], -1
	s_and_b64 vcc, exec, s[2:3]
	s_cbranch_vccnz .LBB243_2
; %bb.1:
	s_load_dword s10, s[10:11], 0x0
.LBB243_2:
	s_andn2_b64 vcc, exec, s[0:1]
	s_cbranch_vccnz .LBB243_4
; %bb.3:
	s_load_dword s8, s[8:9], 0x0
.LBB243_4:
	s_waitcnt lgkmcnt(0)
	v_cmp_neq_f32_e64 s[0:1], s10, 0
	v_cmp_neq_f32_e64 s[2:3], s8, 1.0
	s_or_b64 s[0:1], s[0:1], s[2:3]
	s_andn2_b64 vcc, exec, s[0:1]
	s_cbranch_vccnz .LBB243_40
; %bb.5:
	s_load_dwordx4 s[0:3], s[4:5], 0x18
	s_load_dwordx2 s[18:19], s[4:5], 0x28
	s_waitcnt lgkmcnt(0)
	s_cmp_eq_u64 s[0:1], 0
	s_cbranch_scc1 .LBB243_7
; %bb.6:
	s_ashr_i32 s7, s6, 31
	s_lshl_b64 s[6:7], s[6:7], 2
	s_add_u32 s0, s0, s6
	s_addc_u32 s1, s1, s7
	s_load_dword s0, s[0:1], 0x0
	s_waitcnt lgkmcnt(0)
	s_sub_i32 s6, s0, s14
.LBB243_7:
	s_load_dword s0, s[4:5], 0x4
	s_load_dwordx2 s[12:13], s[4:5], 0x50
	v_mul_u32_u24_e32 v1, 0xccd, v0
	v_mov_b32_e32 v2, 20
	v_mul_lo_u16_sdwa v3, v1, v2 dst_sel:DWORD dst_unused:UNUSED_PAD src0_sel:WORD_1 src1_sel:DWORD
	s_waitcnt lgkmcnt(0)
	s_cmp_eq_u32 s0, 1
	s_cselect_b64 vcc, -1, 0
	s_cmp_lg_u32 s0, 1
	s_cselect_b64 s[16:17], -1, 0
	s_ashr_i32 s7, s6, 31
	s_lshl_b64 s[0:1], s[6:7], 2
	s_add_u32 s2, s2, s0
	s_addc_u32 s3, s3, s1
	s_load_dword s7, s[2:3], 0x0
	s_add_u32 s2, s2, 4
	s_addc_u32 s3, s3, 0
	s_add_u32 s0, s18, s0
	s_addc_u32 s1, s19, s1
	s_cmp_eq_u64 s[18:19], 0
	s_cselect_b32 s1, s3, s1
	s_cselect_b32 s0, s2, s0
	s_load_dword s9, s[0:1], 0x0
	v_sub_u16_e32 v7, v0, v3
	v_mov_b32_e32 v6, 0
	s_waitcnt lgkmcnt(0)
	s_cmp_ge_i32 s7, s9
	s_cbranch_scc1 .LBB243_12
; %bb.8:
	s_load_dwordx4 s[0:3], s[4:5], 0x30
	s_load_dwordx2 s[18:19], s[4:5], 0x40
	v_mov_b32_e32 v3, 13
	v_mul_lo_u16_sdwa v3, v1, v3 dst_sel:DWORD dst_unused:UNUSED_PAD src0_sel:WORD_1 src1_sel:DWORD
	s_sub_i32 s5, s7, s14
	s_sub_i32 s4, s9, s14
	v_mul_lo_u16_sdwa v2, v3, v2 dst_sel:DWORD dst_unused:UNUSED_PAD src0_sel:BYTE_1 src1_sel:DWORD
	s_mul_i32 s9, s5, 0x190
	v_sub_u16_sdwa v1, v1, v2 dst_sel:DWORD dst_unused:UNUSED_PAD src0_sel:WORD_1 src1_sel:DWORD
	s_mul_hi_i32 s7, s5, 0x190
	s_waitcnt lgkmcnt(0)
	s_add_u32 s2, s2, s9
	v_and_b32_e32 v1, 0xff, v1
	s_addc_u32 s3, s3, s7
	v_cndmask_b32_e32 v1, v7, v1, vcc
	v_mov_b32_e32 v3, s3
	v_add_co_u32_e32 v2, vcc, s2, v0
	s_movk_i32 s2, 0xa4
	v_mov_b32_e32 v6, 0
	v_addc_co_u32_e32 v3, vcc, 0, v3, vcc
	v_mul_u32_u24_sdwa v8, v0, s2 dst_sel:DWORD dst_unused:UNUSED_PAD src0_sel:WORD_0 src1_sel:DWORD
	s_branch .LBB243_10
.LBB243_9:                              ;   in Loop: Header=BB243_10 Depth=1
	s_or_b64 exec, exec, s[2:3]
	s_add_i32 s5, s5, 1
	s_cmp_lt_i32 s5, s4
	s_cbranch_scc0 .LBB243_12
.LBB243_10:                             ; =>This Inner Loop Header: Depth=1
	v_add_u32_sdwa v4, v8, s5 dst_sel:DWORD dst_unused:UNUSED_PAD src0_sel:WORD_1 src1_sel:DWORD
	v_cmp_gt_i32_e32 vcc, s4, v4
	s_and_saveexec_b64 s[2:3], vcc
	s_cbranch_execz .LBB243_9
; %bb.11:                               ;   in Loop: Header=BB243_10 Depth=1
	v_ashrrev_i32_e32 v5, 31, v4
	v_lshlrev_b64 v[4:5], 2, v[4:5]
	v_mov_b32_e32 v9, s1
	v_add_co_u32_e32 v4, vcc, s0, v4
	v_addc_co_u32_e32 v5, vcc, v9, v5, vcc
	global_load_dword v4, v[4:5], off
	s_waitcnt vmcnt(0)
	v_subrev_u32_e32 v4, s14, v4
	v_mad_u64_u32 v[4:5], s[20:21], v4, 20, v[1:2]
	v_mov_b32_e32 v5, s19
	global_load_sbyte v9, v[2:3], off
	v_ashrrev_i32_e32 v10, 31, v4
	v_add_co_u32_e32 v4, vcc, s18, v4
	v_addc_co_u32_e32 v5, vcc, v5, v10, vcc
	global_load_sbyte v4, v[4:5], off
	v_add_co_u32_e32 v2, vcc, 0x190, v2
	v_addc_co_u32_e32 v3, vcc, 0, v3, vcc
	s_waitcnt vmcnt(1)
	v_cvt_f32_i32_e32 v5, v9
	s_waitcnt vmcnt(0)
	v_cvt_f32_i32_e32 v4, v4
	v_fmac_f32_e32 v6, v5, v4
	s_branch .LBB243_9
.LBB243_12:
	v_lshlrev_b32_e32 v1, 2, v0
	s_and_b64 vcc, exec, s[16:17]
	ds_write_b32 v1, v6
	s_waitcnt lgkmcnt(0)
	s_barrier
	s_cbranch_vccz .LBB243_24
; %bb.13:
	v_cmp_gt_u16_e32 vcc, 4, v7
	s_and_saveexec_b64 s[0:1], vcc
	s_cbranch_execz .LBB243_15
; %bb.14:
	ds_read2_b32 v[2:3], v1 offset1:16
	s_waitcnt lgkmcnt(0)
	v_add_f32_e32 v2, v3, v2
	ds_write_b32 v1, v2
.LBB243_15:
	s_or_b64 exec, exec, s[0:1]
	v_cmp_gt_u16_e64 s[0:1], 8, v7
	s_waitcnt lgkmcnt(0)
	s_barrier
	s_and_saveexec_b64 s[2:3], s[0:1]
	s_cbranch_execz .LBB243_17
; %bb.16:
	ds_read2_b32 v[2:3], v1 offset1:8
	s_waitcnt lgkmcnt(0)
	v_add_f32_e32 v2, v3, v2
	ds_write_b32 v1, v2
.LBB243_17:
	s_or_b64 exec, exec, s[2:3]
	s_waitcnt lgkmcnt(0)
	s_barrier
	s_and_saveexec_b64 s[0:1], vcc
	s_cbranch_execz .LBB243_19
; %bb.18:
	ds_read2_b32 v[2:3], v1 offset1:4
	s_waitcnt lgkmcnt(0)
	v_add_f32_e32 v2, v3, v2
	ds_write_b32 v1, v2
.LBB243_19:
	s_or_b64 exec, exec, s[0:1]
	v_cmp_gt_u16_e32 vcc, 2, v7
	s_waitcnt lgkmcnt(0)
	s_barrier
	s_and_saveexec_b64 s[0:1], vcc
	s_cbranch_execz .LBB243_21
; %bb.20:
	ds_read2_b32 v[2:3], v1 offset1:2
	s_waitcnt lgkmcnt(0)
	v_add_f32_e32 v2, v3, v2
	ds_write_b32 v1, v2
.LBB243_21:
	s_or_b64 exec, exec, s[0:1]
	v_cmp_gt_u32_e32 vcc, 20, v0
	v_mov_b32_e32 v2, v6
	s_waitcnt lgkmcnt(0)
	s_barrier
	s_and_saveexec_b64 s[0:1], vcc
	s_cbranch_execz .LBB243_23
; %bb.22:
	s_movk_i32 s2, 0x4c
	v_mad_u32_u24 v2, v0, s2, v1
	ds_read_b64 v[2:3], v2
	s_waitcnt lgkmcnt(0)
	v_add_f32_e32 v2, v2, v3
.LBB243_23:
	s_or_b64 exec, exec, s[0:1]
	s_branch .LBB243_36
.LBB243_24:
                                        ; implicit-def: $vgpr2
	s_cbranch_execz .LBB243_36
; %bb.25:
	s_movk_i32 s0, 0x50
	v_cmp_gt_u32_e32 vcc, s0, v0
	s_and_saveexec_b64 s[0:1], vcc
	s_cbranch_execz .LBB243_27
; %bb.26:
	ds_read2st64_b32 v[2:3], v1 offset1:5
	s_waitcnt lgkmcnt(0)
	v_add_f32_e32 v2, v3, v2
	ds_write_b32 v1, v2
.LBB243_27:
	s_or_b64 exec, exec, s[0:1]
	s_movk_i32 s0, 0xa0
	v_cmp_gt_u32_e64 s[0:1], s0, v0
	s_waitcnt lgkmcnt(0)
	s_barrier
	s_and_saveexec_b64 s[2:3], s[0:1]
	s_cbranch_execz .LBB243_29
; %bb.28:
	ds_read2_b32 v[2:3], v1 offset1:160
	s_waitcnt lgkmcnt(0)
	v_add_f32_e32 v2, v3, v2
	ds_write_b32 v1, v2
.LBB243_29:
	s_or_b64 exec, exec, s[2:3]
	s_waitcnt lgkmcnt(0)
	s_barrier
	s_and_saveexec_b64 s[0:1], vcc
	s_cbranch_execz .LBB243_31
; %bb.30:
	ds_read2_b32 v[2:3], v1 offset1:80
	s_waitcnt lgkmcnt(0)
	v_add_f32_e32 v2, v3, v2
	ds_write_b32 v1, v2
.LBB243_31:
	s_or_b64 exec, exec, s[0:1]
	v_cmp_gt_u32_e32 vcc, 40, v0
	s_waitcnt lgkmcnt(0)
	s_barrier
	s_and_saveexec_b64 s[0:1], vcc
	s_cbranch_execz .LBB243_33
; %bb.32:
	ds_read2_b32 v[2:3], v1 offset1:40
	s_waitcnt lgkmcnt(0)
	v_add_f32_e32 v2, v3, v2
	ds_write_b32 v1, v2
.LBB243_33:
	s_or_b64 exec, exec, s[0:1]
	v_cmp_gt_u32_e32 vcc, 20, v0
	s_waitcnt lgkmcnt(0)
	s_and_saveexec_b64 s[0:1], vcc
	s_cbranch_execz .LBB243_35
; %bb.34:
	ds_read2_b32 v[1:2], v1 offset1:20
	s_waitcnt lgkmcnt(0)
	v_add_f32_e32 v6, v1, v2
.LBB243_35:
	s_or_b64 exec, exec, s[0:1]
	v_mov_b32_e32 v2, v6
.LBB243_36:
	v_cmp_gt_u32_e32 vcc, 20, v0
	s_and_saveexec_b64 s[0:1], vcc
	s_cbranch_execz .LBB243_40
; %bb.37:
	v_cmp_eq_f32_e64 s[0:1], s8, 0
	s_and_b64 vcc, exec, s[0:1]
	v_mul_f32_e32 v1, s10, v2
	s_cbranch_vccz .LBB243_41
; %bb.38:
	v_mad_u64_u32 v[2:3], s[0:1], s6, 20, v[0:1]
	v_mov_b32_e32 v3, 0
	v_mov_b32_e32 v4, s13
	v_lshlrev_b64 v[2:3], 2, v[2:3]
	v_add_co_u32_e32 v2, vcc, s12, v2
	v_addc_co_u32_e32 v3, vcc, v4, v3, vcc
	global_store_dword v[2:3], v1, off
	s_cbranch_execnz .LBB243_40
.LBB243_39:
	v_mad_u64_u32 v[2:3], s[0:1], s6, 20, v[0:1]
	v_mov_b32_e32 v3, 0
	v_mov_b32_e32 v0, s13
	v_lshlrev_b64 v[2:3], 2, v[2:3]
	v_add_co_u32_e32 v2, vcc, s12, v2
	v_addc_co_u32_e32 v3, vcc, v0, v3, vcc
	global_load_dword v0, v[2:3], off
	s_waitcnt vmcnt(0)
	v_fmac_f32_e32 v1, s8, v0
	global_store_dword v[2:3], v1, off
.LBB243_40:
	s_endpgm
.LBB243_41:
	s_branch .LBB243_39
	.section	.rodata,"a",@progbits
	.p2align	6, 0x0
	.amdhsa_kernel _ZN9rocsparseL20bsrxmvn_17_32_kernelILj20EfiiaafEEvT2_20rocsparse_direction_NS_24const_host_device_scalarIT0_EES1_PKS1_PKT1_SA_S7_PKT3_PKT4_S5_PT5_21rocsparse_index_base_b
		.amdhsa_group_segment_fixed_size 1600
		.amdhsa_private_segment_fixed_size 0
		.amdhsa_kernarg_size 96
		.amdhsa_user_sgpr_count 6
		.amdhsa_user_sgpr_private_segment_buffer 1
		.amdhsa_user_sgpr_dispatch_ptr 0
		.amdhsa_user_sgpr_queue_ptr 0
		.amdhsa_user_sgpr_kernarg_segment_ptr 1
		.amdhsa_user_sgpr_dispatch_id 0
		.amdhsa_user_sgpr_flat_scratch_init 0
		.amdhsa_user_sgpr_private_segment_size 0
		.amdhsa_uses_dynamic_stack 0
		.amdhsa_system_sgpr_private_segment_wavefront_offset 0
		.amdhsa_system_sgpr_workgroup_id_x 1
		.amdhsa_system_sgpr_workgroup_id_y 0
		.amdhsa_system_sgpr_workgroup_id_z 0
		.amdhsa_system_sgpr_workgroup_info 0
		.amdhsa_system_vgpr_workitem_id 0
		.amdhsa_next_free_vgpr 11
		.amdhsa_next_free_sgpr 22
		.amdhsa_reserve_vcc 1
		.amdhsa_reserve_flat_scratch 0
		.amdhsa_float_round_mode_32 0
		.amdhsa_float_round_mode_16_64 0
		.amdhsa_float_denorm_mode_32 3
		.amdhsa_float_denorm_mode_16_64 3
		.amdhsa_dx10_clamp 1
		.amdhsa_ieee_mode 1
		.amdhsa_fp16_overflow 0
		.amdhsa_exception_fp_ieee_invalid_op 0
		.amdhsa_exception_fp_denorm_src 0
		.amdhsa_exception_fp_ieee_div_zero 0
		.amdhsa_exception_fp_ieee_overflow 0
		.amdhsa_exception_fp_ieee_underflow 0
		.amdhsa_exception_fp_ieee_inexact 0
		.amdhsa_exception_int_div_zero 0
	.end_amdhsa_kernel
	.section	.text._ZN9rocsparseL20bsrxmvn_17_32_kernelILj20EfiiaafEEvT2_20rocsparse_direction_NS_24const_host_device_scalarIT0_EES1_PKS1_PKT1_SA_S7_PKT3_PKT4_S5_PT5_21rocsparse_index_base_b,"axG",@progbits,_ZN9rocsparseL20bsrxmvn_17_32_kernelILj20EfiiaafEEvT2_20rocsparse_direction_NS_24const_host_device_scalarIT0_EES1_PKS1_PKT1_SA_S7_PKT3_PKT4_S5_PT5_21rocsparse_index_base_b,comdat
.Lfunc_end243:
	.size	_ZN9rocsparseL20bsrxmvn_17_32_kernelILj20EfiiaafEEvT2_20rocsparse_direction_NS_24const_host_device_scalarIT0_EES1_PKS1_PKT1_SA_S7_PKT3_PKT4_S5_PT5_21rocsparse_index_base_b, .Lfunc_end243-_ZN9rocsparseL20bsrxmvn_17_32_kernelILj20EfiiaafEEvT2_20rocsparse_direction_NS_24const_host_device_scalarIT0_EES1_PKS1_PKT1_SA_S7_PKT3_PKT4_S5_PT5_21rocsparse_index_base_b
                                        ; -- End function
	.set _ZN9rocsparseL20bsrxmvn_17_32_kernelILj20EfiiaafEEvT2_20rocsparse_direction_NS_24const_host_device_scalarIT0_EES1_PKS1_PKT1_SA_S7_PKT3_PKT4_S5_PT5_21rocsparse_index_base_b.num_vgpr, 11
	.set _ZN9rocsparseL20bsrxmvn_17_32_kernelILj20EfiiaafEEvT2_20rocsparse_direction_NS_24const_host_device_scalarIT0_EES1_PKS1_PKT1_SA_S7_PKT3_PKT4_S5_PT5_21rocsparse_index_base_b.num_agpr, 0
	.set _ZN9rocsparseL20bsrxmvn_17_32_kernelILj20EfiiaafEEvT2_20rocsparse_direction_NS_24const_host_device_scalarIT0_EES1_PKS1_PKT1_SA_S7_PKT3_PKT4_S5_PT5_21rocsparse_index_base_b.numbered_sgpr, 22
	.set _ZN9rocsparseL20bsrxmvn_17_32_kernelILj20EfiiaafEEvT2_20rocsparse_direction_NS_24const_host_device_scalarIT0_EES1_PKS1_PKT1_SA_S7_PKT3_PKT4_S5_PT5_21rocsparse_index_base_b.num_named_barrier, 0
	.set _ZN9rocsparseL20bsrxmvn_17_32_kernelILj20EfiiaafEEvT2_20rocsparse_direction_NS_24const_host_device_scalarIT0_EES1_PKS1_PKT1_SA_S7_PKT3_PKT4_S5_PT5_21rocsparse_index_base_b.private_seg_size, 0
	.set _ZN9rocsparseL20bsrxmvn_17_32_kernelILj20EfiiaafEEvT2_20rocsparse_direction_NS_24const_host_device_scalarIT0_EES1_PKS1_PKT1_SA_S7_PKT3_PKT4_S5_PT5_21rocsparse_index_base_b.uses_vcc, 1
	.set _ZN9rocsparseL20bsrxmvn_17_32_kernelILj20EfiiaafEEvT2_20rocsparse_direction_NS_24const_host_device_scalarIT0_EES1_PKS1_PKT1_SA_S7_PKT3_PKT4_S5_PT5_21rocsparse_index_base_b.uses_flat_scratch, 0
	.set _ZN9rocsparseL20bsrxmvn_17_32_kernelILj20EfiiaafEEvT2_20rocsparse_direction_NS_24const_host_device_scalarIT0_EES1_PKS1_PKT1_SA_S7_PKT3_PKT4_S5_PT5_21rocsparse_index_base_b.has_dyn_sized_stack, 0
	.set _ZN9rocsparseL20bsrxmvn_17_32_kernelILj20EfiiaafEEvT2_20rocsparse_direction_NS_24const_host_device_scalarIT0_EES1_PKS1_PKT1_SA_S7_PKT3_PKT4_S5_PT5_21rocsparse_index_base_b.has_recursion, 0
	.set _ZN9rocsparseL20bsrxmvn_17_32_kernelILj20EfiiaafEEvT2_20rocsparse_direction_NS_24const_host_device_scalarIT0_EES1_PKS1_PKT1_SA_S7_PKT3_PKT4_S5_PT5_21rocsparse_index_base_b.has_indirect_call, 0
	.section	.AMDGPU.csdata,"",@progbits
; Kernel info:
; codeLenInByte = 1224
; TotalNumSgprs: 26
; NumVgprs: 11
; ScratchSize: 0
; MemoryBound: 0
; FloatMode: 240
; IeeeMode: 1
; LDSByteSize: 1600 bytes/workgroup (compile time only)
; SGPRBlocks: 3
; VGPRBlocks: 2
; NumSGPRsForWavesPerEU: 26
; NumVGPRsForWavesPerEU: 11
; Occupancy: 10
; WaveLimiterHint : 1
; COMPUTE_PGM_RSRC2:SCRATCH_EN: 0
; COMPUTE_PGM_RSRC2:USER_SGPR: 6
; COMPUTE_PGM_RSRC2:TRAP_HANDLER: 0
; COMPUTE_PGM_RSRC2:TGID_X_EN: 1
; COMPUTE_PGM_RSRC2:TGID_Y_EN: 0
; COMPUTE_PGM_RSRC2:TGID_Z_EN: 0
; COMPUTE_PGM_RSRC2:TIDIG_COMP_CNT: 0
	.section	.text._ZN9rocsparseL20bsrxmvn_17_32_kernelILj21EfiiaafEEvT2_20rocsparse_direction_NS_24const_host_device_scalarIT0_EES1_PKS1_PKT1_SA_S7_PKT3_PKT4_S5_PT5_21rocsparse_index_base_b,"axG",@progbits,_ZN9rocsparseL20bsrxmvn_17_32_kernelILj21EfiiaafEEvT2_20rocsparse_direction_NS_24const_host_device_scalarIT0_EES1_PKS1_PKT1_SA_S7_PKT3_PKT4_S5_PT5_21rocsparse_index_base_b,comdat
	.globl	_ZN9rocsparseL20bsrxmvn_17_32_kernelILj21EfiiaafEEvT2_20rocsparse_direction_NS_24const_host_device_scalarIT0_EES1_PKS1_PKT1_SA_S7_PKT3_PKT4_S5_PT5_21rocsparse_index_base_b ; -- Begin function _ZN9rocsparseL20bsrxmvn_17_32_kernelILj21EfiiaafEEvT2_20rocsparse_direction_NS_24const_host_device_scalarIT0_EES1_PKS1_PKT1_SA_S7_PKT3_PKT4_S5_PT5_21rocsparse_index_base_b
	.p2align	8
	.type	_ZN9rocsparseL20bsrxmvn_17_32_kernelILj21EfiiaafEEvT2_20rocsparse_direction_NS_24const_host_device_scalarIT0_EES1_PKS1_PKT1_SA_S7_PKT3_PKT4_S5_PT5_21rocsparse_index_base_b,@function
_ZN9rocsparseL20bsrxmvn_17_32_kernelILj21EfiiaafEEvT2_20rocsparse_direction_NS_24const_host_device_scalarIT0_EES1_PKS1_PKT1_SA_S7_PKT3_PKT4_S5_PT5_21rocsparse_index_base_b: ; @_ZN9rocsparseL20bsrxmvn_17_32_kernelILj21EfiiaafEEvT2_20rocsparse_direction_NS_24const_host_device_scalarIT0_EES1_PKS1_PKT1_SA_S7_PKT3_PKT4_S5_PT5_21rocsparse_index_base_b
; %bb.0:
	s_load_dwordx2 s[14:15], s[4:5], 0x58
	s_load_dwordx2 s[10:11], s[4:5], 0x8
	;; [unrolled: 1-line block ×3, first 2 shown]
	s_waitcnt lgkmcnt(0)
	s_bitcmp1_b32 s15, 0
	s_cselect_b64 s[2:3], -1, 0
	s_xor_b64 s[0:1], s[2:3], -1
	s_and_b64 vcc, exec, s[2:3]
	s_cbranch_vccnz .LBB244_2
; %bb.1:
	s_load_dword s10, s[10:11], 0x0
.LBB244_2:
	s_andn2_b64 vcc, exec, s[0:1]
	s_cbranch_vccnz .LBB244_4
; %bb.3:
	s_load_dword s8, s[8:9], 0x0
.LBB244_4:
	s_waitcnt lgkmcnt(0)
	v_cmp_neq_f32_e64 s[0:1], s10, 0
	v_cmp_neq_f32_e64 s[2:3], s8, 1.0
	s_or_b64 s[0:1], s[0:1], s[2:3]
	s_andn2_b64 vcc, exec, s[0:1]
	s_cbranch_vccnz .LBB244_40
; %bb.5:
	s_load_dwordx4 s[0:3], s[4:5], 0x18
	s_load_dwordx2 s[18:19], s[4:5], 0x28
	s_waitcnt lgkmcnt(0)
	s_cmp_eq_u64 s[0:1], 0
	s_cbranch_scc1 .LBB244_7
; %bb.6:
	s_ashr_i32 s7, s6, 31
	s_lshl_b64 s[6:7], s[6:7], 2
	s_add_u32 s0, s0, s6
	s_addc_u32 s1, s1, s7
	s_load_dword s0, s[0:1], 0x0
	s_waitcnt lgkmcnt(0)
	s_sub_i32 s6, s0, s14
.LBB244_7:
	s_load_dword s0, s[4:5], 0x4
	s_load_dwordx2 s[12:13], s[4:5], 0x50
	v_mul_u32_u24_e32 v1, 0xc31, v0
	v_mov_b32_e32 v2, 21
	v_mul_lo_u16_sdwa v2, v1, v2 dst_sel:DWORD dst_unused:UNUSED_PAD src0_sel:WORD_1 src1_sel:DWORD
	s_waitcnt lgkmcnt(0)
	s_cmp_eq_u32 s0, 1
	s_cselect_b64 vcc, -1, 0
	s_cmp_lg_u32 s0, 1
	s_cselect_b64 s[16:17], -1, 0
	s_ashr_i32 s7, s6, 31
	s_lshl_b64 s[0:1], s[6:7], 2
	s_add_u32 s2, s2, s0
	s_addc_u32 s3, s3, s1
	s_load_dword s7, s[2:3], 0x0
	s_add_u32 s2, s2, 4
	s_addc_u32 s3, s3, 0
	s_add_u32 s0, s18, s0
	s_addc_u32 s1, s19, s1
	s_cmp_eq_u64 s[18:19], 0
	s_cselect_b32 s1, s3, s1
	s_cselect_b32 s0, s2, s0
	s_load_dword s9, s[0:1], 0x0
	v_sub_u16_e32 v7, v0, v2
	v_mov_b32_e32 v6, 0
	s_waitcnt lgkmcnt(0)
	s_cmp_ge_i32 s7, s9
	s_cbranch_scc1 .LBB244_12
; %bb.8:
	v_mov_b32_e32 v2, 25
	s_load_dwordx4 s[0:3], s[4:5], 0x30
	s_load_dwordx2 s[18:19], s[4:5], 0x40
	v_mul_lo_u16_sdwa v2, v1, v2 dst_sel:DWORD dst_unused:UNUSED_PAD src0_sel:WORD_1 src1_sel:DWORD
	v_lshrrev_b16_e32 v2, 9, v2
	v_mul_lo_u16_e32 v2, 21, v2
	s_sub_i32 s5, s7, s14
	s_sub_i32 s4, s9, s14
	v_sub_u16_sdwa v1, v1, v2 dst_sel:DWORD dst_unused:UNUSED_PAD src0_sel:WORD_1 src1_sel:DWORD
	s_mul_i32 s9, s5, 0x1b9
	v_and_b32_e32 v1, 0xff, v1
	s_mul_hi_i32 s7, s5, 0x1b9
	s_waitcnt lgkmcnt(0)
	s_add_u32 s2, s2, s9
	v_cndmask_b32_e32 v1, v7, v1, vcc
	s_addc_u32 s3, s3, s7
	v_add_co_u32_e32 v2, vcc, s2, v0
	s_movk_i32 s2, 0x253
	v_mov_b32_e32 v3, s3
	v_mul_u32_u24_sdwa v4, v0, s2 dst_sel:DWORD dst_unused:UNUSED_PAD src0_sel:WORD_0 src1_sel:DWORD
	v_mov_b32_e32 v6, 0
	v_addc_co_u32_e32 v3, vcc, 0, v3, vcc
	v_lshrrev_b32_e32 v8, 18, v4
	s_branch .LBB244_10
.LBB244_9:                              ;   in Loop: Header=BB244_10 Depth=1
	s_or_b64 exec, exec, s[2:3]
	s_add_i32 s5, s5, 1
	s_cmp_lt_i32 s5, s4
	s_cbranch_scc0 .LBB244_12
.LBB244_10:                             ; =>This Inner Loop Header: Depth=1
	v_add_u32_e32 v4, s5, v8
	v_cmp_gt_i32_e32 vcc, s4, v4
	s_and_saveexec_b64 s[2:3], vcc
	s_cbranch_execz .LBB244_9
; %bb.11:                               ;   in Loop: Header=BB244_10 Depth=1
	v_ashrrev_i32_e32 v5, 31, v4
	v_lshlrev_b64 v[4:5], 2, v[4:5]
	v_mov_b32_e32 v9, s1
	v_add_co_u32_e32 v4, vcc, s0, v4
	v_addc_co_u32_e32 v5, vcc, v9, v5, vcc
	global_load_dword v4, v[4:5], off
	s_waitcnt vmcnt(0)
	v_subrev_u32_e32 v4, s14, v4
	v_mad_u64_u32 v[4:5], s[20:21], v4, 21, v[1:2]
	v_mov_b32_e32 v5, s19
	global_load_sbyte v9, v[2:3], off
	v_ashrrev_i32_e32 v10, 31, v4
	v_add_co_u32_e32 v4, vcc, s18, v4
	v_addc_co_u32_e32 v5, vcc, v5, v10, vcc
	global_load_sbyte v4, v[4:5], off
	v_add_co_u32_e32 v2, vcc, 0x1b9, v2
	v_addc_co_u32_e32 v3, vcc, 0, v3, vcc
	s_waitcnt vmcnt(1)
	v_cvt_f32_i32_e32 v5, v9
	s_waitcnt vmcnt(0)
	v_cvt_f32_i32_e32 v4, v4
	v_fmac_f32_e32 v6, v5, v4
	s_branch .LBB244_9
.LBB244_12:
	v_lshlrev_b32_e32 v1, 2, v0
	s_and_b64 vcc, exec, s[16:17]
	ds_write_b32 v1, v6
	s_waitcnt lgkmcnt(0)
	s_barrier
	s_cbranch_vccz .LBB244_24
; %bb.13:
	v_cmp_gt_u16_e32 vcc, 5, v7
	s_and_saveexec_b64 s[0:1], vcc
	s_cbranch_execz .LBB244_15
; %bb.14:
	ds_read2_b32 v[2:3], v1 offset1:16
	s_waitcnt lgkmcnt(0)
	v_add_f32_e32 v2, v3, v2
	ds_write_b32 v1, v2
.LBB244_15:
	s_or_b64 exec, exec, s[0:1]
	v_cmp_gt_u16_e32 vcc, 8, v7
	s_waitcnt lgkmcnt(0)
	s_barrier
	s_and_saveexec_b64 s[0:1], vcc
	s_cbranch_execz .LBB244_17
; %bb.16:
	ds_read2_b32 v[2:3], v1 offset1:8
	s_waitcnt lgkmcnt(0)
	v_add_f32_e32 v2, v3, v2
	ds_write_b32 v1, v2
.LBB244_17:
	s_or_b64 exec, exec, s[0:1]
	v_cmp_gt_u16_e32 vcc, 4, v7
	s_waitcnt lgkmcnt(0)
	s_barrier
	;; [unrolled: 12-line block ×3, first 2 shown]
	s_and_saveexec_b64 s[0:1], vcc
	s_cbranch_execz .LBB244_21
; %bb.20:
	ds_read2_b32 v[2:3], v1 offset1:2
	s_waitcnt lgkmcnt(0)
	v_add_f32_e32 v2, v3, v2
	ds_write_b32 v1, v2
.LBB244_21:
	s_or_b64 exec, exec, s[0:1]
	v_cmp_gt_u32_e32 vcc, 21, v0
	v_mov_b32_e32 v2, v6
	s_waitcnt lgkmcnt(0)
	s_barrier
	s_and_saveexec_b64 s[0:1], vcc
	s_cbranch_execz .LBB244_23
; %bb.22:
	s_movk_i32 s2, 0x50
	v_mad_u32_u24 v2, v0, s2, v1
	ds_read2_b32 v[2:3], v2 offset1:1
	s_waitcnt lgkmcnt(0)
	v_add_f32_e32 v2, v2, v3
.LBB244_23:
	s_or_b64 exec, exec, s[0:1]
	s_branch .LBB244_36
.LBB244_24:
                                        ; implicit-def: $vgpr2
	s_cbranch_execz .LBB244_36
; %bb.25:
	s_movk_i32 s0, 0x69
	v_cmp_gt_u32_e32 vcc, s0, v0
	s_and_saveexec_b64 s[0:1], vcc
	s_cbranch_execz .LBB244_27
; %bb.26:
	ds_read_b32 v2, v1 offset:1344
	ds_read_b32 v3, v1
	s_waitcnt lgkmcnt(0)
	v_add_f32_e32 v2, v2, v3
	ds_write_b32 v1, v2
.LBB244_27:
	s_or_b64 exec, exec, s[0:1]
	s_movk_i32 s0, 0xa8
	v_cmp_gt_u32_e32 vcc, s0, v0
	s_waitcnt lgkmcnt(0)
	s_barrier
	s_and_saveexec_b64 s[0:1], vcc
	s_cbranch_execz .LBB244_29
; %bb.28:
	ds_read2_b32 v[2:3], v1 offset1:168
	s_waitcnt lgkmcnt(0)
	v_add_f32_e32 v2, v3, v2
	ds_write_b32 v1, v2
.LBB244_29:
	s_or_b64 exec, exec, s[0:1]
	s_movk_i32 s0, 0x54
	v_cmp_gt_u32_e32 vcc, s0, v0
	s_waitcnt lgkmcnt(0)
	s_barrier
	s_and_saveexec_b64 s[0:1], vcc
	s_cbranch_execz .LBB244_31
; %bb.30:
	ds_read2_b32 v[2:3], v1 offset1:84
	s_waitcnt lgkmcnt(0)
	v_add_f32_e32 v2, v3, v2
	ds_write_b32 v1, v2
.LBB244_31:
	s_or_b64 exec, exec, s[0:1]
	v_cmp_gt_u32_e32 vcc, 42, v0
	s_waitcnt lgkmcnt(0)
	s_barrier
	s_and_saveexec_b64 s[0:1], vcc
	s_cbranch_execz .LBB244_33
; %bb.32:
	ds_read2_b32 v[2:3], v1 offset1:42
	s_waitcnt lgkmcnt(0)
	v_add_f32_e32 v2, v3, v2
	ds_write_b32 v1, v2
.LBB244_33:
	s_or_b64 exec, exec, s[0:1]
	v_cmp_gt_u32_e32 vcc, 21, v0
	s_waitcnt lgkmcnt(0)
	s_and_saveexec_b64 s[0:1], vcc
	s_cbranch_execz .LBB244_35
; %bb.34:
	ds_read2_b32 v[1:2], v1 offset1:21
	s_waitcnt lgkmcnt(0)
	v_add_f32_e32 v6, v1, v2
.LBB244_35:
	s_or_b64 exec, exec, s[0:1]
	v_mov_b32_e32 v2, v6
.LBB244_36:
	v_cmp_gt_u32_e32 vcc, 21, v0
	s_and_saveexec_b64 s[0:1], vcc
	s_cbranch_execz .LBB244_40
; %bb.37:
	v_cmp_eq_f32_e64 s[0:1], s8, 0
	s_and_b64 vcc, exec, s[0:1]
	v_mul_f32_e32 v1, s10, v2
	s_cbranch_vccz .LBB244_41
; %bb.38:
	v_mad_u64_u32 v[2:3], s[0:1], s6, 21, v[0:1]
	v_mov_b32_e32 v3, 0
	v_mov_b32_e32 v4, s13
	v_lshlrev_b64 v[2:3], 2, v[2:3]
	v_add_co_u32_e32 v2, vcc, s12, v2
	v_addc_co_u32_e32 v3, vcc, v4, v3, vcc
	global_store_dword v[2:3], v1, off
	s_cbranch_execnz .LBB244_40
.LBB244_39:
	v_mad_u64_u32 v[2:3], s[0:1], s6, 21, v[0:1]
	v_mov_b32_e32 v3, 0
	v_mov_b32_e32 v0, s13
	v_lshlrev_b64 v[2:3], 2, v[2:3]
	v_add_co_u32_e32 v2, vcc, s12, v2
	v_addc_co_u32_e32 v3, vcc, v0, v3, vcc
	global_load_dword v0, v[2:3], off
	s_waitcnt vmcnt(0)
	v_fmac_f32_e32 v1, s8, v0
	global_store_dword v[2:3], v1, off
.LBB244_40:
	s_endpgm
.LBB244_41:
	s_branch .LBB244_39
	.section	.rodata,"a",@progbits
	.p2align	6, 0x0
	.amdhsa_kernel _ZN9rocsparseL20bsrxmvn_17_32_kernelILj21EfiiaafEEvT2_20rocsparse_direction_NS_24const_host_device_scalarIT0_EES1_PKS1_PKT1_SA_S7_PKT3_PKT4_S5_PT5_21rocsparse_index_base_b
		.amdhsa_group_segment_fixed_size 1764
		.amdhsa_private_segment_fixed_size 0
		.amdhsa_kernarg_size 96
		.amdhsa_user_sgpr_count 6
		.amdhsa_user_sgpr_private_segment_buffer 1
		.amdhsa_user_sgpr_dispatch_ptr 0
		.amdhsa_user_sgpr_queue_ptr 0
		.amdhsa_user_sgpr_kernarg_segment_ptr 1
		.amdhsa_user_sgpr_dispatch_id 0
		.amdhsa_user_sgpr_flat_scratch_init 0
		.amdhsa_user_sgpr_private_segment_size 0
		.amdhsa_uses_dynamic_stack 0
		.amdhsa_system_sgpr_private_segment_wavefront_offset 0
		.amdhsa_system_sgpr_workgroup_id_x 1
		.amdhsa_system_sgpr_workgroup_id_y 0
		.amdhsa_system_sgpr_workgroup_id_z 0
		.amdhsa_system_sgpr_workgroup_info 0
		.amdhsa_system_vgpr_workitem_id 0
		.amdhsa_next_free_vgpr 11
		.amdhsa_next_free_sgpr 22
		.amdhsa_reserve_vcc 1
		.amdhsa_reserve_flat_scratch 0
		.amdhsa_float_round_mode_32 0
		.amdhsa_float_round_mode_16_64 0
		.amdhsa_float_denorm_mode_32 3
		.amdhsa_float_denorm_mode_16_64 3
		.amdhsa_dx10_clamp 1
		.amdhsa_ieee_mode 1
		.amdhsa_fp16_overflow 0
		.amdhsa_exception_fp_ieee_invalid_op 0
		.amdhsa_exception_fp_denorm_src 0
		.amdhsa_exception_fp_ieee_div_zero 0
		.amdhsa_exception_fp_ieee_overflow 0
		.amdhsa_exception_fp_ieee_underflow 0
		.amdhsa_exception_fp_ieee_inexact 0
		.amdhsa_exception_int_div_zero 0
	.end_amdhsa_kernel
	.section	.text._ZN9rocsparseL20bsrxmvn_17_32_kernelILj21EfiiaafEEvT2_20rocsparse_direction_NS_24const_host_device_scalarIT0_EES1_PKS1_PKT1_SA_S7_PKT3_PKT4_S5_PT5_21rocsparse_index_base_b,"axG",@progbits,_ZN9rocsparseL20bsrxmvn_17_32_kernelILj21EfiiaafEEvT2_20rocsparse_direction_NS_24const_host_device_scalarIT0_EES1_PKS1_PKT1_SA_S7_PKT3_PKT4_S5_PT5_21rocsparse_index_base_b,comdat
.Lfunc_end244:
	.size	_ZN9rocsparseL20bsrxmvn_17_32_kernelILj21EfiiaafEEvT2_20rocsparse_direction_NS_24const_host_device_scalarIT0_EES1_PKS1_PKT1_SA_S7_PKT3_PKT4_S5_PT5_21rocsparse_index_base_b, .Lfunc_end244-_ZN9rocsparseL20bsrxmvn_17_32_kernelILj21EfiiaafEEvT2_20rocsparse_direction_NS_24const_host_device_scalarIT0_EES1_PKS1_PKT1_SA_S7_PKT3_PKT4_S5_PT5_21rocsparse_index_base_b
                                        ; -- End function
	.set _ZN9rocsparseL20bsrxmvn_17_32_kernelILj21EfiiaafEEvT2_20rocsparse_direction_NS_24const_host_device_scalarIT0_EES1_PKS1_PKT1_SA_S7_PKT3_PKT4_S5_PT5_21rocsparse_index_base_b.num_vgpr, 11
	.set _ZN9rocsparseL20bsrxmvn_17_32_kernelILj21EfiiaafEEvT2_20rocsparse_direction_NS_24const_host_device_scalarIT0_EES1_PKS1_PKT1_SA_S7_PKT3_PKT4_S5_PT5_21rocsparse_index_base_b.num_agpr, 0
	.set _ZN9rocsparseL20bsrxmvn_17_32_kernelILj21EfiiaafEEvT2_20rocsparse_direction_NS_24const_host_device_scalarIT0_EES1_PKS1_PKT1_SA_S7_PKT3_PKT4_S5_PT5_21rocsparse_index_base_b.numbered_sgpr, 22
	.set _ZN9rocsparseL20bsrxmvn_17_32_kernelILj21EfiiaafEEvT2_20rocsparse_direction_NS_24const_host_device_scalarIT0_EES1_PKS1_PKT1_SA_S7_PKT3_PKT4_S5_PT5_21rocsparse_index_base_b.num_named_barrier, 0
	.set _ZN9rocsparseL20bsrxmvn_17_32_kernelILj21EfiiaafEEvT2_20rocsparse_direction_NS_24const_host_device_scalarIT0_EES1_PKS1_PKT1_SA_S7_PKT3_PKT4_S5_PT5_21rocsparse_index_base_b.private_seg_size, 0
	.set _ZN9rocsparseL20bsrxmvn_17_32_kernelILj21EfiiaafEEvT2_20rocsparse_direction_NS_24const_host_device_scalarIT0_EES1_PKS1_PKT1_SA_S7_PKT3_PKT4_S5_PT5_21rocsparse_index_base_b.uses_vcc, 1
	.set _ZN9rocsparseL20bsrxmvn_17_32_kernelILj21EfiiaafEEvT2_20rocsparse_direction_NS_24const_host_device_scalarIT0_EES1_PKS1_PKT1_SA_S7_PKT3_PKT4_S5_PT5_21rocsparse_index_base_b.uses_flat_scratch, 0
	.set _ZN9rocsparseL20bsrxmvn_17_32_kernelILj21EfiiaafEEvT2_20rocsparse_direction_NS_24const_host_device_scalarIT0_EES1_PKS1_PKT1_SA_S7_PKT3_PKT4_S5_PT5_21rocsparse_index_base_b.has_dyn_sized_stack, 0
	.set _ZN9rocsparseL20bsrxmvn_17_32_kernelILj21EfiiaafEEvT2_20rocsparse_direction_NS_24const_host_device_scalarIT0_EES1_PKS1_PKT1_SA_S7_PKT3_PKT4_S5_PT5_21rocsparse_index_base_b.has_recursion, 0
	.set _ZN9rocsparseL20bsrxmvn_17_32_kernelILj21EfiiaafEEvT2_20rocsparse_direction_NS_24const_host_device_scalarIT0_EES1_PKS1_PKT1_SA_S7_PKT3_PKT4_S5_PT5_21rocsparse_index_base_b.has_indirect_call, 0
	.section	.AMDGPU.csdata,"",@progbits
; Kernel info:
; codeLenInByte = 1236
; TotalNumSgprs: 26
; NumVgprs: 11
; ScratchSize: 0
; MemoryBound: 0
; FloatMode: 240
; IeeeMode: 1
; LDSByteSize: 1764 bytes/workgroup (compile time only)
; SGPRBlocks: 3
; VGPRBlocks: 2
; NumSGPRsForWavesPerEU: 26
; NumVGPRsForWavesPerEU: 11
; Occupancy: 10
; WaveLimiterHint : 1
; COMPUTE_PGM_RSRC2:SCRATCH_EN: 0
; COMPUTE_PGM_RSRC2:USER_SGPR: 6
; COMPUTE_PGM_RSRC2:TRAP_HANDLER: 0
; COMPUTE_PGM_RSRC2:TGID_X_EN: 1
; COMPUTE_PGM_RSRC2:TGID_Y_EN: 0
; COMPUTE_PGM_RSRC2:TGID_Z_EN: 0
; COMPUTE_PGM_RSRC2:TIDIG_COMP_CNT: 0
	.section	.text._ZN9rocsparseL20bsrxmvn_17_32_kernelILj22EfiiaafEEvT2_20rocsparse_direction_NS_24const_host_device_scalarIT0_EES1_PKS1_PKT1_SA_S7_PKT3_PKT4_S5_PT5_21rocsparse_index_base_b,"axG",@progbits,_ZN9rocsparseL20bsrxmvn_17_32_kernelILj22EfiiaafEEvT2_20rocsparse_direction_NS_24const_host_device_scalarIT0_EES1_PKS1_PKT1_SA_S7_PKT3_PKT4_S5_PT5_21rocsparse_index_base_b,comdat
	.globl	_ZN9rocsparseL20bsrxmvn_17_32_kernelILj22EfiiaafEEvT2_20rocsparse_direction_NS_24const_host_device_scalarIT0_EES1_PKS1_PKT1_SA_S7_PKT3_PKT4_S5_PT5_21rocsparse_index_base_b ; -- Begin function _ZN9rocsparseL20bsrxmvn_17_32_kernelILj22EfiiaafEEvT2_20rocsparse_direction_NS_24const_host_device_scalarIT0_EES1_PKS1_PKT1_SA_S7_PKT3_PKT4_S5_PT5_21rocsparse_index_base_b
	.p2align	8
	.type	_ZN9rocsparseL20bsrxmvn_17_32_kernelILj22EfiiaafEEvT2_20rocsparse_direction_NS_24const_host_device_scalarIT0_EES1_PKS1_PKT1_SA_S7_PKT3_PKT4_S5_PT5_21rocsparse_index_base_b,@function
_ZN9rocsparseL20bsrxmvn_17_32_kernelILj22EfiiaafEEvT2_20rocsparse_direction_NS_24const_host_device_scalarIT0_EES1_PKS1_PKT1_SA_S7_PKT3_PKT4_S5_PT5_21rocsparse_index_base_b: ; @_ZN9rocsparseL20bsrxmvn_17_32_kernelILj22EfiiaafEEvT2_20rocsparse_direction_NS_24const_host_device_scalarIT0_EES1_PKS1_PKT1_SA_S7_PKT3_PKT4_S5_PT5_21rocsparse_index_base_b
; %bb.0:
	s_load_dwordx2 s[14:15], s[4:5], 0x58
	s_load_dwordx2 s[10:11], s[4:5], 0x8
	;; [unrolled: 1-line block ×3, first 2 shown]
	s_waitcnt lgkmcnt(0)
	s_bitcmp1_b32 s15, 0
	s_cselect_b64 s[2:3], -1, 0
	s_xor_b64 s[0:1], s[2:3], -1
	s_and_b64 vcc, exec, s[2:3]
	s_cbranch_vccnz .LBB245_2
; %bb.1:
	s_load_dword s10, s[10:11], 0x0
.LBB245_2:
	s_andn2_b64 vcc, exec, s[0:1]
	s_cbranch_vccnz .LBB245_4
; %bb.3:
	s_load_dword s8, s[8:9], 0x0
.LBB245_4:
	s_waitcnt lgkmcnt(0)
	v_cmp_neq_f32_e64 s[0:1], s10, 0
	v_cmp_neq_f32_e64 s[2:3], s8, 1.0
	s_or_b64 s[0:1], s[0:1], s[2:3]
	s_andn2_b64 vcc, exec, s[0:1]
	s_cbranch_vccnz .LBB245_40
; %bb.5:
	s_load_dwordx4 s[0:3], s[4:5], 0x18
	s_load_dwordx2 s[18:19], s[4:5], 0x28
	s_waitcnt lgkmcnt(0)
	s_cmp_eq_u64 s[0:1], 0
	s_cbranch_scc1 .LBB245_7
; %bb.6:
	s_ashr_i32 s7, s6, 31
	s_lshl_b64 s[6:7], s[6:7], 2
	s_add_u32 s0, s0, s6
	s_addc_u32 s1, s1, s7
	s_load_dword s0, s[0:1], 0x0
	s_waitcnt lgkmcnt(0)
	s_sub_i32 s6, s0, s14
.LBB245_7:
	s_load_dword s0, s[4:5], 0x4
	s_load_dwordx2 s[12:13], s[4:5], 0x50
	v_mul_u32_u24_e32 v1, 0xba3, v0
	v_mov_b32_e32 v2, 22
	v_mul_lo_u16_sdwa v3, v1, v2 dst_sel:DWORD dst_unused:UNUSED_PAD src0_sel:WORD_1 src1_sel:DWORD
	s_waitcnt lgkmcnt(0)
	s_cmp_eq_u32 s0, 1
	s_cselect_b64 vcc, -1, 0
	s_cmp_lg_u32 s0, 1
	s_cselect_b64 s[16:17], -1, 0
	s_ashr_i32 s7, s6, 31
	s_lshl_b64 s[0:1], s[6:7], 2
	s_add_u32 s2, s2, s0
	s_addc_u32 s3, s3, s1
	s_load_dword s7, s[2:3], 0x0
	s_add_u32 s2, s2, 4
	s_addc_u32 s3, s3, 0
	s_add_u32 s0, s18, s0
	s_addc_u32 s1, s19, s1
	s_cmp_eq_u64 s[18:19], 0
	s_cselect_b32 s1, s3, s1
	s_cselect_b32 s0, s2, s0
	s_load_dword s9, s[0:1], 0x0
	v_sub_u16_e32 v7, v0, v3
	v_mov_b32_e32 v6, 0
	s_waitcnt lgkmcnt(0)
	s_cmp_ge_i32 s7, s9
	s_cbranch_scc1 .LBB245_12
; %bb.8:
	s_load_dwordx4 s[0:3], s[4:5], 0x30
	s_load_dwordx2 s[18:19], s[4:5], 0x40
	v_mov_b32_e32 v3, 12
	v_mul_lo_u16_sdwa v3, v1, v3 dst_sel:DWORD dst_unused:UNUSED_PAD src0_sel:WORD_1 src1_sel:DWORD
	v_mul_lo_u16_sdwa v2, v3, v2 dst_sel:DWORD dst_unused:UNUSED_PAD src0_sel:BYTE_1 src1_sel:DWORD
	s_sub_i32 s5, s7, s14
	s_sub_i32 s4, s9, s14
	v_sub_u16_sdwa v1, v1, v2 dst_sel:DWORD dst_unused:UNUSED_PAD src0_sel:WORD_1 src1_sel:DWORD
	s_mul_i32 s9, s5, 0x1e4
	v_and_b32_e32 v1, 0xff, v1
	s_mul_hi_i32 s7, s5, 0x1e4
	s_waitcnt lgkmcnt(0)
	s_add_u32 s2, s2, s9
	v_cndmask_b32_e32 v1, v7, v1, vcc
	s_addc_u32 s3, s3, s7
	v_add_co_u32_e32 v2, vcc, s2, v0
	s_movk_i32 s2, 0x10f
	v_mov_b32_e32 v3, s3
	v_mul_u32_u24_sdwa v4, v0, s2 dst_sel:DWORD dst_unused:UNUSED_PAD src0_sel:WORD_0 src1_sel:DWORD
	v_mov_b32_e32 v6, 0
	v_addc_co_u32_e32 v3, vcc, 0, v3, vcc
	v_lshrrev_b32_e32 v8, 17, v4
	s_branch .LBB245_10
.LBB245_9:                              ;   in Loop: Header=BB245_10 Depth=1
	s_or_b64 exec, exec, s[2:3]
	s_add_i32 s5, s5, 1
	s_cmp_lt_i32 s5, s4
	s_cbranch_scc0 .LBB245_12
.LBB245_10:                             ; =>This Inner Loop Header: Depth=1
	v_add_u32_e32 v4, s5, v8
	v_cmp_gt_i32_e32 vcc, s4, v4
	s_and_saveexec_b64 s[2:3], vcc
	s_cbranch_execz .LBB245_9
; %bb.11:                               ;   in Loop: Header=BB245_10 Depth=1
	v_ashrrev_i32_e32 v5, 31, v4
	v_lshlrev_b64 v[4:5], 2, v[4:5]
	v_mov_b32_e32 v9, s1
	v_add_co_u32_e32 v4, vcc, s0, v4
	v_addc_co_u32_e32 v5, vcc, v9, v5, vcc
	global_load_dword v4, v[4:5], off
	s_waitcnt vmcnt(0)
	v_subrev_u32_e32 v4, s14, v4
	v_mad_u64_u32 v[4:5], s[20:21], v4, 22, v[1:2]
	v_mov_b32_e32 v5, s19
	global_load_sbyte v9, v[2:3], off
	v_ashrrev_i32_e32 v10, 31, v4
	v_add_co_u32_e32 v4, vcc, s18, v4
	v_addc_co_u32_e32 v5, vcc, v5, v10, vcc
	global_load_sbyte v4, v[4:5], off
	v_add_co_u32_e32 v2, vcc, 0x1e4, v2
	v_addc_co_u32_e32 v3, vcc, 0, v3, vcc
	s_waitcnt vmcnt(1)
	v_cvt_f32_i32_e32 v5, v9
	s_waitcnt vmcnt(0)
	v_cvt_f32_i32_e32 v4, v4
	v_fmac_f32_e32 v6, v5, v4
	s_branch .LBB245_9
.LBB245_12:
	v_lshlrev_b32_e32 v1, 2, v0
	s_and_b64 vcc, exec, s[16:17]
	ds_write_b32 v1, v6
	s_waitcnt lgkmcnt(0)
	s_barrier
	s_cbranch_vccz .LBB245_24
; %bb.13:
	v_cmp_gt_u16_e32 vcc, 6, v7
	s_and_saveexec_b64 s[0:1], vcc
	s_cbranch_execz .LBB245_15
; %bb.14:
	ds_read2_b32 v[2:3], v1 offset1:16
	s_waitcnt lgkmcnt(0)
	v_add_f32_e32 v2, v3, v2
	ds_write_b32 v1, v2
.LBB245_15:
	s_or_b64 exec, exec, s[0:1]
	v_cmp_gt_u16_e32 vcc, 8, v7
	s_waitcnt lgkmcnt(0)
	s_barrier
	s_and_saveexec_b64 s[0:1], vcc
	s_cbranch_execz .LBB245_17
; %bb.16:
	ds_read2_b32 v[2:3], v1 offset1:8
	s_waitcnt lgkmcnt(0)
	v_add_f32_e32 v2, v3, v2
	ds_write_b32 v1, v2
.LBB245_17:
	s_or_b64 exec, exec, s[0:1]
	v_cmp_gt_u16_e32 vcc, 4, v7
	s_waitcnt lgkmcnt(0)
	s_barrier
	;; [unrolled: 12-line block ×3, first 2 shown]
	s_and_saveexec_b64 s[0:1], vcc
	s_cbranch_execz .LBB245_21
; %bb.20:
	ds_read2_b32 v[2:3], v1 offset1:2
	s_waitcnt lgkmcnt(0)
	v_add_f32_e32 v2, v3, v2
	ds_write_b32 v1, v2
.LBB245_21:
	s_or_b64 exec, exec, s[0:1]
	v_cmp_gt_u32_e32 vcc, 22, v0
	v_mov_b32_e32 v2, v6
	s_waitcnt lgkmcnt(0)
	s_barrier
	s_and_saveexec_b64 s[0:1], vcc
	s_cbranch_execz .LBB245_23
; %bb.22:
	s_movk_i32 s2, 0x54
	v_mad_u32_u24 v2, v0, s2, v1
	ds_read_b64 v[2:3], v2
	s_waitcnt lgkmcnt(0)
	v_add_f32_e32 v2, v2, v3
.LBB245_23:
	s_or_b64 exec, exec, s[0:1]
	s_branch .LBB245_36
.LBB245_24:
                                        ; implicit-def: $vgpr2
	s_cbranch_execz .LBB245_36
; %bb.25:
	s_movk_i32 s0, 0x84
	v_cmp_gt_u32_e32 vcc, s0, v0
	s_and_saveexec_b64 s[0:1], vcc
	s_cbranch_execz .LBB245_27
; %bb.26:
	ds_read_b32 v2, v1 offset:1408
	ds_read_b32 v3, v1
	s_waitcnt lgkmcnt(0)
	v_add_f32_e32 v2, v2, v3
	ds_write_b32 v1, v2
.LBB245_27:
	s_or_b64 exec, exec, s[0:1]
	s_movk_i32 s0, 0xb0
	v_cmp_gt_u32_e32 vcc, s0, v0
	s_waitcnt lgkmcnt(0)
	s_barrier
	s_and_saveexec_b64 s[0:1], vcc
	s_cbranch_execz .LBB245_29
; %bb.28:
	ds_read2_b32 v[2:3], v1 offset1:176
	s_waitcnt lgkmcnt(0)
	v_add_f32_e32 v2, v3, v2
	ds_write_b32 v1, v2
.LBB245_29:
	s_or_b64 exec, exec, s[0:1]
	s_movk_i32 s0, 0x58
	v_cmp_gt_u32_e32 vcc, s0, v0
	s_waitcnt lgkmcnt(0)
	s_barrier
	s_and_saveexec_b64 s[0:1], vcc
	s_cbranch_execz .LBB245_31
; %bb.30:
	ds_read2_b32 v[2:3], v1 offset1:88
	s_waitcnt lgkmcnt(0)
	v_add_f32_e32 v2, v3, v2
	ds_write_b32 v1, v2
.LBB245_31:
	s_or_b64 exec, exec, s[0:1]
	v_cmp_gt_u32_e32 vcc, 44, v0
	s_waitcnt lgkmcnt(0)
	s_barrier
	s_and_saveexec_b64 s[0:1], vcc
	s_cbranch_execz .LBB245_33
; %bb.32:
	ds_read2_b32 v[2:3], v1 offset1:44
	s_waitcnt lgkmcnt(0)
	v_add_f32_e32 v2, v3, v2
	ds_write_b32 v1, v2
.LBB245_33:
	s_or_b64 exec, exec, s[0:1]
	v_cmp_gt_u32_e32 vcc, 22, v0
	s_waitcnt lgkmcnt(0)
	s_and_saveexec_b64 s[0:1], vcc
	s_cbranch_execz .LBB245_35
; %bb.34:
	ds_read2_b32 v[1:2], v1 offset1:22
	s_waitcnt lgkmcnt(0)
	v_add_f32_e32 v6, v1, v2
.LBB245_35:
	s_or_b64 exec, exec, s[0:1]
	v_mov_b32_e32 v2, v6
.LBB245_36:
	v_cmp_gt_u32_e32 vcc, 22, v0
	s_and_saveexec_b64 s[0:1], vcc
	s_cbranch_execz .LBB245_40
; %bb.37:
	v_cmp_eq_f32_e64 s[0:1], s8, 0
	s_and_b64 vcc, exec, s[0:1]
	v_mul_f32_e32 v1, s10, v2
	s_cbranch_vccz .LBB245_41
; %bb.38:
	v_mad_u64_u32 v[2:3], s[0:1], s6, 22, v[0:1]
	v_mov_b32_e32 v3, 0
	v_mov_b32_e32 v4, s13
	v_lshlrev_b64 v[2:3], 2, v[2:3]
	v_add_co_u32_e32 v2, vcc, s12, v2
	v_addc_co_u32_e32 v3, vcc, v4, v3, vcc
	global_store_dword v[2:3], v1, off
	s_cbranch_execnz .LBB245_40
.LBB245_39:
	v_mad_u64_u32 v[2:3], s[0:1], s6, 22, v[0:1]
	v_mov_b32_e32 v3, 0
	v_mov_b32_e32 v0, s13
	v_lshlrev_b64 v[2:3], 2, v[2:3]
	v_add_co_u32_e32 v2, vcc, s12, v2
	v_addc_co_u32_e32 v3, vcc, v0, v3, vcc
	global_load_dword v0, v[2:3], off
	s_waitcnt vmcnt(0)
	v_fmac_f32_e32 v1, s8, v0
	global_store_dword v[2:3], v1, off
.LBB245_40:
	s_endpgm
.LBB245_41:
	s_branch .LBB245_39
	.section	.rodata,"a",@progbits
	.p2align	6, 0x0
	.amdhsa_kernel _ZN9rocsparseL20bsrxmvn_17_32_kernelILj22EfiiaafEEvT2_20rocsparse_direction_NS_24const_host_device_scalarIT0_EES1_PKS1_PKT1_SA_S7_PKT3_PKT4_S5_PT5_21rocsparse_index_base_b
		.amdhsa_group_segment_fixed_size 1936
		.amdhsa_private_segment_fixed_size 0
		.amdhsa_kernarg_size 96
		.amdhsa_user_sgpr_count 6
		.amdhsa_user_sgpr_private_segment_buffer 1
		.amdhsa_user_sgpr_dispatch_ptr 0
		.amdhsa_user_sgpr_queue_ptr 0
		.amdhsa_user_sgpr_kernarg_segment_ptr 1
		.amdhsa_user_sgpr_dispatch_id 0
		.amdhsa_user_sgpr_flat_scratch_init 0
		.amdhsa_user_sgpr_private_segment_size 0
		.amdhsa_uses_dynamic_stack 0
		.amdhsa_system_sgpr_private_segment_wavefront_offset 0
		.amdhsa_system_sgpr_workgroup_id_x 1
		.amdhsa_system_sgpr_workgroup_id_y 0
		.amdhsa_system_sgpr_workgroup_id_z 0
		.amdhsa_system_sgpr_workgroup_info 0
		.amdhsa_system_vgpr_workitem_id 0
		.amdhsa_next_free_vgpr 11
		.amdhsa_next_free_sgpr 22
		.amdhsa_reserve_vcc 1
		.amdhsa_reserve_flat_scratch 0
		.amdhsa_float_round_mode_32 0
		.amdhsa_float_round_mode_16_64 0
		.amdhsa_float_denorm_mode_32 3
		.amdhsa_float_denorm_mode_16_64 3
		.amdhsa_dx10_clamp 1
		.amdhsa_ieee_mode 1
		.amdhsa_fp16_overflow 0
		.amdhsa_exception_fp_ieee_invalid_op 0
		.amdhsa_exception_fp_denorm_src 0
		.amdhsa_exception_fp_ieee_div_zero 0
		.amdhsa_exception_fp_ieee_overflow 0
		.amdhsa_exception_fp_ieee_underflow 0
		.amdhsa_exception_fp_ieee_inexact 0
		.amdhsa_exception_int_div_zero 0
	.end_amdhsa_kernel
	.section	.text._ZN9rocsparseL20bsrxmvn_17_32_kernelILj22EfiiaafEEvT2_20rocsparse_direction_NS_24const_host_device_scalarIT0_EES1_PKS1_PKT1_SA_S7_PKT3_PKT4_S5_PT5_21rocsparse_index_base_b,"axG",@progbits,_ZN9rocsparseL20bsrxmvn_17_32_kernelILj22EfiiaafEEvT2_20rocsparse_direction_NS_24const_host_device_scalarIT0_EES1_PKS1_PKT1_SA_S7_PKT3_PKT4_S5_PT5_21rocsparse_index_base_b,comdat
.Lfunc_end245:
	.size	_ZN9rocsparseL20bsrxmvn_17_32_kernelILj22EfiiaafEEvT2_20rocsparse_direction_NS_24const_host_device_scalarIT0_EES1_PKS1_PKT1_SA_S7_PKT3_PKT4_S5_PT5_21rocsparse_index_base_b, .Lfunc_end245-_ZN9rocsparseL20bsrxmvn_17_32_kernelILj22EfiiaafEEvT2_20rocsparse_direction_NS_24const_host_device_scalarIT0_EES1_PKS1_PKT1_SA_S7_PKT3_PKT4_S5_PT5_21rocsparse_index_base_b
                                        ; -- End function
	.set _ZN9rocsparseL20bsrxmvn_17_32_kernelILj22EfiiaafEEvT2_20rocsparse_direction_NS_24const_host_device_scalarIT0_EES1_PKS1_PKT1_SA_S7_PKT3_PKT4_S5_PT5_21rocsparse_index_base_b.num_vgpr, 11
	.set _ZN9rocsparseL20bsrxmvn_17_32_kernelILj22EfiiaafEEvT2_20rocsparse_direction_NS_24const_host_device_scalarIT0_EES1_PKS1_PKT1_SA_S7_PKT3_PKT4_S5_PT5_21rocsparse_index_base_b.num_agpr, 0
	.set _ZN9rocsparseL20bsrxmvn_17_32_kernelILj22EfiiaafEEvT2_20rocsparse_direction_NS_24const_host_device_scalarIT0_EES1_PKS1_PKT1_SA_S7_PKT3_PKT4_S5_PT5_21rocsparse_index_base_b.numbered_sgpr, 22
	.set _ZN9rocsparseL20bsrxmvn_17_32_kernelILj22EfiiaafEEvT2_20rocsparse_direction_NS_24const_host_device_scalarIT0_EES1_PKS1_PKT1_SA_S7_PKT3_PKT4_S5_PT5_21rocsparse_index_base_b.num_named_barrier, 0
	.set _ZN9rocsparseL20bsrxmvn_17_32_kernelILj22EfiiaafEEvT2_20rocsparse_direction_NS_24const_host_device_scalarIT0_EES1_PKS1_PKT1_SA_S7_PKT3_PKT4_S5_PT5_21rocsparse_index_base_b.private_seg_size, 0
	.set _ZN9rocsparseL20bsrxmvn_17_32_kernelILj22EfiiaafEEvT2_20rocsparse_direction_NS_24const_host_device_scalarIT0_EES1_PKS1_PKT1_SA_S7_PKT3_PKT4_S5_PT5_21rocsparse_index_base_b.uses_vcc, 1
	.set _ZN9rocsparseL20bsrxmvn_17_32_kernelILj22EfiiaafEEvT2_20rocsparse_direction_NS_24const_host_device_scalarIT0_EES1_PKS1_PKT1_SA_S7_PKT3_PKT4_S5_PT5_21rocsparse_index_base_b.uses_flat_scratch, 0
	.set _ZN9rocsparseL20bsrxmvn_17_32_kernelILj22EfiiaafEEvT2_20rocsparse_direction_NS_24const_host_device_scalarIT0_EES1_PKS1_PKT1_SA_S7_PKT3_PKT4_S5_PT5_21rocsparse_index_base_b.has_dyn_sized_stack, 0
	.set _ZN9rocsparseL20bsrxmvn_17_32_kernelILj22EfiiaafEEvT2_20rocsparse_direction_NS_24const_host_device_scalarIT0_EES1_PKS1_PKT1_SA_S7_PKT3_PKT4_S5_PT5_21rocsparse_index_base_b.has_recursion, 0
	.set _ZN9rocsparseL20bsrxmvn_17_32_kernelILj22EfiiaafEEvT2_20rocsparse_direction_NS_24const_host_device_scalarIT0_EES1_PKS1_PKT1_SA_S7_PKT3_PKT4_S5_PT5_21rocsparse_index_base_b.has_indirect_call, 0
	.section	.AMDGPU.csdata,"",@progbits
; Kernel info:
; codeLenInByte = 1236
; TotalNumSgprs: 26
; NumVgprs: 11
; ScratchSize: 0
; MemoryBound: 0
; FloatMode: 240
; IeeeMode: 1
; LDSByteSize: 1936 bytes/workgroup (compile time only)
; SGPRBlocks: 3
; VGPRBlocks: 2
; NumSGPRsForWavesPerEU: 26
; NumVGPRsForWavesPerEU: 11
; Occupancy: 10
; WaveLimiterHint : 1
; COMPUTE_PGM_RSRC2:SCRATCH_EN: 0
; COMPUTE_PGM_RSRC2:USER_SGPR: 6
; COMPUTE_PGM_RSRC2:TRAP_HANDLER: 0
; COMPUTE_PGM_RSRC2:TGID_X_EN: 1
; COMPUTE_PGM_RSRC2:TGID_Y_EN: 0
; COMPUTE_PGM_RSRC2:TGID_Z_EN: 0
; COMPUTE_PGM_RSRC2:TIDIG_COMP_CNT: 0
	.section	.text._ZN9rocsparseL20bsrxmvn_17_32_kernelILj23EfiiaafEEvT2_20rocsparse_direction_NS_24const_host_device_scalarIT0_EES1_PKS1_PKT1_SA_S7_PKT3_PKT4_S5_PT5_21rocsparse_index_base_b,"axG",@progbits,_ZN9rocsparseL20bsrxmvn_17_32_kernelILj23EfiiaafEEvT2_20rocsparse_direction_NS_24const_host_device_scalarIT0_EES1_PKS1_PKT1_SA_S7_PKT3_PKT4_S5_PT5_21rocsparse_index_base_b,comdat
	.globl	_ZN9rocsparseL20bsrxmvn_17_32_kernelILj23EfiiaafEEvT2_20rocsparse_direction_NS_24const_host_device_scalarIT0_EES1_PKS1_PKT1_SA_S7_PKT3_PKT4_S5_PT5_21rocsparse_index_base_b ; -- Begin function _ZN9rocsparseL20bsrxmvn_17_32_kernelILj23EfiiaafEEvT2_20rocsparse_direction_NS_24const_host_device_scalarIT0_EES1_PKS1_PKT1_SA_S7_PKT3_PKT4_S5_PT5_21rocsparse_index_base_b
	.p2align	8
	.type	_ZN9rocsparseL20bsrxmvn_17_32_kernelILj23EfiiaafEEvT2_20rocsparse_direction_NS_24const_host_device_scalarIT0_EES1_PKS1_PKT1_SA_S7_PKT3_PKT4_S5_PT5_21rocsparse_index_base_b,@function
_ZN9rocsparseL20bsrxmvn_17_32_kernelILj23EfiiaafEEvT2_20rocsparse_direction_NS_24const_host_device_scalarIT0_EES1_PKS1_PKT1_SA_S7_PKT3_PKT4_S5_PT5_21rocsparse_index_base_b: ; @_ZN9rocsparseL20bsrxmvn_17_32_kernelILj23EfiiaafEEvT2_20rocsparse_direction_NS_24const_host_device_scalarIT0_EES1_PKS1_PKT1_SA_S7_PKT3_PKT4_S5_PT5_21rocsparse_index_base_b
; %bb.0:
	s_load_dwordx2 s[18:19], s[4:5], 0x58
	s_load_dwordx2 s[14:15], s[4:5], 0x8
	;; [unrolled: 1-line block ×3, first 2 shown]
	s_waitcnt lgkmcnt(0)
	s_bitcmp1_b32 s19, 0
	s_cselect_b64 s[2:3], -1, 0
	s_xor_b64 s[0:1], s[2:3], -1
	s_and_b64 vcc, exec, s[2:3]
	s_cbranch_vccnz .LBB246_2
; %bb.1:
	s_load_dword s14, s[14:15], 0x0
.LBB246_2:
	s_andn2_b64 vcc, exec, s[0:1]
	s_cbranch_vccnz .LBB246_4
; %bb.3:
	s_load_dword s12, s[12:13], 0x0
.LBB246_4:
	s_waitcnt lgkmcnt(0)
	v_cmp_neq_f32_e64 s[0:1], s14, 0
	v_cmp_neq_f32_e64 s[2:3], s12, 1.0
	s_or_b64 s[0:1], s[0:1], s[2:3]
	s_andn2_b64 vcc, exec, s[0:1]
	s_cbranch_vccnz .LBB246_40
; %bb.5:
	s_load_dwordx4 s[0:3], s[4:5], 0x18
	s_load_dwordx2 s[8:9], s[4:5], 0x28
	s_waitcnt lgkmcnt(0)
	s_cmp_eq_u64 s[0:1], 0
	s_cbranch_scc1 .LBB246_7
; %bb.6:
	s_ashr_i32 s7, s6, 31
	s_lshl_b64 s[6:7], s[6:7], 2
	s_add_u32 s0, s0, s6
	s_addc_u32 s1, s1, s7
	s_load_dword s0, s[0:1], 0x0
	s_waitcnt lgkmcnt(0)
	s_sub_i32 s6, s0, s18
.LBB246_7:
	s_load_dword s0, s[4:5], 0x4
	s_load_dwordx2 s[16:17], s[4:5], 0x50
	v_mul_u32_u24_e32 v1, 0xb22, v0
	v_mov_b32_e32 v2, 23
	v_mul_lo_u16_sdwa v2, v1, v2 dst_sel:DWORD dst_unused:UNUSED_PAD src0_sel:WORD_1 src1_sel:DWORD
	s_waitcnt lgkmcnt(0)
	s_cmp_eq_u32 s0, 1
	s_cselect_b64 vcc, -1, 0
	s_cmp_lg_u32 s0, 1
	s_cselect_b64 s[20:21], -1, 0
	s_ashr_i32 s7, s6, 31
	s_lshl_b64 s[0:1], s[6:7], 2
	s_add_u32 s2, s2, s0
	s_addc_u32 s3, s3, s1
	s_load_dword s7, s[2:3], 0x0
	s_add_u32 s2, s2, 4
	s_addc_u32 s3, s3, 0
	s_add_u32 s0, s8, s0
	s_addc_u32 s1, s9, s1
	s_cmp_eq_u64 s[8:9], 0
	s_cselect_b32 s1, s3, s1
	s_cselect_b32 s0, s2, s0
	s_load_dword s0, s[0:1], 0x0
	v_sub_u16_e32 v7, v0, v2
	v_mov_b32_e32 v6, 0
	s_waitcnt lgkmcnt(0)
	s_cmp_ge_i32 s7, s0
	s_cbranch_scc1 .LBB246_12
; %bb.8:
	s_load_dwordx4 s[8:11], s[4:5], 0x30
	s_load_dwordx2 s[2:3], s[4:5], 0x40
	s_sub_i32 s4, s0, s18
	s_mov_b32 s0, 0xffff
	s_movk_i32 s1, 0x211
	v_and_b32_sdwa v1, s0, v1 dst_sel:DWORD dst_unused:UNUSED_PAD src0_sel:DWORD src1_sel:WORD_1
	v_subrev_u32_e32 v2, 23, v1
	v_cmp_gt_u32_e64 s[0:1], s1, v0
	s_sub_i32 s5, s7, s18
	v_cndmask_b32_e64 v1, v2, v1, s[0:1]
	s_mul_i32 s1, s5, 0x211
	s_mul_hi_i32 s0, s5, 0x211
	s_waitcnt lgkmcnt(0)
	s_add_u32 s1, s10, s1
	s_addc_u32 s0, s11, s0
	v_cndmask_b32_e32 v1, v7, v1, vcc
	v_mov_b32_e32 v3, s0
	v_add_co_u32_e32 v2, vcc, s1, v0
	v_addc_co_u32_e32 v3, vcc, 0, v3, vcc
	s_movk_i32 s0, 0x210
	v_cmp_lt_u32_e32 vcc, s0, v0
	v_mov_b32_e32 v6, 0
	v_cndmask_b32_e64 v8, 0, 1, vcc
	s_branch .LBB246_10
.LBB246_9:                              ;   in Loop: Header=BB246_10 Depth=1
	s_or_b64 exec, exec, s[0:1]
	s_add_i32 s5, s5, 1
	s_cmp_lt_i32 s5, s4
	s_cbranch_scc0 .LBB246_12
.LBB246_10:                             ; =>This Inner Loop Header: Depth=1
	v_add_u32_e32 v4, s5, v8
	v_cmp_gt_i32_e32 vcc, s4, v4
	s_and_saveexec_b64 s[0:1], vcc
	s_cbranch_execz .LBB246_9
; %bb.11:                               ;   in Loop: Header=BB246_10 Depth=1
	v_ashrrev_i32_e32 v5, 31, v4
	v_lshlrev_b64 v[4:5], 2, v[4:5]
	v_mov_b32_e32 v9, s9
	v_add_co_u32_e32 v4, vcc, s8, v4
	v_addc_co_u32_e32 v5, vcc, v9, v5, vcc
	global_load_dword v4, v[4:5], off
	s_waitcnt vmcnt(0)
	v_subrev_u32_e32 v4, s18, v4
	v_mad_u64_u32 v[4:5], s[10:11], v4, 23, v[1:2]
	v_mov_b32_e32 v5, s3
	global_load_sbyte v9, v[2:3], off
	v_ashrrev_i32_e32 v10, 31, v4
	v_add_co_u32_e32 v4, vcc, s2, v4
	v_addc_co_u32_e32 v5, vcc, v5, v10, vcc
	global_load_sbyte v4, v[4:5], off
	v_add_co_u32_e32 v2, vcc, 0x211, v2
	v_addc_co_u32_e32 v3, vcc, 0, v3, vcc
	s_waitcnt vmcnt(1)
	v_cvt_f32_i32_e32 v5, v9
	s_waitcnt vmcnt(0)
	v_cvt_f32_i32_e32 v4, v4
	v_fmac_f32_e32 v6, v5, v4
	s_branch .LBB246_9
.LBB246_12:
	v_lshlrev_b32_e32 v1, 2, v0
	s_and_b64 vcc, exec, s[20:21]
	ds_write_b32 v1, v6
	s_waitcnt lgkmcnt(0)
	s_barrier
	s_cbranch_vccz .LBB246_24
; %bb.13:
	v_cmp_gt_u16_e32 vcc, 7, v7
	s_and_saveexec_b64 s[0:1], vcc
	s_cbranch_execz .LBB246_15
; %bb.14:
	ds_read2_b32 v[2:3], v1 offset1:16
	s_waitcnt lgkmcnt(0)
	v_add_f32_e32 v2, v3, v2
	ds_write_b32 v1, v2
.LBB246_15:
	s_or_b64 exec, exec, s[0:1]
	v_cmp_gt_u16_e32 vcc, 8, v7
	s_waitcnt lgkmcnt(0)
	s_barrier
	s_and_saveexec_b64 s[0:1], vcc
	s_cbranch_execz .LBB246_17
; %bb.16:
	ds_read2_b32 v[2:3], v1 offset1:8
	s_waitcnt lgkmcnt(0)
	v_add_f32_e32 v2, v3, v2
	ds_write_b32 v1, v2
.LBB246_17:
	s_or_b64 exec, exec, s[0:1]
	v_cmp_gt_u16_e32 vcc, 4, v7
	s_waitcnt lgkmcnt(0)
	s_barrier
	;; [unrolled: 12-line block ×3, first 2 shown]
	s_and_saveexec_b64 s[0:1], vcc
	s_cbranch_execz .LBB246_21
; %bb.20:
	ds_read2_b32 v[2:3], v1 offset1:2
	s_waitcnt lgkmcnt(0)
	v_add_f32_e32 v2, v3, v2
	ds_write_b32 v1, v2
.LBB246_21:
	s_or_b64 exec, exec, s[0:1]
	v_cmp_gt_u32_e32 vcc, 23, v0
	v_mov_b32_e32 v2, v6
	s_waitcnt lgkmcnt(0)
	s_barrier
	s_and_saveexec_b64 s[0:1], vcc
	s_cbranch_execz .LBB246_23
; %bb.22:
	s_movk_i32 s2, 0x58
	v_mad_u32_u24 v2, v0, s2, v1
	ds_read2_b32 v[2:3], v2 offset1:1
	s_waitcnt lgkmcnt(0)
	v_add_f32_e32 v2, v2, v3
.LBB246_23:
	s_or_b64 exec, exec, s[0:1]
	s_branch .LBB246_36
.LBB246_24:
                                        ; implicit-def: $vgpr2
	s_cbranch_execz .LBB246_36
; %bb.25:
	s_movk_i32 s0, 0xa1
	v_cmp_gt_u32_e32 vcc, s0, v0
	s_and_saveexec_b64 s[0:1], vcc
	s_cbranch_execz .LBB246_27
; %bb.26:
	ds_read_b32 v2, v1 offset:1472
	ds_read_b32 v3, v1
	s_waitcnt lgkmcnt(0)
	v_add_f32_e32 v2, v2, v3
	ds_write_b32 v1, v2
.LBB246_27:
	s_or_b64 exec, exec, s[0:1]
	s_movk_i32 s0, 0xb8
	v_cmp_gt_u32_e32 vcc, s0, v0
	s_waitcnt lgkmcnt(0)
	s_barrier
	s_and_saveexec_b64 s[0:1], vcc
	s_cbranch_execz .LBB246_29
; %bb.28:
	ds_read2_b32 v[2:3], v1 offset1:184
	s_waitcnt lgkmcnt(0)
	v_add_f32_e32 v2, v3, v2
	ds_write_b32 v1, v2
.LBB246_29:
	s_or_b64 exec, exec, s[0:1]
	s_movk_i32 s0, 0x5c
	v_cmp_gt_u32_e32 vcc, s0, v0
	s_waitcnt lgkmcnt(0)
	s_barrier
	s_and_saveexec_b64 s[0:1], vcc
	s_cbranch_execz .LBB246_31
; %bb.30:
	ds_read2_b32 v[2:3], v1 offset1:92
	s_waitcnt lgkmcnt(0)
	v_add_f32_e32 v2, v3, v2
	ds_write_b32 v1, v2
.LBB246_31:
	s_or_b64 exec, exec, s[0:1]
	v_cmp_gt_u32_e32 vcc, 46, v0
	s_waitcnt lgkmcnt(0)
	s_barrier
	s_and_saveexec_b64 s[0:1], vcc
	s_cbranch_execz .LBB246_33
; %bb.32:
	ds_read2_b32 v[2:3], v1 offset1:46
	s_waitcnt lgkmcnt(0)
	v_add_f32_e32 v2, v3, v2
	ds_write_b32 v1, v2
.LBB246_33:
	s_or_b64 exec, exec, s[0:1]
	v_cmp_gt_u32_e32 vcc, 23, v0
	s_waitcnt lgkmcnt(0)
	s_and_saveexec_b64 s[0:1], vcc
	s_cbranch_execz .LBB246_35
; %bb.34:
	ds_read2_b32 v[1:2], v1 offset1:23
	s_waitcnt lgkmcnt(0)
	v_add_f32_e32 v6, v1, v2
.LBB246_35:
	s_or_b64 exec, exec, s[0:1]
	v_mov_b32_e32 v2, v6
.LBB246_36:
	v_cmp_gt_u32_e32 vcc, 23, v0
	s_and_saveexec_b64 s[0:1], vcc
	s_cbranch_execz .LBB246_40
; %bb.37:
	v_cmp_eq_f32_e64 s[0:1], s12, 0
	s_and_b64 vcc, exec, s[0:1]
	v_mul_f32_e32 v1, s14, v2
	s_cbranch_vccz .LBB246_41
; %bb.38:
	v_mad_u64_u32 v[2:3], s[0:1], s6, 23, v[0:1]
	v_mov_b32_e32 v3, 0
	v_mov_b32_e32 v4, s17
	v_lshlrev_b64 v[2:3], 2, v[2:3]
	v_add_co_u32_e32 v2, vcc, s16, v2
	v_addc_co_u32_e32 v3, vcc, v4, v3, vcc
	global_store_dword v[2:3], v1, off
	s_cbranch_execnz .LBB246_40
.LBB246_39:
	v_mad_u64_u32 v[2:3], s[0:1], s6, 23, v[0:1]
	v_mov_b32_e32 v3, 0
	v_mov_b32_e32 v0, s17
	v_lshlrev_b64 v[2:3], 2, v[2:3]
	v_add_co_u32_e32 v2, vcc, s16, v2
	v_addc_co_u32_e32 v3, vcc, v0, v3, vcc
	global_load_dword v0, v[2:3], off
	s_waitcnt vmcnt(0)
	v_fmac_f32_e32 v1, s12, v0
	global_store_dword v[2:3], v1, off
.LBB246_40:
	s_endpgm
.LBB246_41:
	s_branch .LBB246_39
	.section	.rodata,"a",@progbits
	.p2align	6, 0x0
	.amdhsa_kernel _ZN9rocsparseL20bsrxmvn_17_32_kernelILj23EfiiaafEEvT2_20rocsparse_direction_NS_24const_host_device_scalarIT0_EES1_PKS1_PKT1_SA_S7_PKT3_PKT4_S5_PT5_21rocsparse_index_base_b
		.amdhsa_group_segment_fixed_size 2116
		.amdhsa_private_segment_fixed_size 0
		.amdhsa_kernarg_size 96
		.amdhsa_user_sgpr_count 6
		.amdhsa_user_sgpr_private_segment_buffer 1
		.amdhsa_user_sgpr_dispatch_ptr 0
		.amdhsa_user_sgpr_queue_ptr 0
		.amdhsa_user_sgpr_kernarg_segment_ptr 1
		.amdhsa_user_sgpr_dispatch_id 0
		.amdhsa_user_sgpr_flat_scratch_init 0
		.amdhsa_user_sgpr_private_segment_size 0
		.amdhsa_uses_dynamic_stack 0
		.amdhsa_system_sgpr_private_segment_wavefront_offset 0
		.amdhsa_system_sgpr_workgroup_id_x 1
		.amdhsa_system_sgpr_workgroup_id_y 0
		.amdhsa_system_sgpr_workgroup_id_z 0
		.amdhsa_system_sgpr_workgroup_info 0
		.amdhsa_system_vgpr_workitem_id 0
		.amdhsa_next_free_vgpr 25
		.amdhsa_next_free_sgpr 61
		.amdhsa_reserve_vcc 1
		.amdhsa_reserve_flat_scratch 0
		.amdhsa_float_round_mode_32 0
		.amdhsa_float_round_mode_16_64 0
		.amdhsa_float_denorm_mode_32 3
		.amdhsa_float_denorm_mode_16_64 3
		.amdhsa_dx10_clamp 1
		.amdhsa_ieee_mode 1
		.amdhsa_fp16_overflow 0
		.amdhsa_exception_fp_ieee_invalid_op 0
		.amdhsa_exception_fp_denorm_src 0
		.amdhsa_exception_fp_ieee_div_zero 0
		.amdhsa_exception_fp_ieee_overflow 0
		.amdhsa_exception_fp_ieee_underflow 0
		.amdhsa_exception_fp_ieee_inexact 0
		.amdhsa_exception_int_div_zero 0
	.end_amdhsa_kernel
	.section	.text._ZN9rocsparseL20bsrxmvn_17_32_kernelILj23EfiiaafEEvT2_20rocsparse_direction_NS_24const_host_device_scalarIT0_EES1_PKS1_PKT1_SA_S7_PKT3_PKT4_S5_PT5_21rocsparse_index_base_b,"axG",@progbits,_ZN9rocsparseL20bsrxmvn_17_32_kernelILj23EfiiaafEEvT2_20rocsparse_direction_NS_24const_host_device_scalarIT0_EES1_PKS1_PKT1_SA_S7_PKT3_PKT4_S5_PT5_21rocsparse_index_base_b,comdat
.Lfunc_end246:
	.size	_ZN9rocsparseL20bsrxmvn_17_32_kernelILj23EfiiaafEEvT2_20rocsparse_direction_NS_24const_host_device_scalarIT0_EES1_PKS1_PKT1_SA_S7_PKT3_PKT4_S5_PT5_21rocsparse_index_base_b, .Lfunc_end246-_ZN9rocsparseL20bsrxmvn_17_32_kernelILj23EfiiaafEEvT2_20rocsparse_direction_NS_24const_host_device_scalarIT0_EES1_PKS1_PKT1_SA_S7_PKT3_PKT4_S5_PT5_21rocsparse_index_base_b
                                        ; -- End function
	.set _ZN9rocsparseL20bsrxmvn_17_32_kernelILj23EfiiaafEEvT2_20rocsparse_direction_NS_24const_host_device_scalarIT0_EES1_PKS1_PKT1_SA_S7_PKT3_PKT4_S5_PT5_21rocsparse_index_base_b.num_vgpr, 11
	.set _ZN9rocsparseL20bsrxmvn_17_32_kernelILj23EfiiaafEEvT2_20rocsparse_direction_NS_24const_host_device_scalarIT0_EES1_PKS1_PKT1_SA_S7_PKT3_PKT4_S5_PT5_21rocsparse_index_base_b.num_agpr, 0
	.set _ZN9rocsparseL20bsrxmvn_17_32_kernelILj23EfiiaafEEvT2_20rocsparse_direction_NS_24const_host_device_scalarIT0_EES1_PKS1_PKT1_SA_S7_PKT3_PKT4_S5_PT5_21rocsparse_index_base_b.numbered_sgpr, 22
	.set _ZN9rocsparseL20bsrxmvn_17_32_kernelILj23EfiiaafEEvT2_20rocsparse_direction_NS_24const_host_device_scalarIT0_EES1_PKS1_PKT1_SA_S7_PKT3_PKT4_S5_PT5_21rocsparse_index_base_b.num_named_barrier, 0
	.set _ZN9rocsparseL20bsrxmvn_17_32_kernelILj23EfiiaafEEvT2_20rocsparse_direction_NS_24const_host_device_scalarIT0_EES1_PKS1_PKT1_SA_S7_PKT3_PKT4_S5_PT5_21rocsparse_index_base_b.private_seg_size, 0
	.set _ZN9rocsparseL20bsrxmvn_17_32_kernelILj23EfiiaafEEvT2_20rocsparse_direction_NS_24const_host_device_scalarIT0_EES1_PKS1_PKT1_SA_S7_PKT3_PKT4_S5_PT5_21rocsparse_index_base_b.uses_vcc, 1
	.set _ZN9rocsparseL20bsrxmvn_17_32_kernelILj23EfiiaafEEvT2_20rocsparse_direction_NS_24const_host_device_scalarIT0_EES1_PKS1_PKT1_SA_S7_PKT3_PKT4_S5_PT5_21rocsparse_index_base_b.uses_flat_scratch, 0
	.set _ZN9rocsparseL20bsrxmvn_17_32_kernelILj23EfiiaafEEvT2_20rocsparse_direction_NS_24const_host_device_scalarIT0_EES1_PKS1_PKT1_SA_S7_PKT3_PKT4_S5_PT5_21rocsparse_index_base_b.has_dyn_sized_stack, 0
	.set _ZN9rocsparseL20bsrxmvn_17_32_kernelILj23EfiiaafEEvT2_20rocsparse_direction_NS_24const_host_device_scalarIT0_EES1_PKS1_PKT1_SA_S7_PKT3_PKT4_S5_PT5_21rocsparse_index_base_b.has_recursion, 0
	.set _ZN9rocsparseL20bsrxmvn_17_32_kernelILj23EfiiaafEEvT2_20rocsparse_direction_NS_24const_host_device_scalarIT0_EES1_PKS1_PKT1_SA_S7_PKT3_PKT4_S5_PT5_21rocsparse_index_base_b.has_indirect_call, 0
	.section	.AMDGPU.csdata,"",@progbits
; Kernel info:
; codeLenInByte = 1240
; TotalNumSgprs: 26
; NumVgprs: 11
; ScratchSize: 0
; MemoryBound: 0
; FloatMode: 240
; IeeeMode: 1
; LDSByteSize: 2116 bytes/workgroup (compile time only)
; SGPRBlocks: 8
; VGPRBlocks: 6
; NumSGPRsForWavesPerEU: 65
; NumVGPRsForWavesPerEU: 25
; Occupancy: 9
; WaveLimiterHint : 1
; COMPUTE_PGM_RSRC2:SCRATCH_EN: 0
; COMPUTE_PGM_RSRC2:USER_SGPR: 6
; COMPUTE_PGM_RSRC2:TRAP_HANDLER: 0
; COMPUTE_PGM_RSRC2:TGID_X_EN: 1
; COMPUTE_PGM_RSRC2:TGID_Y_EN: 0
; COMPUTE_PGM_RSRC2:TGID_Z_EN: 0
; COMPUTE_PGM_RSRC2:TIDIG_COMP_CNT: 0
	.section	.text._ZN9rocsparseL20bsrxmvn_17_32_kernelILj24EfiiaafEEvT2_20rocsparse_direction_NS_24const_host_device_scalarIT0_EES1_PKS1_PKT1_SA_S7_PKT3_PKT4_S5_PT5_21rocsparse_index_base_b,"axG",@progbits,_ZN9rocsparseL20bsrxmvn_17_32_kernelILj24EfiiaafEEvT2_20rocsparse_direction_NS_24const_host_device_scalarIT0_EES1_PKS1_PKT1_SA_S7_PKT3_PKT4_S5_PT5_21rocsparse_index_base_b,comdat
	.globl	_ZN9rocsparseL20bsrxmvn_17_32_kernelILj24EfiiaafEEvT2_20rocsparse_direction_NS_24const_host_device_scalarIT0_EES1_PKS1_PKT1_SA_S7_PKT3_PKT4_S5_PT5_21rocsparse_index_base_b ; -- Begin function _ZN9rocsparseL20bsrxmvn_17_32_kernelILj24EfiiaafEEvT2_20rocsparse_direction_NS_24const_host_device_scalarIT0_EES1_PKS1_PKT1_SA_S7_PKT3_PKT4_S5_PT5_21rocsparse_index_base_b
	.p2align	8
	.type	_ZN9rocsparseL20bsrxmvn_17_32_kernelILj24EfiiaafEEvT2_20rocsparse_direction_NS_24const_host_device_scalarIT0_EES1_PKS1_PKT1_SA_S7_PKT3_PKT4_S5_PT5_21rocsparse_index_base_b,@function
_ZN9rocsparseL20bsrxmvn_17_32_kernelILj24EfiiaafEEvT2_20rocsparse_direction_NS_24const_host_device_scalarIT0_EES1_PKS1_PKT1_SA_S7_PKT3_PKT4_S5_PT5_21rocsparse_index_base_b: ; @_ZN9rocsparseL20bsrxmvn_17_32_kernelILj24EfiiaafEEvT2_20rocsparse_direction_NS_24const_host_device_scalarIT0_EES1_PKS1_PKT1_SA_S7_PKT3_PKT4_S5_PT5_21rocsparse_index_base_b
; %bb.0:
	s_load_dwordx2 s[18:19], s[4:5], 0x58
	s_load_dwordx2 s[14:15], s[4:5], 0x8
	s_load_dwordx2 s[12:13], s[4:5], 0x48
	s_waitcnt lgkmcnt(0)
	s_bitcmp1_b32 s19, 0
	s_cselect_b64 s[2:3], -1, 0
	s_xor_b64 s[0:1], s[2:3], -1
	s_and_b64 vcc, exec, s[2:3]
	s_cbranch_vccnz .LBB247_2
; %bb.1:
	s_load_dword s14, s[14:15], 0x0
.LBB247_2:
	s_andn2_b64 vcc, exec, s[0:1]
	s_cbranch_vccnz .LBB247_4
; %bb.3:
	s_load_dword s12, s[12:13], 0x0
.LBB247_4:
	s_waitcnt lgkmcnt(0)
	v_cmp_neq_f32_e64 s[0:1], s14, 0
	v_cmp_neq_f32_e64 s[2:3], s12, 1.0
	s_or_b64 s[0:1], s[0:1], s[2:3]
	s_andn2_b64 vcc, exec, s[0:1]
	s_cbranch_vccnz .LBB247_40
; %bb.5:
	s_load_dwordx4 s[0:3], s[4:5], 0x18
	s_load_dwordx2 s[8:9], s[4:5], 0x28
	s_waitcnt lgkmcnt(0)
	s_cmp_eq_u64 s[0:1], 0
	s_cbranch_scc1 .LBB247_7
; %bb.6:
	s_ashr_i32 s7, s6, 31
	s_lshl_b64 s[6:7], s[6:7], 2
	s_add_u32 s0, s0, s6
	s_addc_u32 s1, s1, s7
	s_load_dword s0, s[0:1], 0x0
	s_waitcnt lgkmcnt(0)
	s_sub_i32 s6, s0, s18
.LBB247_7:
	s_load_dword s0, s[4:5], 0x4
	s_load_dwordx2 s[16:17], s[4:5], 0x50
	v_mul_u32_u24_e32 v1, 0xaab, v0
	v_mov_b32_e32 v2, 24
	v_mul_lo_u16_sdwa v2, v1, v2 dst_sel:DWORD dst_unused:UNUSED_PAD src0_sel:WORD_1 src1_sel:DWORD
	s_waitcnt lgkmcnt(0)
	s_cmp_eq_u32 s0, 1
	s_cselect_b64 vcc, -1, 0
	s_cmp_lg_u32 s0, 1
	s_cselect_b64 s[20:21], -1, 0
	s_ashr_i32 s7, s6, 31
	s_lshl_b64 s[0:1], s[6:7], 2
	s_add_u32 s2, s2, s0
	s_addc_u32 s3, s3, s1
	s_load_dword s7, s[2:3], 0x0
	s_add_u32 s2, s2, 4
	s_addc_u32 s3, s3, 0
	s_add_u32 s0, s8, s0
	s_addc_u32 s1, s9, s1
	s_cmp_eq_u64 s[8:9], 0
	s_cselect_b32 s1, s3, s1
	s_cselect_b32 s0, s2, s0
	s_load_dword s0, s[0:1], 0x0
	v_sub_u16_e32 v7, v0, v2
	v_mov_b32_e32 v6, 0
	s_waitcnt lgkmcnt(0)
	s_cmp_ge_i32 s7, s0
	s_cbranch_scc1 .LBB247_12
; %bb.8:
	s_load_dwordx4 s[8:11], s[4:5], 0x30
	s_load_dwordx2 s[2:3], s[4:5], 0x40
	s_sub_i32 s4, s0, s18
	s_mov_b32 s0, 0xffff
	s_movk_i32 s1, 0x240
	v_and_b32_sdwa v1, s0, v1 dst_sel:DWORD dst_unused:UNUSED_PAD src0_sel:DWORD src1_sel:WORD_1
	v_subrev_u32_e32 v2, 24, v1
	v_cmp_gt_u32_e64 s[0:1], s1, v0
	s_sub_i32 s5, s7, s18
	v_cndmask_b32_e64 v1, v2, v1, s[0:1]
	s_mul_i32 s1, s5, 0x240
	s_mul_hi_i32 s0, s5, 0x240
	s_waitcnt lgkmcnt(0)
	s_add_u32 s1, s10, s1
	s_addc_u32 s0, s11, s0
	v_cndmask_b32_e32 v1, v7, v1, vcc
	v_mov_b32_e32 v3, s0
	v_add_co_u32_e32 v2, vcc, s1, v0
	v_addc_co_u32_e32 v3, vcc, 0, v3, vcc
	s_movk_i32 s0, 0x23f
	v_cmp_lt_u32_e32 vcc, s0, v0
	v_mov_b32_e32 v6, 0
	v_cndmask_b32_e64 v8, 0, 1, vcc
	s_branch .LBB247_10
.LBB247_9:                              ;   in Loop: Header=BB247_10 Depth=1
	s_or_b64 exec, exec, s[0:1]
	s_add_i32 s5, s5, 1
	s_cmp_lt_i32 s5, s4
	s_cbranch_scc0 .LBB247_12
.LBB247_10:                             ; =>This Inner Loop Header: Depth=1
	v_add_u32_e32 v4, s5, v8
	v_cmp_gt_i32_e32 vcc, s4, v4
	s_and_saveexec_b64 s[0:1], vcc
	s_cbranch_execz .LBB247_9
; %bb.11:                               ;   in Loop: Header=BB247_10 Depth=1
	v_ashrrev_i32_e32 v5, 31, v4
	v_lshlrev_b64 v[4:5], 2, v[4:5]
	v_mov_b32_e32 v9, s9
	v_add_co_u32_e32 v4, vcc, s8, v4
	v_addc_co_u32_e32 v5, vcc, v9, v5, vcc
	global_load_dword v4, v[4:5], off
	s_waitcnt vmcnt(0)
	v_subrev_u32_e32 v4, s18, v4
	v_mad_u64_u32 v[4:5], s[10:11], v4, 24, v[1:2]
	v_mov_b32_e32 v5, s3
	global_load_sbyte v9, v[2:3], off
	v_ashrrev_i32_e32 v10, 31, v4
	v_add_co_u32_e32 v4, vcc, s2, v4
	v_addc_co_u32_e32 v5, vcc, v5, v10, vcc
	global_load_sbyte v4, v[4:5], off
	v_add_co_u32_e32 v2, vcc, 0x240, v2
	v_addc_co_u32_e32 v3, vcc, 0, v3, vcc
	s_waitcnt vmcnt(1)
	v_cvt_f32_i32_e32 v5, v9
	s_waitcnt vmcnt(0)
	v_cvt_f32_i32_e32 v4, v4
	v_fmac_f32_e32 v6, v5, v4
	s_branch .LBB247_9
.LBB247_12:
	v_lshlrev_b32_e32 v1, 2, v0
	s_and_b64 vcc, exec, s[20:21]
	ds_write_b32 v1, v6
	s_waitcnt lgkmcnt(0)
	s_barrier
	s_cbranch_vccz .LBB247_24
; %bb.13:
	v_cmp_gt_u16_e32 vcc, 8, v7
	s_and_saveexec_b64 s[0:1], vcc
	s_cbranch_execz .LBB247_15
; %bb.14:
	ds_read2_b32 v[2:3], v1 offset1:16
	s_waitcnt lgkmcnt(0)
	v_add_f32_e32 v2, v3, v2
	ds_write_b32 v1, v2
.LBB247_15:
	s_or_b64 exec, exec, s[0:1]
	s_waitcnt lgkmcnt(0)
	s_barrier
	s_and_saveexec_b64 s[0:1], vcc
	s_cbranch_execz .LBB247_17
; %bb.16:
	ds_read2_b32 v[2:3], v1 offset1:8
	s_waitcnt lgkmcnt(0)
	v_add_f32_e32 v2, v3, v2
	ds_write_b32 v1, v2
.LBB247_17:
	s_or_b64 exec, exec, s[0:1]
	v_cmp_gt_u16_e32 vcc, 4, v7
	s_waitcnt lgkmcnt(0)
	s_barrier
	s_and_saveexec_b64 s[0:1], vcc
	s_cbranch_execz .LBB247_19
; %bb.18:
	ds_read2_b32 v[2:3], v1 offset1:4
	s_waitcnt lgkmcnt(0)
	v_add_f32_e32 v2, v3, v2
	ds_write_b32 v1, v2
.LBB247_19:
	s_or_b64 exec, exec, s[0:1]
	v_cmp_gt_u16_e32 vcc, 2, v7
	s_waitcnt lgkmcnt(0)
	s_barrier
	s_and_saveexec_b64 s[0:1], vcc
	s_cbranch_execz .LBB247_21
; %bb.20:
	ds_read2_b32 v[2:3], v1 offset1:2
	s_waitcnt lgkmcnt(0)
	v_add_f32_e32 v2, v3, v2
	ds_write_b32 v1, v2
.LBB247_21:
	s_or_b64 exec, exec, s[0:1]
	v_cmp_gt_u32_e32 vcc, 24, v0
	v_mov_b32_e32 v2, v6
	s_waitcnt lgkmcnt(0)
	s_barrier
	s_and_saveexec_b64 s[0:1], vcc
	s_cbranch_execz .LBB247_23
; %bb.22:
	s_movk_i32 s2, 0x5c
	v_mad_u32_u24 v2, v0, s2, v1
	ds_read_b64 v[2:3], v2
	s_waitcnt lgkmcnt(0)
	v_add_f32_e32 v2, v2, v3
.LBB247_23:
	s_or_b64 exec, exec, s[0:1]
	s_branch .LBB247_36
.LBB247_24:
                                        ; implicit-def: $vgpr2
	s_cbranch_execz .LBB247_36
; %bb.25:
	s_movk_i32 s0, 0xc0
	v_cmp_gt_u32_e32 vcc, s0, v0
	s_and_saveexec_b64 s[0:1], vcc
	s_cbranch_execz .LBB247_27
; %bb.26:
	ds_read2st64_b32 v[2:3], v1 offset1:6
	s_waitcnt lgkmcnt(0)
	v_add_f32_e32 v2, v3, v2
	ds_write_b32 v1, v2
.LBB247_27:
	s_or_b64 exec, exec, s[0:1]
	s_waitcnt lgkmcnt(0)
	s_barrier
	s_and_saveexec_b64 s[0:1], vcc
	s_cbranch_execz .LBB247_29
; %bb.28:
	ds_read2st64_b32 v[2:3], v1 offset1:3
	s_waitcnt lgkmcnt(0)
	v_add_f32_e32 v2, v3, v2
	ds_write_b32 v1, v2
.LBB247_29:
	s_or_b64 exec, exec, s[0:1]
	s_movk_i32 s0, 0x60
	v_cmp_gt_u32_e32 vcc, s0, v0
	s_waitcnt lgkmcnt(0)
	s_barrier
	s_and_saveexec_b64 s[0:1], vcc
	s_cbranch_execz .LBB247_31
; %bb.30:
	ds_read2_b32 v[2:3], v1 offset1:96
	s_waitcnt lgkmcnt(0)
	v_add_f32_e32 v2, v3, v2
	ds_write_b32 v1, v2
.LBB247_31:
	s_or_b64 exec, exec, s[0:1]
	v_cmp_gt_u32_e32 vcc, 48, v0
	s_waitcnt lgkmcnt(0)
	s_barrier
	s_and_saveexec_b64 s[0:1], vcc
	s_cbranch_execz .LBB247_33
; %bb.32:
	ds_read2_b32 v[2:3], v1 offset1:48
	s_waitcnt lgkmcnt(0)
	v_add_f32_e32 v2, v3, v2
	ds_write_b32 v1, v2
.LBB247_33:
	s_or_b64 exec, exec, s[0:1]
	v_cmp_gt_u32_e32 vcc, 24, v0
	s_waitcnt lgkmcnt(0)
	s_and_saveexec_b64 s[0:1], vcc
	s_cbranch_execz .LBB247_35
; %bb.34:
	ds_read2_b32 v[1:2], v1 offset1:24
	s_waitcnt lgkmcnt(0)
	v_add_f32_e32 v6, v1, v2
.LBB247_35:
	s_or_b64 exec, exec, s[0:1]
	v_mov_b32_e32 v2, v6
.LBB247_36:
	v_cmp_gt_u32_e32 vcc, 24, v0
	s_and_saveexec_b64 s[0:1], vcc
	s_cbranch_execz .LBB247_40
; %bb.37:
	v_cmp_eq_f32_e64 s[0:1], s12, 0
	s_and_b64 vcc, exec, s[0:1]
	v_mul_f32_e32 v1, s14, v2
	s_cbranch_vccz .LBB247_41
; %bb.38:
	v_mad_u64_u32 v[2:3], s[0:1], s6, 24, v[0:1]
	v_mov_b32_e32 v3, 0
	v_mov_b32_e32 v4, s17
	v_lshlrev_b64 v[2:3], 2, v[2:3]
	v_add_co_u32_e32 v2, vcc, s16, v2
	v_addc_co_u32_e32 v3, vcc, v4, v3, vcc
	global_store_dword v[2:3], v1, off
	s_cbranch_execnz .LBB247_40
.LBB247_39:
	v_mad_u64_u32 v[2:3], s[0:1], s6, 24, v[0:1]
	v_mov_b32_e32 v3, 0
	v_mov_b32_e32 v0, s17
	v_lshlrev_b64 v[2:3], 2, v[2:3]
	v_add_co_u32_e32 v2, vcc, s16, v2
	v_addc_co_u32_e32 v3, vcc, v0, v3, vcc
	global_load_dword v0, v[2:3], off
	s_waitcnt vmcnt(0)
	v_fmac_f32_e32 v1, s12, v0
	global_store_dword v[2:3], v1, off
.LBB247_40:
	s_endpgm
.LBB247_41:
	s_branch .LBB247_39
	.section	.rodata,"a",@progbits
	.p2align	6, 0x0
	.amdhsa_kernel _ZN9rocsparseL20bsrxmvn_17_32_kernelILj24EfiiaafEEvT2_20rocsparse_direction_NS_24const_host_device_scalarIT0_EES1_PKS1_PKT1_SA_S7_PKT3_PKT4_S5_PT5_21rocsparse_index_base_b
		.amdhsa_group_segment_fixed_size 2304
		.amdhsa_private_segment_fixed_size 0
		.amdhsa_kernarg_size 96
		.amdhsa_user_sgpr_count 6
		.amdhsa_user_sgpr_private_segment_buffer 1
		.amdhsa_user_sgpr_dispatch_ptr 0
		.amdhsa_user_sgpr_queue_ptr 0
		.amdhsa_user_sgpr_kernarg_segment_ptr 1
		.amdhsa_user_sgpr_dispatch_id 0
		.amdhsa_user_sgpr_flat_scratch_init 0
		.amdhsa_user_sgpr_private_segment_size 0
		.amdhsa_uses_dynamic_stack 0
		.amdhsa_system_sgpr_private_segment_wavefront_offset 0
		.amdhsa_system_sgpr_workgroup_id_x 1
		.amdhsa_system_sgpr_workgroup_id_y 0
		.amdhsa_system_sgpr_workgroup_id_z 0
		.amdhsa_system_sgpr_workgroup_info 0
		.amdhsa_system_vgpr_workitem_id 0
		.amdhsa_next_free_vgpr 25
		.amdhsa_next_free_sgpr 61
		.amdhsa_reserve_vcc 1
		.amdhsa_reserve_flat_scratch 0
		.amdhsa_float_round_mode_32 0
		.amdhsa_float_round_mode_16_64 0
		.amdhsa_float_denorm_mode_32 3
		.amdhsa_float_denorm_mode_16_64 3
		.amdhsa_dx10_clamp 1
		.amdhsa_ieee_mode 1
		.amdhsa_fp16_overflow 0
		.amdhsa_exception_fp_ieee_invalid_op 0
		.amdhsa_exception_fp_denorm_src 0
		.amdhsa_exception_fp_ieee_div_zero 0
		.amdhsa_exception_fp_ieee_overflow 0
		.amdhsa_exception_fp_ieee_underflow 0
		.amdhsa_exception_fp_ieee_inexact 0
		.amdhsa_exception_int_div_zero 0
	.end_amdhsa_kernel
	.section	.text._ZN9rocsparseL20bsrxmvn_17_32_kernelILj24EfiiaafEEvT2_20rocsparse_direction_NS_24const_host_device_scalarIT0_EES1_PKS1_PKT1_SA_S7_PKT3_PKT4_S5_PT5_21rocsparse_index_base_b,"axG",@progbits,_ZN9rocsparseL20bsrxmvn_17_32_kernelILj24EfiiaafEEvT2_20rocsparse_direction_NS_24const_host_device_scalarIT0_EES1_PKS1_PKT1_SA_S7_PKT3_PKT4_S5_PT5_21rocsparse_index_base_b,comdat
.Lfunc_end247:
	.size	_ZN9rocsparseL20bsrxmvn_17_32_kernelILj24EfiiaafEEvT2_20rocsparse_direction_NS_24const_host_device_scalarIT0_EES1_PKS1_PKT1_SA_S7_PKT3_PKT4_S5_PT5_21rocsparse_index_base_b, .Lfunc_end247-_ZN9rocsparseL20bsrxmvn_17_32_kernelILj24EfiiaafEEvT2_20rocsparse_direction_NS_24const_host_device_scalarIT0_EES1_PKS1_PKT1_SA_S7_PKT3_PKT4_S5_PT5_21rocsparse_index_base_b
                                        ; -- End function
	.set _ZN9rocsparseL20bsrxmvn_17_32_kernelILj24EfiiaafEEvT2_20rocsparse_direction_NS_24const_host_device_scalarIT0_EES1_PKS1_PKT1_SA_S7_PKT3_PKT4_S5_PT5_21rocsparse_index_base_b.num_vgpr, 11
	.set _ZN9rocsparseL20bsrxmvn_17_32_kernelILj24EfiiaafEEvT2_20rocsparse_direction_NS_24const_host_device_scalarIT0_EES1_PKS1_PKT1_SA_S7_PKT3_PKT4_S5_PT5_21rocsparse_index_base_b.num_agpr, 0
	.set _ZN9rocsparseL20bsrxmvn_17_32_kernelILj24EfiiaafEEvT2_20rocsparse_direction_NS_24const_host_device_scalarIT0_EES1_PKS1_PKT1_SA_S7_PKT3_PKT4_S5_PT5_21rocsparse_index_base_b.numbered_sgpr, 22
	.set _ZN9rocsparseL20bsrxmvn_17_32_kernelILj24EfiiaafEEvT2_20rocsparse_direction_NS_24const_host_device_scalarIT0_EES1_PKS1_PKT1_SA_S7_PKT3_PKT4_S5_PT5_21rocsparse_index_base_b.num_named_barrier, 0
	.set _ZN9rocsparseL20bsrxmvn_17_32_kernelILj24EfiiaafEEvT2_20rocsparse_direction_NS_24const_host_device_scalarIT0_EES1_PKS1_PKT1_SA_S7_PKT3_PKT4_S5_PT5_21rocsparse_index_base_b.private_seg_size, 0
	.set _ZN9rocsparseL20bsrxmvn_17_32_kernelILj24EfiiaafEEvT2_20rocsparse_direction_NS_24const_host_device_scalarIT0_EES1_PKS1_PKT1_SA_S7_PKT3_PKT4_S5_PT5_21rocsparse_index_base_b.uses_vcc, 1
	.set _ZN9rocsparseL20bsrxmvn_17_32_kernelILj24EfiiaafEEvT2_20rocsparse_direction_NS_24const_host_device_scalarIT0_EES1_PKS1_PKT1_SA_S7_PKT3_PKT4_S5_PT5_21rocsparse_index_base_b.uses_flat_scratch, 0
	.set _ZN9rocsparseL20bsrxmvn_17_32_kernelILj24EfiiaafEEvT2_20rocsparse_direction_NS_24const_host_device_scalarIT0_EES1_PKS1_PKT1_SA_S7_PKT3_PKT4_S5_PT5_21rocsparse_index_base_b.has_dyn_sized_stack, 0
	.set _ZN9rocsparseL20bsrxmvn_17_32_kernelILj24EfiiaafEEvT2_20rocsparse_direction_NS_24const_host_device_scalarIT0_EES1_PKS1_PKT1_SA_S7_PKT3_PKT4_S5_PT5_21rocsparse_index_base_b.has_recursion, 0
	.set _ZN9rocsparseL20bsrxmvn_17_32_kernelILj24EfiiaafEEvT2_20rocsparse_direction_NS_24const_host_device_scalarIT0_EES1_PKS1_PKT1_SA_S7_PKT3_PKT4_S5_PT5_21rocsparse_index_base_b.has_indirect_call, 0
	.section	.AMDGPU.csdata,"",@progbits
; Kernel info:
; codeLenInByte = 1220
; TotalNumSgprs: 26
; NumVgprs: 11
; ScratchSize: 0
; MemoryBound: 0
; FloatMode: 240
; IeeeMode: 1
; LDSByteSize: 2304 bytes/workgroup (compile time only)
; SGPRBlocks: 8
; VGPRBlocks: 6
; NumSGPRsForWavesPerEU: 65
; NumVGPRsForWavesPerEU: 25
; Occupancy: 9
; WaveLimiterHint : 1
; COMPUTE_PGM_RSRC2:SCRATCH_EN: 0
; COMPUTE_PGM_RSRC2:USER_SGPR: 6
; COMPUTE_PGM_RSRC2:TRAP_HANDLER: 0
; COMPUTE_PGM_RSRC2:TGID_X_EN: 1
; COMPUTE_PGM_RSRC2:TGID_Y_EN: 0
; COMPUTE_PGM_RSRC2:TGID_Z_EN: 0
; COMPUTE_PGM_RSRC2:TIDIG_COMP_CNT: 0
	.section	.text._ZN9rocsparseL20bsrxmvn_17_32_kernelILj25EfiiaafEEvT2_20rocsparse_direction_NS_24const_host_device_scalarIT0_EES1_PKS1_PKT1_SA_S7_PKT3_PKT4_S5_PT5_21rocsparse_index_base_b,"axG",@progbits,_ZN9rocsparseL20bsrxmvn_17_32_kernelILj25EfiiaafEEvT2_20rocsparse_direction_NS_24const_host_device_scalarIT0_EES1_PKS1_PKT1_SA_S7_PKT3_PKT4_S5_PT5_21rocsparse_index_base_b,comdat
	.globl	_ZN9rocsparseL20bsrxmvn_17_32_kernelILj25EfiiaafEEvT2_20rocsparse_direction_NS_24const_host_device_scalarIT0_EES1_PKS1_PKT1_SA_S7_PKT3_PKT4_S5_PT5_21rocsparse_index_base_b ; -- Begin function _ZN9rocsparseL20bsrxmvn_17_32_kernelILj25EfiiaafEEvT2_20rocsparse_direction_NS_24const_host_device_scalarIT0_EES1_PKS1_PKT1_SA_S7_PKT3_PKT4_S5_PT5_21rocsparse_index_base_b
	.p2align	8
	.type	_ZN9rocsparseL20bsrxmvn_17_32_kernelILj25EfiiaafEEvT2_20rocsparse_direction_NS_24const_host_device_scalarIT0_EES1_PKS1_PKT1_SA_S7_PKT3_PKT4_S5_PT5_21rocsparse_index_base_b,@function
_ZN9rocsparseL20bsrxmvn_17_32_kernelILj25EfiiaafEEvT2_20rocsparse_direction_NS_24const_host_device_scalarIT0_EES1_PKS1_PKT1_SA_S7_PKT3_PKT4_S5_PT5_21rocsparse_index_base_b: ; @_ZN9rocsparseL20bsrxmvn_17_32_kernelILj25EfiiaafEEvT2_20rocsparse_direction_NS_24const_host_device_scalarIT0_EES1_PKS1_PKT1_SA_S7_PKT3_PKT4_S5_PT5_21rocsparse_index_base_b
; %bb.0:
	s_load_dwordx2 s[18:19], s[4:5], 0x58
	s_load_dwordx2 s[14:15], s[4:5], 0x8
	;; [unrolled: 1-line block ×3, first 2 shown]
	s_waitcnt lgkmcnt(0)
	s_bitcmp1_b32 s19, 0
	s_cselect_b64 s[2:3], -1, 0
	s_xor_b64 s[0:1], s[2:3], -1
	s_and_b64 vcc, exec, s[2:3]
	s_cbranch_vccnz .LBB248_2
; %bb.1:
	s_load_dword s14, s[14:15], 0x0
.LBB248_2:
	s_andn2_b64 vcc, exec, s[0:1]
	s_cbranch_vccnz .LBB248_4
; %bb.3:
	s_load_dword s12, s[12:13], 0x0
.LBB248_4:
	s_waitcnt lgkmcnt(0)
	v_cmp_neq_f32_e64 s[0:1], s14, 0
	v_cmp_neq_f32_e64 s[2:3], s12, 1.0
	s_or_b64 s[0:1], s[0:1], s[2:3]
	s_andn2_b64 vcc, exec, s[0:1]
	s_cbranch_vccnz .LBB248_40
; %bb.5:
	s_load_dwordx4 s[0:3], s[4:5], 0x18
	s_load_dwordx2 s[8:9], s[4:5], 0x28
	s_waitcnt lgkmcnt(0)
	s_cmp_eq_u64 s[0:1], 0
	s_cbranch_scc1 .LBB248_7
; %bb.6:
	s_ashr_i32 s7, s6, 31
	s_lshl_b64 s[6:7], s[6:7], 2
	s_add_u32 s0, s0, s6
	s_addc_u32 s1, s1, s7
	s_load_dword s0, s[0:1], 0x0
	s_waitcnt lgkmcnt(0)
	s_sub_i32 s6, s0, s18
.LBB248_7:
	s_load_dword s0, s[4:5], 0x4
	s_load_dwordx2 s[16:17], s[4:5], 0x50
	v_mul_u32_u24_e32 v1, 0xa3e, v0
	v_mov_b32_e32 v2, 25
	v_mul_lo_u16_sdwa v2, v1, v2 dst_sel:DWORD dst_unused:UNUSED_PAD src0_sel:WORD_1 src1_sel:DWORD
	s_waitcnt lgkmcnt(0)
	s_cmp_eq_u32 s0, 1
	s_cselect_b64 vcc, -1, 0
	s_cmp_lg_u32 s0, 1
	s_cselect_b64 s[20:21], -1, 0
	s_ashr_i32 s7, s6, 31
	s_lshl_b64 s[0:1], s[6:7], 2
	s_add_u32 s2, s2, s0
	s_addc_u32 s3, s3, s1
	s_load_dword s7, s[2:3], 0x0
	s_add_u32 s2, s2, 4
	s_addc_u32 s3, s3, 0
	s_add_u32 s0, s8, s0
	s_addc_u32 s1, s9, s1
	s_cmp_eq_u64 s[8:9], 0
	s_cselect_b32 s1, s3, s1
	s_cselect_b32 s0, s2, s0
	s_load_dword s0, s[0:1], 0x0
	v_sub_u16_e32 v7, v0, v2
	v_mov_b32_e32 v6, 0
	s_waitcnt lgkmcnt(0)
	s_cmp_ge_i32 s7, s0
	s_cbranch_scc1 .LBB248_12
; %bb.8:
	s_load_dwordx4 s[8:11], s[4:5], 0x30
	s_load_dwordx2 s[2:3], s[4:5], 0x40
	s_sub_i32 s4, s0, s18
	s_mov_b32 s0, 0xffff
	s_movk_i32 s1, 0x271
	v_and_b32_sdwa v1, s0, v1 dst_sel:DWORD dst_unused:UNUSED_PAD src0_sel:DWORD src1_sel:WORD_1
	v_subrev_u32_e32 v2, 25, v1
	v_cmp_gt_u32_e64 s[0:1], s1, v0
	s_sub_i32 s5, s7, s18
	v_cndmask_b32_e64 v1, v2, v1, s[0:1]
	s_mul_i32 s1, s5, 0x271
	s_mul_hi_i32 s0, s5, 0x271
	s_waitcnt lgkmcnt(0)
	s_add_u32 s1, s10, s1
	s_addc_u32 s0, s11, s0
	v_cndmask_b32_e32 v1, v7, v1, vcc
	v_mov_b32_e32 v3, s0
	v_add_co_u32_e32 v2, vcc, s1, v0
	v_addc_co_u32_e32 v3, vcc, 0, v3, vcc
	s_movk_i32 s0, 0x270
	v_cmp_lt_u32_e32 vcc, s0, v0
	v_mov_b32_e32 v6, 0
	v_cndmask_b32_e64 v8, 0, 1, vcc
	s_branch .LBB248_10
.LBB248_9:                              ;   in Loop: Header=BB248_10 Depth=1
	s_or_b64 exec, exec, s[0:1]
	s_add_i32 s5, s5, 1
	s_cmp_lt_i32 s5, s4
	s_cbranch_scc0 .LBB248_12
.LBB248_10:                             ; =>This Inner Loop Header: Depth=1
	v_add_u32_e32 v4, s5, v8
	v_cmp_gt_i32_e32 vcc, s4, v4
	s_and_saveexec_b64 s[0:1], vcc
	s_cbranch_execz .LBB248_9
; %bb.11:                               ;   in Loop: Header=BB248_10 Depth=1
	v_ashrrev_i32_e32 v5, 31, v4
	v_lshlrev_b64 v[4:5], 2, v[4:5]
	v_mov_b32_e32 v9, s9
	v_add_co_u32_e32 v4, vcc, s8, v4
	v_addc_co_u32_e32 v5, vcc, v9, v5, vcc
	global_load_dword v4, v[4:5], off
	s_waitcnt vmcnt(0)
	v_subrev_u32_e32 v4, s18, v4
	v_mad_u64_u32 v[4:5], s[10:11], v4, 25, v[1:2]
	v_mov_b32_e32 v5, s3
	global_load_sbyte v9, v[2:3], off
	v_ashrrev_i32_e32 v10, 31, v4
	v_add_co_u32_e32 v4, vcc, s2, v4
	v_addc_co_u32_e32 v5, vcc, v5, v10, vcc
	global_load_sbyte v4, v[4:5], off
	v_add_co_u32_e32 v2, vcc, 0x271, v2
	v_addc_co_u32_e32 v3, vcc, 0, v3, vcc
	s_waitcnt vmcnt(1)
	v_cvt_f32_i32_e32 v5, v9
	s_waitcnt vmcnt(0)
	v_cvt_f32_i32_e32 v4, v4
	v_fmac_f32_e32 v6, v5, v4
	s_branch .LBB248_9
.LBB248_12:
	v_lshlrev_b32_e32 v1, 2, v0
	s_and_b64 vcc, exec, s[20:21]
	ds_write_b32 v1, v6
	s_waitcnt lgkmcnt(0)
	s_barrier
	s_cbranch_vccz .LBB248_24
; %bb.13:
	v_cmp_gt_u16_e32 vcc, 9, v7
	s_and_saveexec_b64 s[0:1], vcc
	s_cbranch_execz .LBB248_15
; %bb.14:
	ds_read2_b32 v[2:3], v1 offset1:16
	s_waitcnt lgkmcnt(0)
	v_add_f32_e32 v2, v3, v2
	ds_write_b32 v1, v2
.LBB248_15:
	s_or_b64 exec, exec, s[0:1]
	v_cmp_gt_u16_e32 vcc, 8, v7
	s_waitcnt lgkmcnt(0)
	s_barrier
	s_and_saveexec_b64 s[0:1], vcc
	s_cbranch_execz .LBB248_17
; %bb.16:
	ds_read2_b32 v[2:3], v1 offset1:8
	s_waitcnt lgkmcnt(0)
	v_add_f32_e32 v2, v3, v2
	ds_write_b32 v1, v2
.LBB248_17:
	s_or_b64 exec, exec, s[0:1]
	v_cmp_gt_u16_e32 vcc, 4, v7
	s_waitcnt lgkmcnt(0)
	s_barrier
	;; [unrolled: 12-line block ×3, first 2 shown]
	s_and_saveexec_b64 s[0:1], vcc
	s_cbranch_execz .LBB248_21
; %bb.20:
	ds_read2_b32 v[2:3], v1 offset1:2
	s_waitcnt lgkmcnt(0)
	v_add_f32_e32 v2, v3, v2
	ds_write_b32 v1, v2
.LBB248_21:
	s_or_b64 exec, exec, s[0:1]
	v_cmp_gt_u32_e32 vcc, 25, v0
	v_mov_b32_e32 v2, v6
	s_waitcnt lgkmcnt(0)
	s_barrier
	s_and_saveexec_b64 s[0:1], vcc
	s_cbranch_execz .LBB248_23
; %bb.22:
	s_movk_i32 s2, 0x60
	v_mad_u32_u24 v2, v0, s2, v1
	ds_read2_b32 v[2:3], v2 offset1:1
	s_waitcnt lgkmcnt(0)
	v_add_f32_e32 v2, v2, v3
.LBB248_23:
	s_or_b64 exec, exec, s[0:1]
	s_branch .LBB248_36
.LBB248_24:
                                        ; implicit-def: $vgpr2
	s_cbranch_execz .LBB248_36
; %bb.25:
	s_movk_i32 s0, 0xe1
	v_cmp_gt_u32_e32 vcc, s0, v0
	s_and_saveexec_b64 s[0:1], vcc
	s_cbranch_execz .LBB248_27
; %bb.26:
	ds_read_b32 v2, v1 offset:1600
	ds_read_b32 v3, v1
	s_waitcnt lgkmcnt(0)
	v_add_f32_e32 v2, v2, v3
	ds_write_b32 v1, v2
.LBB248_27:
	s_or_b64 exec, exec, s[0:1]
	s_movk_i32 s0, 0xc8
	v_cmp_gt_u32_e32 vcc, s0, v0
	s_waitcnt lgkmcnt(0)
	s_barrier
	s_and_saveexec_b64 s[0:1], vcc
	s_cbranch_execz .LBB248_29
; %bb.28:
	ds_read2_b32 v[2:3], v1 offset1:200
	s_waitcnt lgkmcnt(0)
	v_add_f32_e32 v2, v3, v2
	ds_write_b32 v1, v2
.LBB248_29:
	s_or_b64 exec, exec, s[0:1]
	s_movk_i32 s0, 0x64
	v_cmp_gt_u32_e32 vcc, s0, v0
	s_waitcnt lgkmcnt(0)
	s_barrier
	s_and_saveexec_b64 s[0:1], vcc
	s_cbranch_execz .LBB248_31
; %bb.30:
	ds_read2_b32 v[2:3], v1 offset1:100
	s_waitcnt lgkmcnt(0)
	v_add_f32_e32 v2, v3, v2
	ds_write_b32 v1, v2
.LBB248_31:
	s_or_b64 exec, exec, s[0:1]
	v_cmp_gt_u32_e32 vcc, 50, v0
	s_waitcnt lgkmcnt(0)
	s_barrier
	s_and_saveexec_b64 s[0:1], vcc
	s_cbranch_execz .LBB248_33
; %bb.32:
	ds_read2_b32 v[2:3], v1 offset1:50
	s_waitcnt lgkmcnt(0)
	v_add_f32_e32 v2, v3, v2
	ds_write_b32 v1, v2
.LBB248_33:
	s_or_b64 exec, exec, s[0:1]
	v_cmp_gt_u32_e32 vcc, 25, v0
	s_waitcnt lgkmcnt(0)
	s_and_saveexec_b64 s[0:1], vcc
	s_cbranch_execz .LBB248_35
; %bb.34:
	ds_read2_b32 v[1:2], v1 offset1:25
	s_waitcnt lgkmcnt(0)
	v_add_f32_e32 v6, v1, v2
.LBB248_35:
	s_or_b64 exec, exec, s[0:1]
	v_mov_b32_e32 v2, v6
.LBB248_36:
	v_cmp_gt_u32_e32 vcc, 25, v0
	s_and_saveexec_b64 s[0:1], vcc
	s_cbranch_execz .LBB248_40
; %bb.37:
	v_cmp_eq_f32_e64 s[0:1], s12, 0
	s_and_b64 vcc, exec, s[0:1]
	v_mul_f32_e32 v1, s14, v2
	s_cbranch_vccz .LBB248_41
; %bb.38:
	v_mad_u64_u32 v[2:3], s[0:1], s6, 25, v[0:1]
	v_mov_b32_e32 v3, 0
	v_mov_b32_e32 v4, s17
	v_lshlrev_b64 v[2:3], 2, v[2:3]
	v_add_co_u32_e32 v2, vcc, s16, v2
	v_addc_co_u32_e32 v3, vcc, v4, v3, vcc
	global_store_dword v[2:3], v1, off
	s_cbranch_execnz .LBB248_40
.LBB248_39:
	v_mad_u64_u32 v[2:3], s[0:1], s6, 25, v[0:1]
	v_mov_b32_e32 v3, 0
	v_mov_b32_e32 v0, s17
	v_lshlrev_b64 v[2:3], 2, v[2:3]
	v_add_co_u32_e32 v2, vcc, s16, v2
	v_addc_co_u32_e32 v3, vcc, v0, v3, vcc
	global_load_dword v0, v[2:3], off
	s_waitcnt vmcnt(0)
	v_fmac_f32_e32 v1, s12, v0
	global_store_dword v[2:3], v1, off
.LBB248_40:
	s_endpgm
.LBB248_41:
	s_branch .LBB248_39
	.section	.rodata,"a",@progbits
	.p2align	6, 0x0
	.amdhsa_kernel _ZN9rocsparseL20bsrxmvn_17_32_kernelILj25EfiiaafEEvT2_20rocsparse_direction_NS_24const_host_device_scalarIT0_EES1_PKS1_PKT1_SA_S7_PKT3_PKT4_S5_PT5_21rocsparse_index_base_b
		.amdhsa_group_segment_fixed_size 2500
		.amdhsa_private_segment_fixed_size 0
		.amdhsa_kernarg_size 96
		.amdhsa_user_sgpr_count 6
		.amdhsa_user_sgpr_private_segment_buffer 1
		.amdhsa_user_sgpr_dispatch_ptr 0
		.amdhsa_user_sgpr_queue_ptr 0
		.amdhsa_user_sgpr_kernarg_segment_ptr 1
		.amdhsa_user_sgpr_dispatch_id 0
		.amdhsa_user_sgpr_flat_scratch_init 0
		.amdhsa_user_sgpr_private_segment_size 0
		.amdhsa_uses_dynamic_stack 0
		.amdhsa_system_sgpr_private_segment_wavefront_offset 0
		.amdhsa_system_sgpr_workgroup_id_x 1
		.amdhsa_system_sgpr_workgroup_id_y 0
		.amdhsa_system_sgpr_workgroup_id_z 0
		.amdhsa_system_sgpr_workgroup_info 0
		.amdhsa_system_vgpr_workitem_id 0
		.amdhsa_next_free_vgpr 11
		.amdhsa_next_free_sgpr 22
		.amdhsa_reserve_vcc 1
		.amdhsa_reserve_flat_scratch 0
		.amdhsa_float_round_mode_32 0
		.amdhsa_float_round_mode_16_64 0
		.amdhsa_float_denorm_mode_32 3
		.amdhsa_float_denorm_mode_16_64 3
		.amdhsa_dx10_clamp 1
		.amdhsa_ieee_mode 1
		.amdhsa_fp16_overflow 0
		.amdhsa_exception_fp_ieee_invalid_op 0
		.amdhsa_exception_fp_denorm_src 0
		.amdhsa_exception_fp_ieee_div_zero 0
		.amdhsa_exception_fp_ieee_overflow 0
		.amdhsa_exception_fp_ieee_underflow 0
		.amdhsa_exception_fp_ieee_inexact 0
		.amdhsa_exception_int_div_zero 0
	.end_amdhsa_kernel
	.section	.text._ZN9rocsparseL20bsrxmvn_17_32_kernelILj25EfiiaafEEvT2_20rocsparse_direction_NS_24const_host_device_scalarIT0_EES1_PKS1_PKT1_SA_S7_PKT3_PKT4_S5_PT5_21rocsparse_index_base_b,"axG",@progbits,_ZN9rocsparseL20bsrxmvn_17_32_kernelILj25EfiiaafEEvT2_20rocsparse_direction_NS_24const_host_device_scalarIT0_EES1_PKS1_PKT1_SA_S7_PKT3_PKT4_S5_PT5_21rocsparse_index_base_b,comdat
.Lfunc_end248:
	.size	_ZN9rocsparseL20bsrxmvn_17_32_kernelILj25EfiiaafEEvT2_20rocsparse_direction_NS_24const_host_device_scalarIT0_EES1_PKS1_PKT1_SA_S7_PKT3_PKT4_S5_PT5_21rocsparse_index_base_b, .Lfunc_end248-_ZN9rocsparseL20bsrxmvn_17_32_kernelILj25EfiiaafEEvT2_20rocsparse_direction_NS_24const_host_device_scalarIT0_EES1_PKS1_PKT1_SA_S7_PKT3_PKT4_S5_PT5_21rocsparse_index_base_b
                                        ; -- End function
	.set _ZN9rocsparseL20bsrxmvn_17_32_kernelILj25EfiiaafEEvT2_20rocsparse_direction_NS_24const_host_device_scalarIT0_EES1_PKS1_PKT1_SA_S7_PKT3_PKT4_S5_PT5_21rocsparse_index_base_b.num_vgpr, 11
	.set _ZN9rocsparseL20bsrxmvn_17_32_kernelILj25EfiiaafEEvT2_20rocsparse_direction_NS_24const_host_device_scalarIT0_EES1_PKS1_PKT1_SA_S7_PKT3_PKT4_S5_PT5_21rocsparse_index_base_b.num_agpr, 0
	.set _ZN9rocsparseL20bsrxmvn_17_32_kernelILj25EfiiaafEEvT2_20rocsparse_direction_NS_24const_host_device_scalarIT0_EES1_PKS1_PKT1_SA_S7_PKT3_PKT4_S5_PT5_21rocsparse_index_base_b.numbered_sgpr, 22
	.set _ZN9rocsparseL20bsrxmvn_17_32_kernelILj25EfiiaafEEvT2_20rocsparse_direction_NS_24const_host_device_scalarIT0_EES1_PKS1_PKT1_SA_S7_PKT3_PKT4_S5_PT5_21rocsparse_index_base_b.num_named_barrier, 0
	.set _ZN9rocsparseL20bsrxmvn_17_32_kernelILj25EfiiaafEEvT2_20rocsparse_direction_NS_24const_host_device_scalarIT0_EES1_PKS1_PKT1_SA_S7_PKT3_PKT4_S5_PT5_21rocsparse_index_base_b.private_seg_size, 0
	.set _ZN9rocsparseL20bsrxmvn_17_32_kernelILj25EfiiaafEEvT2_20rocsparse_direction_NS_24const_host_device_scalarIT0_EES1_PKS1_PKT1_SA_S7_PKT3_PKT4_S5_PT5_21rocsparse_index_base_b.uses_vcc, 1
	.set _ZN9rocsparseL20bsrxmvn_17_32_kernelILj25EfiiaafEEvT2_20rocsparse_direction_NS_24const_host_device_scalarIT0_EES1_PKS1_PKT1_SA_S7_PKT3_PKT4_S5_PT5_21rocsparse_index_base_b.uses_flat_scratch, 0
	.set _ZN9rocsparseL20bsrxmvn_17_32_kernelILj25EfiiaafEEvT2_20rocsparse_direction_NS_24const_host_device_scalarIT0_EES1_PKS1_PKT1_SA_S7_PKT3_PKT4_S5_PT5_21rocsparse_index_base_b.has_dyn_sized_stack, 0
	.set _ZN9rocsparseL20bsrxmvn_17_32_kernelILj25EfiiaafEEvT2_20rocsparse_direction_NS_24const_host_device_scalarIT0_EES1_PKS1_PKT1_SA_S7_PKT3_PKT4_S5_PT5_21rocsparse_index_base_b.has_recursion, 0
	.set _ZN9rocsparseL20bsrxmvn_17_32_kernelILj25EfiiaafEEvT2_20rocsparse_direction_NS_24const_host_device_scalarIT0_EES1_PKS1_PKT1_SA_S7_PKT3_PKT4_S5_PT5_21rocsparse_index_base_b.has_indirect_call, 0
	.section	.AMDGPU.csdata,"",@progbits
; Kernel info:
; codeLenInByte = 1240
; TotalNumSgprs: 26
; NumVgprs: 11
; ScratchSize: 0
; MemoryBound: 0
; FloatMode: 240
; IeeeMode: 1
; LDSByteSize: 2500 bytes/workgroup (compile time only)
; SGPRBlocks: 3
; VGPRBlocks: 2
; NumSGPRsForWavesPerEU: 26
; NumVGPRsForWavesPerEU: 11
; Occupancy: 10
; WaveLimiterHint : 1
; COMPUTE_PGM_RSRC2:SCRATCH_EN: 0
; COMPUTE_PGM_RSRC2:USER_SGPR: 6
; COMPUTE_PGM_RSRC2:TRAP_HANDLER: 0
; COMPUTE_PGM_RSRC2:TGID_X_EN: 1
; COMPUTE_PGM_RSRC2:TGID_Y_EN: 0
; COMPUTE_PGM_RSRC2:TGID_Z_EN: 0
; COMPUTE_PGM_RSRC2:TIDIG_COMP_CNT: 0
	.section	.text._ZN9rocsparseL20bsrxmvn_17_32_kernelILj26EfiiaafEEvT2_20rocsparse_direction_NS_24const_host_device_scalarIT0_EES1_PKS1_PKT1_SA_S7_PKT3_PKT4_S5_PT5_21rocsparse_index_base_b,"axG",@progbits,_ZN9rocsparseL20bsrxmvn_17_32_kernelILj26EfiiaafEEvT2_20rocsparse_direction_NS_24const_host_device_scalarIT0_EES1_PKS1_PKT1_SA_S7_PKT3_PKT4_S5_PT5_21rocsparse_index_base_b,comdat
	.globl	_ZN9rocsparseL20bsrxmvn_17_32_kernelILj26EfiiaafEEvT2_20rocsparse_direction_NS_24const_host_device_scalarIT0_EES1_PKS1_PKT1_SA_S7_PKT3_PKT4_S5_PT5_21rocsparse_index_base_b ; -- Begin function _ZN9rocsparseL20bsrxmvn_17_32_kernelILj26EfiiaafEEvT2_20rocsparse_direction_NS_24const_host_device_scalarIT0_EES1_PKS1_PKT1_SA_S7_PKT3_PKT4_S5_PT5_21rocsparse_index_base_b
	.p2align	8
	.type	_ZN9rocsparseL20bsrxmvn_17_32_kernelILj26EfiiaafEEvT2_20rocsparse_direction_NS_24const_host_device_scalarIT0_EES1_PKS1_PKT1_SA_S7_PKT3_PKT4_S5_PT5_21rocsparse_index_base_b,@function
_ZN9rocsparseL20bsrxmvn_17_32_kernelILj26EfiiaafEEvT2_20rocsparse_direction_NS_24const_host_device_scalarIT0_EES1_PKS1_PKT1_SA_S7_PKT3_PKT4_S5_PT5_21rocsparse_index_base_b: ; @_ZN9rocsparseL20bsrxmvn_17_32_kernelILj26EfiiaafEEvT2_20rocsparse_direction_NS_24const_host_device_scalarIT0_EES1_PKS1_PKT1_SA_S7_PKT3_PKT4_S5_PT5_21rocsparse_index_base_b
; %bb.0:
	s_load_dwordx2 s[18:19], s[4:5], 0x58
	s_load_dwordx2 s[14:15], s[4:5], 0x8
	s_load_dwordx2 s[12:13], s[4:5], 0x48
	s_waitcnt lgkmcnt(0)
	s_bitcmp1_b32 s19, 0
	s_cselect_b64 s[2:3], -1, 0
	s_xor_b64 s[0:1], s[2:3], -1
	s_and_b64 vcc, exec, s[2:3]
	s_cbranch_vccnz .LBB249_2
; %bb.1:
	s_load_dword s14, s[14:15], 0x0
.LBB249_2:
	s_andn2_b64 vcc, exec, s[0:1]
	s_cbranch_vccnz .LBB249_4
; %bb.3:
	s_load_dword s12, s[12:13], 0x0
.LBB249_4:
	s_waitcnt lgkmcnt(0)
	v_cmp_neq_f32_e64 s[0:1], s14, 0
	v_cmp_neq_f32_e64 s[2:3], s12, 1.0
	s_or_b64 s[0:1], s[0:1], s[2:3]
	s_andn2_b64 vcc, exec, s[0:1]
	s_cbranch_vccnz .LBB249_40
; %bb.5:
	s_load_dwordx4 s[0:3], s[4:5], 0x18
	s_load_dwordx2 s[8:9], s[4:5], 0x28
	s_waitcnt lgkmcnt(0)
	s_cmp_eq_u64 s[0:1], 0
	s_cbranch_scc1 .LBB249_7
; %bb.6:
	s_ashr_i32 s7, s6, 31
	s_lshl_b64 s[6:7], s[6:7], 2
	s_add_u32 s0, s0, s6
	s_addc_u32 s1, s1, s7
	s_load_dword s0, s[0:1], 0x0
	s_waitcnt lgkmcnt(0)
	s_sub_i32 s6, s0, s18
.LBB249_7:
	s_load_dword s0, s[4:5], 0x4
	s_load_dwordx2 s[16:17], s[4:5], 0x50
	v_mul_u32_u24_e32 v1, 0x9d9, v0
	v_mov_b32_e32 v2, 26
	v_mul_lo_u16_sdwa v2, v1, v2 dst_sel:DWORD dst_unused:UNUSED_PAD src0_sel:WORD_1 src1_sel:DWORD
	s_waitcnt lgkmcnt(0)
	s_cmp_eq_u32 s0, 1
	s_cselect_b64 vcc, -1, 0
	s_cmp_lg_u32 s0, 1
	s_cselect_b64 s[20:21], -1, 0
	s_ashr_i32 s7, s6, 31
	s_lshl_b64 s[0:1], s[6:7], 2
	s_add_u32 s2, s2, s0
	s_addc_u32 s3, s3, s1
	s_load_dword s7, s[2:3], 0x0
	s_add_u32 s2, s2, 4
	s_addc_u32 s3, s3, 0
	s_add_u32 s0, s8, s0
	s_addc_u32 s1, s9, s1
	s_cmp_eq_u64 s[8:9], 0
	s_cselect_b32 s1, s3, s1
	s_cselect_b32 s0, s2, s0
	s_load_dword s0, s[0:1], 0x0
	v_sub_u16_e32 v7, v0, v2
	v_mov_b32_e32 v6, 0
	s_waitcnt lgkmcnt(0)
	s_cmp_ge_i32 s7, s0
	s_cbranch_scc1 .LBB249_12
; %bb.8:
	s_load_dwordx4 s[8:11], s[4:5], 0x30
	s_load_dwordx2 s[2:3], s[4:5], 0x40
	s_sub_i32 s4, s0, s18
	s_mov_b32 s0, 0xffff
	s_movk_i32 s1, 0x2a4
	v_and_b32_sdwa v1, s0, v1 dst_sel:DWORD dst_unused:UNUSED_PAD src0_sel:DWORD src1_sel:WORD_1
	v_subrev_u32_e32 v2, 26, v1
	v_cmp_gt_u32_e64 s[0:1], s1, v0
	s_sub_i32 s5, s7, s18
	v_cndmask_b32_e64 v1, v2, v1, s[0:1]
	s_mul_i32 s1, s5, 0x2a4
	s_mul_hi_i32 s0, s5, 0x2a4
	s_waitcnt lgkmcnt(0)
	s_add_u32 s1, s10, s1
	s_addc_u32 s0, s11, s0
	v_cndmask_b32_e32 v1, v7, v1, vcc
	v_mov_b32_e32 v3, s0
	v_add_co_u32_e32 v2, vcc, s1, v0
	v_addc_co_u32_e32 v3, vcc, 0, v3, vcc
	s_movk_i32 s0, 0x2a3
	v_cmp_lt_u32_e32 vcc, s0, v0
	v_mov_b32_e32 v6, 0
	v_cndmask_b32_e64 v8, 0, 1, vcc
	s_branch .LBB249_10
.LBB249_9:                              ;   in Loop: Header=BB249_10 Depth=1
	s_or_b64 exec, exec, s[0:1]
	s_add_i32 s5, s5, 1
	s_cmp_lt_i32 s5, s4
	s_cbranch_scc0 .LBB249_12
.LBB249_10:                             ; =>This Inner Loop Header: Depth=1
	v_add_u32_e32 v4, s5, v8
	v_cmp_gt_i32_e32 vcc, s4, v4
	s_and_saveexec_b64 s[0:1], vcc
	s_cbranch_execz .LBB249_9
; %bb.11:                               ;   in Loop: Header=BB249_10 Depth=1
	v_ashrrev_i32_e32 v5, 31, v4
	v_lshlrev_b64 v[4:5], 2, v[4:5]
	v_mov_b32_e32 v9, s9
	v_add_co_u32_e32 v4, vcc, s8, v4
	v_addc_co_u32_e32 v5, vcc, v9, v5, vcc
	global_load_dword v4, v[4:5], off
	s_waitcnt vmcnt(0)
	v_subrev_u32_e32 v4, s18, v4
	v_mad_u64_u32 v[4:5], s[10:11], v4, 26, v[1:2]
	v_mov_b32_e32 v5, s3
	global_load_sbyte v9, v[2:3], off
	v_ashrrev_i32_e32 v10, 31, v4
	v_add_co_u32_e32 v4, vcc, s2, v4
	v_addc_co_u32_e32 v5, vcc, v5, v10, vcc
	global_load_sbyte v4, v[4:5], off
	v_add_co_u32_e32 v2, vcc, 0x2a4, v2
	v_addc_co_u32_e32 v3, vcc, 0, v3, vcc
	s_waitcnt vmcnt(1)
	v_cvt_f32_i32_e32 v5, v9
	s_waitcnt vmcnt(0)
	v_cvt_f32_i32_e32 v4, v4
	v_fmac_f32_e32 v6, v5, v4
	s_branch .LBB249_9
.LBB249_12:
	v_lshlrev_b32_e32 v1, 2, v0
	s_and_b64 vcc, exec, s[20:21]
	ds_write_b32 v1, v6
	s_waitcnt lgkmcnt(0)
	s_barrier
	s_cbranch_vccz .LBB249_24
; %bb.13:
	v_cmp_gt_u16_e32 vcc, 10, v7
	s_and_saveexec_b64 s[0:1], vcc
	s_cbranch_execz .LBB249_15
; %bb.14:
	ds_read2_b32 v[2:3], v1 offset1:16
	s_waitcnt lgkmcnt(0)
	v_add_f32_e32 v2, v3, v2
	ds_write_b32 v1, v2
.LBB249_15:
	s_or_b64 exec, exec, s[0:1]
	v_cmp_gt_u16_e32 vcc, 8, v7
	s_waitcnt lgkmcnt(0)
	s_barrier
	s_and_saveexec_b64 s[0:1], vcc
	s_cbranch_execz .LBB249_17
; %bb.16:
	ds_read2_b32 v[2:3], v1 offset1:8
	s_waitcnt lgkmcnt(0)
	v_add_f32_e32 v2, v3, v2
	ds_write_b32 v1, v2
.LBB249_17:
	s_or_b64 exec, exec, s[0:1]
	v_cmp_gt_u16_e32 vcc, 4, v7
	s_waitcnt lgkmcnt(0)
	s_barrier
	;; [unrolled: 12-line block ×3, first 2 shown]
	s_and_saveexec_b64 s[0:1], vcc
	s_cbranch_execz .LBB249_21
; %bb.20:
	ds_read2_b32 v[2:3], v1 offset1:2
	s_waitcnt lgkmcnt(0)
	v_add_f32_e32 v2, v3, v2
	ds_write_b32 v1, v2
.LBB249_21:
	s_or_b64 exec, exec, s[0:1]
	v_cmp_gt_u32_e32 vcc, 26, v0
	v_mov_b32_e32 v2, v6
	s_waitcnt lgkmcnt(0)
	s_barrier
	s_and_saveexec_b64 s[0:1], vcc
	s_cbranch_execz .LBB249_23
; %bb.22:
	s_movk_i32 s2, 0x64
	v_mad_u32_u24 v2, v0, s2, v1
	ds_read_b64 v[2:3], v2
	s_waitcnt lgkmcnt(0)
	v_add_f32_e32 v2, v2, v3
.LBB249_23:
	s_or_b64 exec, exec, s[0:1]
	s_branch .LBB249_36
.LBB249_24:
                                        ; implicit-def: $vgpr2
	s_cbranch_execz .LBB249_36
; %bb.25:
	s_movk_i32 s0, 0x104
	v_cmp_gt_u32_e32 vcc, s0, v0
	s_and_saveexec_b64 s[0:1], vcc
	s_cbranch_execz .LBB249_27
; %bb.26:
	ds_read_b32 v2, v1 offset:1664
	ds_read_b32 v3, v1
	s_waitcnt lgkmcnt(0)
	v_add_f32_e32 v2, v2, v3
	ds_write_b32 v1, v2
.LBB249_27:
	s_or_b64 exec, exec, s[0:1]
	s_movk_i32 s0, 0xd0
	v_cmp_gt_u32_e32 vcc, s0, v0
	s_waitcnt lgkmcnt(0)
	s_barrier
	s_and_saveexec_b64 s[0:1], vcc
	s_cbranch_execz .LBB249_29
; %bb.28:
	ds_read2_b32 v[2:3], v1 offset1:208
	s_waitcnt lgkmcnt(0)
	v_add_f32_e32 v2, v3, v2
	ds_write_b32 v1, v2
.LBB249_29:
	s_or_b64 exec, exec, s[0:1]
	s_movk_i32 s0, 0x68
	v_cmp_gt_u32_e32 vcc, s0, v0
	s_waitcnt lgkmcnt(0)
	s_barrier
	s_and_saveexec_b64 s[0:1], vcc
	s_cbranch_execz .LBB249_31
; %bb.30:
	ds_read2_b32 v[2:3], v1 offset1:104
	s_waitcnt lgkmcnt(0)
	v_add_f32_e32 v2, v3, v2
	ds_write_b32 v1, v2
.LBB249_31:
	s_or_b64 exec, exec, s[0:1]
	v_cmp_gt_u32_e32 vcc, 52, v0
	s_waitcnt lgkmcnt(0)
	s_barrier
	s_and_saveexec_b64 s[0:1], vcc
	s_cbranch_execz .LBB249_33
; %bb.32:
	ds_read2_b32 v[2:3], v1 offset1:52
	s_waitcnt lgkmcnt(0)
	v_add_f32_e32 v2, v3, v2
	ds_write_b32 v1, v2
.LBB249_33:
	s_or_b64 exec, exec, s[0:1]
	v_cmp_gt_u32_e32 vcc, 26, v0
	s_waitcnt lgkmcnt(0)
	s_and_saveexec_b64 s[0:1], vcc
	s_cbranch_execz .LBB249_35
; %bb.34:
	ds_read2_b32 v[1:2], v1 offset1:26
	s_waitcnt lgkmcnt(0)
	v_add_f32_e32 v6, v1, v2
.LBB249_35:
	s_or_b64 exec, exec, s[0:1]
	v_mov_b32_e32 v2, v6
.LBB249_36:
	v_cmp_gt_u32_e32 vcc, 26, v0
	s_and_saveexec_b64 s[0:1], vcc
	s_cbranch_execz .LBB249_40
; %bb.37:
	v_cmp_eq_f32_e64 s[0:1], s12, 0
	s_and_b64 vcc, exec, s[0:1]
	v_mul_f32_e32 v1, s14, v2
	s_cbranch_vccz .LBB249_41
; %bb.38:
	v_mad_u64_u32 v[2:3], s[0:1], s6, 26, v[0:1]
	v_mov_b32_e32 v3, 0
	v_mov_b32_e32 v4, s17
	v_lshlrev_b64 v[2:3], 2, v[2:3]
	v_add_co_u32_e32 v2, vcc, s16, v2
	v_addc_co_u32_e32 v3, vcc, v4, v3, vcc
	global_store_dword v[2:3], v1, off
	s_cbranch_execnz .LBB249_40
.LBB249_39:
	v_mad_u64_u32 v[2:3], s[0:1], s6, 26, v[0:1]
	v_mov_b32_e32 v3, 0
	v_mov_b32_e32 v0, s17
	v_lshlrev_b64 v[2:3], 2, v[2:3]
	v_add_co_u32_e32 v2, vcc, s16, v2
	v_addc_co_u32_e32 v3, vcc, v0, v3, vcc
	global_load_dword v0, v[2:3], off
	s_waitcnt vmcnt(0)
	v_fmac_f32_e32 v1, s12, v0
	global_store_dword v[2:3], v1, off
.LBB249_40:
	s_endpgm
.LBB249_41:
	s_branch .LBB249_39
	.section	.rodata,"a",@progbits
	.p2align	6, 0x0
	.amdhsa_kernel _ZN9rocsparseL20bsrxmvn_17_32_kernelILj26EfiiaafEEvT2_20rocsparse_direction_NS_24const_host_device_scalarIT0_EES1_PKS1_PKT1_SA_S7_PKT3_PKT4_S5_PT5_21rocsparse_index_base_b
		.amdhsa_group_segment_fixed_size 2704
		.amdhsa_private_segment_fixed_size 0
		.amdhsa_kernarg_size 96
		.amdhsa_user_sgpr_count 6
		.amdhsa_user_sgpr_private_segment_buffer 1
		.amdhsa_user_sgpr_dispatch_ptr 0
		.amdhsa_user_sgpr_queue_ptr 0
		.amdhsa_user_sgpr_kernarg_segment_ptr 1
		.amdhsa_user_sgpr_dispatch_id 0
		.amdhsa_user_sgpr_flat_scratch_init 0
		.amdhsa_user_sgpr_private_segment_size 0
		.amdhsa_uses_dynamic_stack 0
		.amdhsa_system_sgpr_private_segment_wavefront_offset 0
		.amdhsa_system_sgpr_workgroup_id_x 1
		.amdhsa_system_sgpr_workgroup_id_y 0
		.amdhsa_system_sgpr_workgroup_id_z 0
		.amdhsa_system_sgpr_workgroup_info 0
		.amdhsa_system_vgpr_workitem_id 0
		.amdhsa_next_free_vgpr 25
		.amdhsa_next_free_sgpr 61
		.amdhsa_reserve_vcc 1
		.amdhsa_reserve_flat_scratch 0
		.amdhsa_float_round_mode_32 0
		.amdhsa_float_round_mode_16_64 0
		.amdhsa_float_denorm_mode_32 3
		.amdhsa_float_denorm_mode_16_64 3
		.amdhsa_dx10_clamp 1
		.amdhsa_ieee_mode 1
		.amdhsa_fp16_overflow 0
		.amdhsa_exception_fp_ieee_invalid_op 0
		.amdhsa_exception_fp_denorm_src 0
		.amdhsa_exception_fp_ieee_div_zero 0
		.amdhsa_exception_fp_ieee_overflow 0
		.amdhsa_exception_fp_ieee_underflow 0
		.amdhsa_exception_fp_ieee_inexact 0
		.amdhsa_exception_int_div_zero 0
	.end_amdhsa_kernel
	.section	.text._ZN9rocsparseL20bsrxmvn_17_32_kernelILj26EfiiaafEEvT2_20rocsparse_direction_NS_24const_host_device_scalarIT0_EES1_PKS1_PKT1_SA_S7_PKT3_PKT4_S5_PT5_21rocsparse_index_base_b,"axG",@progbits,_ZN9rocsparseL20bsrxmvn_17_32_kernelILj26EfiiaafEEvT2_20rocsparse_direction_NS_24const_host_device_scalarIT0_EES1_PKS1_PKT1_SA_S7_PKT3_PKT4_S5_PT5_21rocsparse_index_base_b,comdat
.Lfunc_end249:
	.size	_ZN9rocsparseL20bsrxmvn_17_32_kernelILj26EfiiaafEEvT2_20rocsparse_direction_NS_24const_host_device_scalarIT0_EES1_PKS1_PKT1_SA_S7_PKT3_PKT4_S5_PT5_21rocsparse_index_base_b, .Lfunc_end249-_ZN9rocsparseL20bsrxmvn_17_32_kernelILj26EfiiaafEEvT2_20rocsparse_direction_NS_24const_host_device_scalarIT0_EES1_PKS1_PKT1_SA_S7_PKT3_PKT4_S5_PT5_21rocsparse_index_base_b
                                        ; -- End function
	.set _ZN9rocsparseL20bsrxmvn_17_32_kernelILj26EfiiaafEEvT2_20rocsparse_direction_NS_24const_host_device_scalarIT0_EES1_PKS1_PKT1_SA_S7_PKT3_PKT4_S5_PT5_21rocsparse_index_base_b.num_vgpr, 11
	.set _ZN9rocsparseL20bsrxmvn_17_32_kernelILj26EfiiaafEEvT2_20rocsparse_direction_NS_24const_host_device_scalarIT0_EES1_PKS1_PKT1_SA_S7_PKT3_PKT4_S5_PT5_21rocsparse_index_base_b.num_agpr, 0
	.set _ZN9rocsparseL20bsrxmvn_17_32_kernelILj26EfiiaafEEvT2_20rocsparse_direction_NS_24const_host_device_scalarIT0_EES1_PKS1_PKT1_SA_S7_PKT3_PKT4_S5_PT5_21rocsparse_index_base_b.numbered_sgpr, 22
	.set _ZN9rocsparseL20bsrxmvn_17_32_kernelILj26EfiiaafEEvT2_20rocsparse_direction_NS_24const_host_device_scalarIT0_EES1_PKS1_PKT1_SA_S7_PKT3_PKT4_S5_PT5_21rocsparse_index_base_b.num_named_barrier, 0
	.set _ZN9rocsparseL20bsrxmvn_17_32_kernelILj26EfiiaafEEvT2_20rocsparse_direction_NS_24const_host_device_scalarIT0_EES1_PKS1_PKT1_SA_S7_PKT3_PKT4_S5_PT5_21rocsparse_index_base_b.private_seg_size, 0
	.set _ZN9rocsparseL20bsrxmvn_17_32_kernelILj26EfiiaafEEvT2_20rocsparse_direction_NS_24const_host_device_scalarIT0_EES1_PKS1_PKT1_SA_S7_PKT3_PKT4_S5_PT5_21rocsparse_index_base_b.uses_vcc, 1
	.set _ZN9rocsparseL20bsrxmvn_17_32_kernelILj26EfiiaafEEvT2_20rocsparse_direction_NS_24const_host_device_scalarIT0_EES1_PKS1_PKT1_SA_S7_PKT3_PKT4_S5_PT5_21rocsparse_index_base_b.uses_flat_scratch, 0
	.set _ZN9rocsparseL20bsrxmvn_17_32_kernelILj26EfiiaafEEvT2_20rocsparse_direction_NS_24const_host_device_scalarIT0_EES1_PKS1_PKT1_SA_S7_PKT3_PKT4_S5_PT5_21rocsparse_index_base_b.has_dyn_sized_stack, 0
	.set _ZN9rocsparseL20bsrxmvn_17_32_kernelILj26EfiiaafEEvT2_20rocsparse_direction_NS_24const_host_device_scalarIT0_EES1_PKS1_PKT1_SA_S7_PKT3_PKT4_S5_PT5_21rocsparse_index_base_b.has_recursion, 0
	.set _ZN9rocsparseL20bsrxmvn_17_32_kernelILj26EfiiaafEEvT2_20rocsparse_direction_NS_24const_host_device_scalarIT0_EES1_PKS1_PKT1_SA_S7_PKT3_PKT4_S5_PT5_21rocsparse_index_base_b.has_indirect_call, 0
	.section	.AMDGPU.csdata,"",@progbits
; Kernel info:
; codeLenInByte = 1240
; TotalNumSgprs: 26
; NumVgprs: 11
; ScratchSize: 0
; MemoryBound: 0
; FloatMode: 240
; IeeeMode: 1
; LDSByteSize: 2704 bytes/workgroup (compile time only)
; SGPRBlocks: 8
; VGPRBlocks: 6
; NumSGPRsForWavesPerEU: 65
; NumVGPRsForWavesPerEU: 25
; Occupancy: 9
; WaveLimiterHint : 1
; COMPUTE_PGM_RSRC2:SCRATCH_EN: 0
; COMPUTE_PGM_RSRC2:USER_SGPR: 6
; COMPUTE_PGM_RSRC2:TRAP_HANDLER: 0
; COMPUTE_PGM_RSRC2:TGID_X_EN: 1
; COMPUTE_PGM_RSRC2:TGID_Y_EN: 0
; COMPUTE_PGM_RSRC2:TGID_Z_EN: 0
; COMPUTE_PGM_RSRC2:TIDIG_COMP_CNT: 0
	.section	.text._ZN9rocsparseL20bsrxmvn_17_32_kernelILj27EfiiaafEEvT2_20rocsparse_direction_NS_24const_host_device_scalarIT0_EES1_PKS1_PKT1_SA_S7_PKT3_PKT4_S5_PT5_21rocsparse_index_base_b,"axG",@progbits,_ZN9rocsparseL20bsrxmvn_17_32_kernelILj27EfiiaafEEvT2_20rocsparse_direction_NS_24const_host_device_scalarIT0_EES1_PKS1_PKT1_SA_S7_PKT3_PKT4_S5_PT5_21rocsparse_index_base_b,comdat
	.globl	_ZN9rocsparseL20bsrxmvn_17_32_kernelILj27EfiiaafEEvT2_20rocsparse_direction_NS_24const_host_device_scalarIT0_EES1_PKS1_PKT1_SA_S7_PKT3_PKT4_S5_PT5_21rocsparse_index_base_b ; -- Begin function _ZN9rocsparseL20bsrxmvn_17_32_kernelILj27EfiiaafEEvT2_20rocsparse_direction_NS_24const_host_device_scalarIT0_EES1_PKS1_PKT1_SA_S7_PKT3_PKT4_S5_PT5_21rocsparse_index_base_b
	.p2align	8
	.type	_ZN9rocsparseL20bsrxmvn_17_32_kernelILj27EfiiaafEEvT2_20rocsparse_direction_NS_24const_host_device_scalarIT0_EES1_PKS1_PKT1_SA_S7_PKT3_PKT4_S5_PT5_21rocsparse_index_base_b,@function
_ZN9rocsparseL20bsrxmvn_17_32_kernelILj27EfiiaafEEvT2_20rocsparse_direction_NS_24const_host_device_scalarIT0_EES1_PKS1_PKT1_SA_S7_PKT3_PKT4_S5_PT5_21rocsparse_index_base_b: ; @_ZN9rocsparseL20bsrxmvn_17_32_kernelILj27EfiiaafEEvT2_20rocsparse_direction_NS_24const_host_device_scalarIT0_EES1_PKS1_PKT1_SA_S7_PKT3_PKT4_S5_PT5_21rocsparse_index_base_b
; %bb.0:
	s_load_dwordx2 s[18:19], s[4:5], 0x58
	s_load_dwordx2 s[14:15], s[4:5], 0x8
	;; [unrolled: 1-line block ×3, first 2 shown]
	s_waitcnt lgkmcnt(0)
	s_bitcmp1_b32 s19, 0
	s_cselect_b64 s[2:3], -1, 0
	s_xor_b64 s[0:1], s[2:3], -1
	s_and_b64 vcc, exec, s[2:3]
	s_cbranch_vccnz .LBB250_2
; %bb.1:
	s_load_dword s14, s[14:15], 0x0
.LBB250_2:
	s_andn2_b64 vcc, exec, s[0:1]
	s_cbranch_vccnz .LBB250_4
; %bb.3:
	s_load_dword s12, s[12:13], 0x0
.LBB250_4:
	s_waitcnt lgkmcnt(0)
	v_cmp_neq_f32_e64 s[0:1], s14, 0
	v_cmp_neq_f32_e64 s[2:3], s12, 1.0
	s_or_b64 s[0:1], s[0:1], s[2:3]
	s_andn2_b64 vcc, exec, s[0:1]
	s_cbranch_vccnz .LBB250_40
; %bb.5:
	s_load_dwordx4 s[0:3], s[4:5], 0x18
	s_load_dwordx2 s[8:9], s[4:5], 0x28
	s_waitcnt lgkmcnt(0)
	s_cmp_eq_u64 s[0:1], 0
	s_cbranch_scc1 .LBB250_7
; %bb.6:
	s_ashr_i32 s7, s6, 31
	s_lshl_b64 s[6:7], s[6:7], 2
	s_add_u32 s0, s0, s6
	s_addc_u32 s1, s1, s7
	s_load_dword s0, s[0:1], 0x0
	s_waitcnt lgkmcnt(0)
	s_sub_i32 s6, s0, s18
.LBB250_7:
	s_load_dword s0, s[4:5], 0x4
	s_load_dwordx2 s[16:17], s[4:5], 0x50
	v_mul_u32_u24_e32 v1, 0x97c, v0
	v_mov_b32_e32 v2, 27
	v_mul_lo_u16_sdwa v2, v1, v2 dst_sel:DWORD dst_unused:UNUSED_PAD src0_sel:WORD_1 src1_sel:DWORD
	s_waitcnt lgkmcnt(0)
	s_cmp_eq_u32 s0, 1
	s_cselect_b64 vcc, -1, 0
	s_cmp_lg_u32 s0, 1
	s_cselect_b64 s[20:21], -1, 0
	s_ashr_i32 s7, s6, 31
	s_lshl_b64 s[0:1], s[6:7], 2
	s_add_u32 s2, s2, s0
	s_addc_u32 s3, s3, s1
	s_load_dword s7, s[2:3], 0x0
	s_add_u32 s2, s2, 4
	s_addc_u32 s3, s3, 0
	s_add_u32 s0, s8, s0
	s_addc_u32 s1, s9, s1
	s_cmp_eq_u64 s[8:9], 0
	s_cselect_b32 s1, s3, s1
	s_cselect_b32 s0, s2, s0
	s_load_dword s0, s[0:1], 0x0
	v_sub_u16_e32 v7, v0, v2
	v_mov_b32_e32 v6, 0
	s_waitcnt lgkmcnt(0)
	s_cmp_ge_i32 s7, s0
	s_cbranch_scc1 .LBB250_12
; %bb.8:
	s_load_dwordx4 s[8:11], s[4:5], 0x30
	s_load_dwordx2 s[2:3], s[4:5], 0x40
	s_sub_i32 s4, s0, s18
	s_mov_b32 s0, 0xffff
	s_movk_i32 s1, 0x2d9
	v_and_b32_sdwa v1, s0, v1 dst_sel:DWORD dst_unused:UNUSED_PAD src0_sel:DWORD src1_sel:WORD_1
	v_subrev_u32_e32 v2, 27, v1
	v_cmp_gt_u32_e64 s[0:1], s1, v0
	s_sub_i32 s5, s7, s18
	v_cndmask_b32_e64 v1, v2, v1, s[0:1]
	s_mul_i32 s1, s5, 0x2d9
	s_mul_hi_i32 s0, s5, 0x2d9
	s_waitcnt lgkmcnt(0)
	s_add_u32 s1, s10, s1
	s_addc_u32 s0, s11, s0
	v_cndmask_b32_e32 v1, v7, v1, vcc
	v_mov_b32_e32 v3, s0
	v_add_co_u32_e32 v2, vcc, s1, v0
	v_addc_co_u32_e32 v3, vcc, 0, v3, vcc
	s_movk_i32 s0, 0x2d8
	v_cmp_lt_u32_e32 vcc, s0, v0
	v_mov_b32_e32 v6, 0
	v_cndmask_b32_e64 v8, 0, 1, vcc
	s_branch .LBB250_10
.LBB250_9:                              ;   in Loop: Header=BB250_10 Depth=1
	s_or_b64 exec, exec, s[0:1]
	s_add_i32 s5, s5, 1
	s_cmp_lt_i32 s5, s4
	s_cbranch_scc0 .LBB250_12
.LBB250_10:                             ; =>This Inner Loop Header: Depth=1
	v_add_u32_e32 v4, s5, v8
	v_cmp_gt_i32_e32 vcc, s4, v4
	s_and_saveexec_b64 s[0:1], vcc
	s_cbranch_execz .LBB250_9
; %bb.11:                               ;   in Loop: Header=BB250_10 Depth=1
	v_ashrrev_i32_e32 v5, 31, v4
	v_lshlrev_b64 v[4:5], 2, v[4:5]
	v_mov_b32_e32 v9, s9
	v_add_co_u32_e32 v4, vcc, s8, v4
	v_addc_co_u32_e32 v5, vcc, v9, v5, vcc
	global_load_dword v4, v[4:5], off
	s_waitcnt vmcnt(0)
	v_subrev_u32_e32 v4, s18, v4
	v_mad_u64_u32 v[4:5], s[10:11], v4, 27, v[1:2]
	v_mov_b32_e32 v5, s3
	global_load_sbyte v9, v[2:3], off
	v_ashrrev_i32_e32 v10, 31, v4
	v_add_co_u32_e32 v4, vcc, s2, v4
	v_addc_co_u32_e32 v5, vcc, v5, v10, vcc
	global_load_sbyte v4, v[4:5], off
	v_add_co_u32_e32 v2, vcc, 0x2d9, v2
	v_addc_co_u32_e32 v3, vcc, 0, v3, vcc
	s_waitcnt vmcnt(1)
	v_cvt_f32_i32_e32 v5, v9
	s_waitcnt vmcnt(0)
	v_cvt_f32_i32_e32 v4, v4
	v_fmac_f32_e32 v6, v5, v4
	s_branch .LBB250_9
.LBB250_12:
	v_lshlrev_b32_e32 v1, 2, v0
	s_and_b64 vcc, exec, s[20:21]
	ds_write_b32 v1, v6
	s_waitcnt lgkmcnt(0)
	s_barrier
	s_cbranch_vccz .LBB250_24
; %bb.13:
	v_cmp_gt_u16_e32 vcc, 11, v7
	s_and_saveexec_b64 s[0:1], vcc
	s_cbranch_execz .LBB250_15
; %bb.14:
	ds_read2_b32 v[2:3], v1 offset1:16
	s_waitcnt lgkmcnt(0)
	v_add_f32_e32 v2, v3, v2
	ds_write_b32 v1, v2
.LBB250_15:
	s_or_b64 exec, exec, s[0:1]
	v_cmp_gt_u16_e32 vcc, 8, v7
	s_waitcnt lgkmcnt(0)
	s_barrier
	s_and_saveexec_b64 s[0:1], vcc
	s_cbranch_execz .LBB250_17
; %bb.16:
	ds_read2_b32 v[2:3], v1 offset1:8
	s_waitcnt lgkmcnt(0)
	v_add_f32_e32 v2, v3, v2
	ds_write_b32 v1, v2
.LBB250_17:
	s_or_b64 exec, exec, s[0:1]
	v_cmp_gt_u16_e32 vcc, 4, v7
	s_waitcnt lgkmcnt(0)
	s_barrier
	;; [unrolled: 12-line block ×3, first 2 shown]
	s_and_saveexec_b64 s[0:1], vcc
	s_cbranch_execz .LBB250_21
; %bb.20:
	ds_read2_b32 v[2:3], v1 offset1:2
	s_waitcnt lgkmcnt(0)
	v_add_f32_e32 v2, v3, v2
	ds_write_b32 v1, v2
.LBB250_21:
	s_or_b64 exec, exec, s[0:1]
	v_cmp_gt_u32_e32 vcc, 27, v0
	v_mov_b32_e32 v2, v6
	s_waitcnt lgkmcnt(0)
	s_barrier
	s_and_saveexec_b64 s[0:1], vcc
	s_cbranch_execz .LBB250_23
; %bb.22:
	s_movk_i32 s2, 0x68
	v_mad_u32_u24 v2, v0, s2, v1
	ds_read2_b32 v[2:3], v2 offset1:1
	s_waitcnt lgkmcnt(0)
	v_add_f32_e32 v2, v2, v3
.LBB250_23:
	s_or_b64 exec, exec, s[0:1]
	s_branch .LBB250_36
.LBB250_24:
                                        ; implicit-def: $vgpr2
	s_cbranch_execz .LBB250_36
; %bb.25:
	s_movk_i32 s0, 0x129
	v_cmp_gt_u32_e32 vcc, s0, v0
	s_and_saveexec_b64 s[0:1], vcc
	s_cbranch_execz .LBB250_27
; %bb.26:
	ds_read_b32 v2, v1 offset:1728
	ds_read_b32 v3, v1
	s_waitcnt lgkmcnt(0)
	v_add_f32_e32 v2, v2, v3
	ds_write_b32 v1, v2
.LBB250_27:
	s_or_b64 exec, exec, s[0:1]
	s_movk_i32 s0, 0xd8
	v_cmp_gt_u32_e32 vcc, s0, v0
	s_waitcnt lgkmcnt(0)
	s_barrier
	s_and_saveexec_b64 s[0:1], vcc
	s_cbranch_execz .LBB250_29
; %bb.28:
	ds_read2_b32 v[2:3], v1 offset1:216
	s_waitcnt lgkmcnt(0)
	v_add_f32_e32 v2, v3, v2
	ds_write_b32 v1, v2
.LBB250_29:
	s_or_b64 exec, exec, s[0:1]
	s_movk_i32 s0, 0x6c
	v_cmp_gt_u32_e32 vcc, s0, v0
	s_waitcnt lgkmcnt(0)
	s_barrier
	s_and_saveexec_b64 s[0:1], vcc
	s_cbranch_execz .LBB250_31
; %bb.30:
	ds_read2_b32 v[2:3], v1 offset1:108
	s_waitcnt lgkmcnt(0)
	v_add_f32_e32 v2, v3, v2
	ds_write_b32 v1, v2
.LBB250_31:
	s_or_b64 exec, exec, s[0:1]
	v_cmp_gt_u32_e32 vcc, 54, v0
	s_waitcnt lgkmcnt(0)
	s_barrier
	s_and_saveexec_b64 s[0:1], vcc
	s_cbranch_execz .LBB250_33
; %bb.32:
	ds_read2_b32 v[2:3], v1 offset1:54
	s_waitcnt lgkmcnt(0)
	v_add_f32_e32 v2, v3, v2
	ds_write_b32 v1, v2
.LBB250_33:
	s_or_b64 exec, exec, s[0:1]
	v_cmp_gt_u32_e32 vcc, 27, v0
	s_waitcnt lgkmcnt(0)
	s_and_saveexec_b64 s[0:1], vcc
	s_cbranch_execz .LBB250_35
; %bb.34:
	ds_read2_b32 v[1:2], v1 offset1:27
	s_waitcnt lgkmcnt(0)
	v_add_f32_e32 v6, v1, v2
.LBB250_35:
	s_or_b64 exec, exec, s[0:1]
	v_mov_b32_e32 v2, v6
.LBB250_36:
	v_cmp_gt_u32_e32 vcc, 27, v0
	s_and_saveexec_b64 s[0:1], vcc
	s_cbranch_execz .LBB250_40
; %bb.37:
	v_cmp_eq_f32_e64 s[0:1], s12, 0
	s_and_b64 vcc, exec, s[0:1]
	v_mul_f32_e32 v1, s14, v2
	s_cbranch_vccz .LBB250_41
; %bb.38:
	v_mad_u64_u32 v[2:3], s[0:1], s6, 27, v[0:1]
	v_mov_b32_e32 v3, 0
	v_mov_b32_e32 v4, s17
	v_lshlrev_b64 v[2:3], 2, v[2:3]
	v_add_co_u32_e32 v2, vcc, s16, v2
	v_addc_co_u32_e32 v3, vcc, v4, v3, vcc
	global_store_dword v[2:3], v1, off
	s_cbranch_execnz .LBB250_40
.LBB250_39:
	v_mad_u64_u32 v[2:3], s[0:1], s6, 27, v[0:1]
	v_mov_b32_e32 v3, 0
	v_mov_b32_e32 v0, s17
	v_lshlrev_b64 v[2:3], 2, v[2:3]
	v_add_co_u32_e32 v2, vcc, s16, v2
	v_addc_co_u32_e32 v3, vcc, v0, v3, vcc
	global_load_dword v0, v[2:3], off
	s_waitcnt vmcnt(0)
	v_fmac_f32_e32 v1, s12, v0
	global_store_dword v[2:3], v1, off
.LBB250_40:
	s_endpgm
.LBB250_41:
	s_branch .LBB250_39
	.section	.rodata,"a",@progbits
	.p2align	6, 0x0
	.amdhsa_kernel _ZN9rocsparseL20bsrxmvn_17_32_kernelILj27EfiiaafEEvT2_20rocsparse_direction_NS_24const_host_device_scalarIT0_EES1_PKS1_PKT1_SA_S7_PKT3_PKT4_S5_PT5_21rocsparse_index_base_b
		.amdhsa_group_segment_fixed_size 2916
		.amdhsa_private_segment_fixed_size 0
		.amdhsa_kernarg_size 96
		.amdhsa_user_sgpr_count 6
		.amdhsa_user_sgpr_private_segment_buffer 1
		.amdhsa_user_sgpr_dispatch_ptr 0
		.amdhsa_user_sgpr_queue_ptr 0
		.amdhsa_user_sgpr_kernarg_segment_ptr 1
		.amdhsa_user_sgpr_dispatch_id 0
		.amdhsa_user_sgpr_flat_scratch_init 0
		.amdhsa_user_sgpr_private_segment_size 0
		.amdhsa_uses_dynamic_stack 0
		.amdhsa_system_sgpr_private_segment_wavefront_offset 0
		.amdhsa_system_sgpr_workgroup_id_x 1
		.amdhsa_system_sgpr_workgroup_id_y 0
		.amdhsa_system_sgpr_workgroup_id_z 0
		.amdhsa_system_sgpr_workgroup_info 0
		.amdhsa_system_vgpr_workitem_id 0
		.amdhsa_next_free_vgpr 25
		.amdhsa_next_free_sgpr 61
		.amdhsa_reserve_vcc 1
		.amdhsa_reserve_flat_scratch 0
		.amdhsa_float_round_mode_32 0
		.amdhsa_float_round_mode_16_64 0
		.amdhsa_float_denorm_mode_32 3
		.amdhsa_float_denorm_mode_16_64 3
		.amdhsa_dx10_clamp 1
		.amdhsa_ieee_mode 1
		.amdhsa_fp16_overflow 0
		.amdhsa_exception_fp_ieee_invalid_op 0
		.amdhsa_exception_fp_denorm_src 0
		.amdhsa_exception_fp_ieee_div_zero 0
		.amdhsa_exception_fp_ieee_overflow 0
		.amdhsa_exception_fp_ieee_underflow 0
		.amdhsa_exception_fp_ieee_inexact 0
		.amdhsa_exception_int_div_zero 0
	.end_amdhsa_kernel
	.section	.text._ZN9rocsparseL20bsrxmvn_17_32_kernelILj27EfiiaafEEvT2_20rocsparse_direction_NS_24const_host_device_scalarIT0_EES1_PKS1_PKT1_SA_S7_PKT3_PKT4_S5_PT5_21rocsparse_index_base_b,"axG",@progbits,_ZN9rocsparseL20bsrxmvn_17_32_kernelILj27EfiiaafEEvT2_20rocsparse_direction_NS_24const_host_device_scalarIT0_EES1_PKS1_PKT1_SA_S7_PKT3_PKT4_S5_PT5_21rocsparse_index_base_b,comdat
.Lfunc_end250:
	.size	_ZN9rocsparseL20bsrxmvn_17_32_kernelILj27EfiiaafEEvT2_20rocsparse_direction_NS_24const_host_device_scalarIT0_EES1_PKS1_PKT1_SA_S7_PKT3_PKT4_S5_PT5_21rocsparse_index_base_b, .Lfunc_end250-_ZN9rocsparseL20bsrxmvn_17_32_kernelILj27EfiiaafEEvT2_20rocsparse_direction_NS_24const_host_device_scalarIT0_EES1_PKS1_PKT1_SA_S7_PKT3_PKT4_S5_PT5_21rocsparse_index_base_b
                                        ; -- End function
	.set _ZN9rocsparseL20bsrxmvn_17_32_kernelILj27EfiiaafEEvT2_20rocsparse_direction_NS_24const_host_device_scalarIT0_EES1_PKS1_PKT1_SA_S7_PKT3_PKT4_S5_PT5_21rocsparse_index_base_b.num_vgpr, 11
	.set _ZN9rocsparseL20bsrxmvn_17_32_kernelILj27EfiiaafEEvT2_20rocsparse_direction_NS_24const_host_device_scalarIT0_EES1_PKS1_PKT1_SA_S7_PKT3_PKT4_S5_PT5_21rocsparse_index_base_b.num_agpr, 0
	.set _ZN9rocsparseL20bsrxmvn_17_32_kernelILj27EfiiaafEEvT2_20rocsparse_direction_NS_24const_host_device_scalarIT0_EES1_PKS1_PKT1_SA_S7_PKT3_PKT4_S5_PT5_21rocsparse_index_base_b.numbered_sgpr, 22
	.set _ZN9rocsparseL20bsrxmvn_17_32_kernelILj27EfiiaafEEvT2_20rocsparse_direction_NS_24const_host_device_scalarIT0_EES1_PKS1_PKT1_SA_S7_PKT3_PKT4_S5_PT5_21rocsparse_index_base_b.num_named_barrier, 0
	.set _ZN9rocsparseL20bsrxmvn_17_32_kernelILj27EfiiaafEEvT2_20rocsparse_direction_NS_24const_host_device_scalarIT0_EES1_PKS1_PKT1_SA_S7_PKT3_PKT4_S5_PT5_21rocsparse_index_base_b.private_seg_size, 0
	.set _ZN9rocsparseL20bsrxmvn_17_32_kernelILj27EfiiaafEEvT2_20rocsparse_direction_NS_24const_host_device_scalarIT0_EES1_PKS1_PKT1_SA_S7_PKT3_PKT4_S5_PT5_21rocsparse_index_base_b.uses_vcc, 1
	.set _ZN9rocsparseL20bsrxmvn_17_32_kernelILj27EfiiaafEEvT2_20rocsparse_direction_NS_24const_host_device_scalarIT0_EES1_PKS1_PKT1_SA_S7_PKT3_PKT4_S5_PT5_21rocsparse_index_base_b.uses_flat_scratch, 0
	.set _ZN9rocsparseL20bsrxmvn_17_32_kernelILj27EfiiaafEEvT2_20rocsparse_direction_NS_24const_host_device_scalarIT0_EES1_PKS1_PKT1_SA_S7_PKT3_PKT4_S5_PT5_21rocsparse_index_base_b.has_dyn_sized_stack, 0
	.set _ZN9rocsparseL20bsrxmvn_17_32_kernelILj27EfiiaafEEvT2_20rocsparse_direction_NS_24const_host_device_scalarIT0_EES1_PKS1_PKT1_SA_S7_PKT3_PKT4_S5_PT5_21rocsparse_index_base_b.has_recursion, 0
	.set _ZN9rocsparseL20bsrxmvn_17_32_kernelILj27EfiiaafEEvT2_20rocsparse_direction_NS_24const_host_device_scalarIT0_EES1_PKS1_PKT1_SA_S7_PKT3_PKT4_S5_PT5_21rocsparse_index_base_b.has_indirect_call, 0
	.section	.AMDGPU.csdata,"",@progbits
; Kernel info:
; codeLenInByte = 1240
; TotalNumSgprs: 26
; NumVgprs: 11
; ScratchSize: 0
; MemoryBound: 0
; FloatMode: 240
; IeeeMode: 1
; LDSByteSize: 2916 bytes/workgroup (compile time only)
; SGPRBlocks: 8
; VGPRBlocks: 6
; NumSGPRsForWavesPerEU: 65
; NumVGPRsForWavesPerEU: 25
; Occupancy: 9
; WaveLimiterHint : 1
; COMPUTE_PGM_RSRC2:SCRATCH_EN: 0
; COMPUTE_PGM_RSRC2:USER_SGPR: 6
; COMPUTE_PGM_RSRC2:TRAP_HANDLER: 0
; COMPUTE_PGM_RSRC2:TGID_X_EN: 1
; COMPUTE_PGM_RSRC2:TGID_Y_EN: 0
; COMPUTE_PGM_RSRC2:TGID_Z_EN: 0
; COMPUTE_PGM_RSRC2:TIDIG_COMP_CNT: 0
	.section	.text._ZN9rocsparseL20bsrxmvn_17_32_kernelILj28EfiiaafEEvT2_20rocsparse_direction_NS_24const_host_device_scalarIT0_EES1_PKS1_PKT1_SA_S7_PKT3_PKT4_S5_PT5_21rocsparse_index_base_b,"axG",@progbits,_ZN9rocsparseL20bsrxmvn_17_32_kernelILj28EfiiaafEEvT2_20rocsparse_direction_NS_24const_host_device_scalarIT0_EES1_PKS1_PKT1_SA_S7_PKT3_PKT4_S5_PT5_21rocsparse_index_base_b,comdat
	.globl	_ZN9rocsparseL20bsrxmvn_17_32_kernelILj28EfiiaafEEvT2_20rocsparse_direction_NS_24const_host_device_scalarIT0_EES1_PKS1_PKT1_SA_S7_PKT3_PKT4_S5_PT5_21rocsparse_index_base_b ; -- Begin function _ZN9rocsparseL20bsrxmvn_17_32_kernelILj28EfiiaafEEvT2_20rocsparse_direction_NS_24const_host_device_scalarIT0_EES1_PKS1_PKT1_SA_S7_PKT3_PKT4_S5_PT5_21rocsparse_index_base_b
	.p2align	8
	.type	_ZN9rocsparseL20bsrxmvn_17_32_kernelILj28EfiiaafEEvT2_20rocsparse_direction_NS_24const_host_device_scalarIT0_EES1_PKS1_PKT1_SA_S7_PKT3_PKT4_S5_PT5_21rocsparse_index_base_b,@function
_ZN9rocsparseL20bsrxmvn_17_32_kernelILj28EfiiaafEEvT2_20rocsparse_direction_NS_24const_host_device_scalarIT0_EES1_PKS1_PKT1_SA_S7_PKT3_PKT4_S5_PT5_21rocsparse_index_base_b: ; @_ZN9rocsparseL20bsrxmvn_17_32_kernelILj28EfiiaafEEvT2_20rocsparse_direction_NS_24const_host_device_scalarIT0_EES1_PKS1_PKT1_SA_S7_PKT3_PKT4_S5_PT5_21rocsparse_index_base_b
; %bb.0:
	s_load_dwordx2 s[18:19], s[4:5], 0x58
	s_load_dwordx2 s[14:15], s[4:5], 0x8
	;; [unrolled: 1-line block ×3, first 2 shown]
	s_waitcnt lgkmcnt(0)
	s_bitcmp1_b32 s19, 0
	s_cselect_b64 s[2:3], -1, 0
	s_xor_b64 s[0:1], s[2:3], -1
	s_and_b64 vcc, exec, s[2:3]
	s_cbranch_vccnz .LBB251_2
; %bb.1:
	s_load_dword s14, s[14:15], 0x0
.LBB251_2:
	s_andn2_b64 vcc, exec, s[0:1]
	s_cbranch_vccnz .LBB251_4
; %bb.3:
	s_load_dword s12, s[12:13], 0x0
.LBB251_4:
	s_waitcnt lgkmcnt(0)
	v_cmp_neq_f32_e64 s[0:1], s14, 0
	v_cmp_neq_f32_e64 s[2:3], s12, 1.0
	s_or_b64 s[0:1], s[0:1], s[2:3]
	s_andn2_b64 vcc, exec, s[0:1]
	s_cbranch_vccnz .LBB251_40
; %bb.5:
	s_load_dwordx4 s[0:3], s[4:5], 0x18
	s_load_dwordx2 s[8:9], s[4:5], 0x28
	s_waitcnt lgkmcnt(0)
	s_cmp_eq_u64 s[0:1], 0
	s_cbranch_scc1 .LBB251_7
; %bb.6:
	s_ashr_i32 s7, s6, 31
	s_lshl_b64 s[6:7], s[6:7], 2
	s_add_u32 s0, s0, s6
	s_addc_u32 s1, s1, s7
	s_load_dword s0, s[0:1], 0x0
	s_waitcnt lgkmcnt(0)
	s_sub_i32 s6, s0, s18
.LBB251_7:
	s_load_dword s0, s[4:5], 0x4
	s_load_dwordx2 s[16:17], s[4:5], 0x50
	v_mul_u32_u24_e32 v1, 0x925, v0
	v_mov_b32_e32 v2, 28
	v_mul_lo_u16_sdwa v2, v1, v2 dst_sel:DWORD dst_unused:UNUSED_PAD src0_sel:WORD_1 src1_sel:DWORD
	s_waitcnt lgkmcnt(0)
	s_cmp_eq_u32 s0, 1
	s_cselect_b64 vcc, -1, 0
	s_cmp_lg_u32 s0, 1
	s_cselect_b64 s[20:21], -1, 0
	s_ashr_i32 s7, s6, 31
	s_lshl_b64 s[0:1], s[6:7], 2
	s_add_u32 s2, s2, s0
	s_addc_u32 s3, s3, s1
	s_load_dword s7, s[2:3], 0x0
	s_add_u32 s2, s2, 4
	s_addc_u32 s3, s3, 0
	s_add_u32 s0, s8, s0
	s_addc_u32 s1, s9, s1
	s_cmp_eq_u64 s[8:9], 0
	s_cselect_b32 s1, s3, s1
	s_cselect_b32 s0, s2, s0
	s_load_dword s0, s[0:1], 0x0
	v_sub_u16_e32 v7, v0, v2
	v_mov_b32_e32 v6, 0
	s_waitcnt lgkmcnt(0)
	s_cmp_ge_i32 s7, s0
	s_cbranch_scc1 .LBB251_12
; %bb.8:
	s_load_dwordx4 s[8:11], s[4:5], 0x30
	s_load_dwordx2 s[2:3], s[4:5], 0x40
	s_sub_i32 s4, s0, s18
	s_mov_b32 s0, 0xffff
	s_movk_i32 s1, 0x310
	v_and_b32_sdwa v1, s0, v1 dst_sel:DWORD dst_unused:UNUSED_PAD src0_sel:DWORD src1_sel:WORD_1
	v_subrev_u32_e32 v2, 28, v1
	v_cmp_gt_u32_e64 s[0:1], s1, v0
	s_sub_i32 s5, s7, s18
	v_cndmask_b32_e64 v1, v2, v1, s[0:1]
	s_mul_i32 s1, s5, 0x310
	s_mul_hi_i32 s0, s5, 0x310
	s_waitcnt lgkmcnt(0)
	s_add_u32 s1, s10, s1
	s_addc_u32 s0, s11, s0
	v_cndmask_b32_e32 v1, v7, v1, vcc
	v_mov_b32_e32 v3, s0
	v_add_co_u32_e32 v2, vcc, s1, v0
	v_addc_co_u32_e32 v3, vcc, 0, v3, vcc
	s_movk_i32 s0, 0x30f
	v_cmp_lt_u32_e32 vcc, s0, v0
	v_mov_b32_e32 v6, 0
	v_cndmask_b32_e64 v8, 0, 1, vcc
	s_branch .LBB251_10
.LBB251_9:                              ;   in Loop: Header=BB251_10 Depth=1
	s_or_b64 exec, exec, s[0:1]
	s_add_i32 s5, s5, 1
	s_cmp_lt_i32 s5, s4
	s_cbranch_scc0 .LBB251_12
.LBB251_10:                             ; =>This Inner Loop Header: Depth=1
	v_add_u32_e32 v4, s5, v8
	v_cmp_gt_i32_e32 vcc, s4, v4
	s_and_saveexec_b64 s[0:1], vcc
	s_cbranch_execz .LBB251_9
; %bb.11:                               ;   in Loop: Header=BB251_10 Depth=1
	v_ashrrev_i32_e32 v5, 31, v4
	v_lshlrev_b64 v[4:5], 2, v[4:5]
	v_mov_b32_e32 v9, s9
	v_add_co_u32_e32 v4, vcc, s8, v4
	v_addc_co_u32_e32 v5, vcc, v9, v5, vcc
	global_load_dword v4, v[4:5], off
	s_waitcnt vmcnt(0)
	v_subrev_u32_e32 v4, s18, v4
	v_mad_u64_u32 v[4:5], s[10:11], v4, 28, v[1:2]
	v_mov_b32_e32 v5, s3
	global_load_sbyte v9, v[2:3], off
	v_ashrrev_i32_e32 v10, 31, v4
	v_add_co_u32_e32 v4, vcc, s2, v4
	v_addc_co_u32_e32 v5, vcc, v5, v10, vcc
	global_load_sbyte v4, v[4:5], off
	v_add_co_u32_e32 v2, vcc, 0x310, v2
	v_addc_co_u32_e32 v3, vcc, 0, v3, vcc
	s_waitcnt vmcnt(1)
	v_cvt_f32_i32_e32 v5, v9
	s_waitcnt vmcnt(0)
	v_cvt_f32_i32_e32 v4, v4
	v_fmac_f32_e32 v6, v5, v4
	s_branch .LBB251_9
.LBB251_12:
	v_lshlrev_b32_e32 v1, 2, v0
	s_and_b64 vcc, exec, s[20:21]
	ds_write_b32 v1, v6
	s_waitcnt lgkmcnt(0)
	s_barrier
	s_cbranch_vccz .LBB251_24
; %bb.13:
	v_cmp_gt_u16_e32 vcc, 12, v7
	s_and_saveexec_b64 s[0:1], vcc
	s_cbranch_execz .LBB251_15
; %bb.14:
	ds_read2_b32 v[2:3], v1 offset1:16
	s_waitcnt lgkmcnt(0)
	v_add_f32_e32 v2, v3, v2
	ds_write_b32 v1, v2
.LBB251_15:
	s_or_b64 exec, exec, s[0:1]
	v_cmp_gt_u16_e32 vcc, 8, v7
	s_waitcnt lgkmcnt(0)
	s_barrier
	s_and_saveexec_b64 s[0:1], vcc
	s_cbranch_execz .LBB251_17
; %bb.16:
	ds_read2_b32 v[2:3], v1 offset1:8
	s_waitcnt lgkmcnt(0)
	v_add_f32_e32 v2, v3, v2
	ds_write_b32 v1, v2
.LBB251_17:
	s_or_b64 exec, exec, s[0:1]
	v_cmp_gt_u16_e32 vcc, 4, v7
	s_waitcnt lgkmcnt(0)
	s_barrier
	s_and_saveexec_b64 s[0:1], vcc
	s_cbranch_execz .LBB251_19
; %bb.18:
	ds_read2_b32 v[2:3], v1 offset1:4
	s_waitcnt lgkmcnt(0)
	v_add_f32_e32 v2, v3, v2
	ds_write_b32 v1, v2
.LBB251_19:
	s_or_b64 exec, exec, s[0:1]
	v_cmp_gt_u16_e32 vcc, 2, v7
	s_waitcnt lgkmcnt(0)
	s_barrier
	s_and_saveexec_b64 s[0:1], vcc
	s_cbranch_execz .LBB251_21
; %bb.20:
	ds_read2_b32 v[2:3], v1 offset1:2
	s_waitcnt lgkmcnt(0)
	v_add_f32_e32 v2, v3, v2
	ds_write_b32 v1, v2
.LBB251_21:
	s_or_b64 exec, exec, s[0:1]
	v_cmp_gt_u32_e32 vcc, 28, v0
	v_mov_b32_e32 v2, v6
	s_waitcnt lgkmcnt(0)
	s_barrier
	s_and_saveexec_b64 s[0:1], vcc
	s_cbranch_execz .LBB251_23
; %bb.22:
	s_movk_i32 s2, 0x6c
	v_mad_u32_u24 v2, v0, s2, v1
	ds_read_b64 v[2:3], v2
	s_waitcnt lgkmcnt(0)
	v_add_f32_e32 v2, v2, v3
.LBB251_23:
	s_or_b64 exec, exec, s[0:1]
	s_branch .LBB251_36
.LBB251_24:
                                        ; implicit-def: $vgpr2
	s_cbranch_execz .LBB251_36
; %bb.25:
	s_movk_i32 s0, 0x150
	v_cmp_gt_u32_e32 vcc, s0, v0
	s_and_saveexec_b64 s[0:1], vcc
	s_cbranch_execz .LBB251_27
; %bb.26:
	ds_read2st64_b32 v[2:3], v1 offset1:7
	s_waitcnt lgkmcnt(0)
	v_add_f32_e32 v2, v3, v2
	ds_write_b32 v1, v2
.LBB251_27:
	s_or_b64 exec, exec, s[0:1]
	s_movk_i32 s0, 0xe0
	v_cmp_gt_u32_e32 vcc, s0, v0
	s_waitcnt lgkmcnt(0)
	s_barrier
	s_and_saveexec_b64 s[0:1], vcc
	s_cbranch_execz .LBB251_29
; %bb.28:
	ds_read2_b32 v[2:3], v1 offset1:224
	s_waitcnt lgkmcnt(0)
	v_add_f32_e32 v2, v3, v2
	ds_write_b32 v1, v2
.LBB251_29:
	s_or_b64 exec, exec, s[0:1]
	s_movk_i32 s0, 0x70
	v_cmp_gt_u32_e32 vcc, s0, v0
	s_waitcnt lgkmcnt(0)
	s_barrier
	s_and_saveexec_b64 s[0:1], vcc
	s_cbranch_execz .LBB251_31
; %bb.30:
	ds_read2_b32 v[2:3], v1 offset1:112
	s_waitcnt lgkmcnt(0)
	v_add_f32_e32 v2, v3, v2
	ds_write_b32 v1, v2
.LBB251_31:
	s_or_b64 exec, exec, s[0:1]
	v_cmp_gt_u32_e32 vcc, 56, v0
	s_waitcnt lgkmcnt(0)
	s_barrier
	s_and_saveexec_b64 s[0:1], vcc
	s_cbranch_execz .LBB251_33
; %bb.32:
	ds_read2_b32 v[2:3], v1 offset1:56
	s_waitcnt lgkmcnt(0)
	v_add_f32_e32 v2, v3, v2
	ds_write_b32 v1, v2
.LBB251_33:
	s_or_b64 exec, exec, s[0:1]
	v_cmp_gt_u32_e32 vcc, 28, v0
	s_waitcnt lgkmcnt(0)
	s_and_saveexec_b64 s[0:1], vcc
	s_cbranch_execz .LBB251_35
; %bb.34:
	ds_read2_b32 v[1:2], v1 offset1:28
	s_waitcnt lgkmcnt(0)
	v_add_f32_e32 v6, v1, v2
.LBB251_35:
	s_or_b64 exec, exec, s[0:1]
	v_mov_b32_e32 v2, v6
.LBB251_36:
	v_cmp_gt_u32_e32 vcc, 28, v0
	s_and_saveexec_b64 s[0:1], vcc
	s_cbranch_execz .LBB251_40
; %bb.37:
	v_cmp_eq_f32_e64 s[0:1], s12, 0
	s_and_b64 vcc, exec, s[0:1]
	v_mul_f32_e32 v1, s14, v2
	s_cbranch_vccz .LBB251_41
; %bb.38:
	v_mad_u64_u32 v[2:3], s[0:1], s6, 28, v[0:1]
	v_mov_b32_e32 v3, 0
	v_mov_b32_e32 v4, s17
	v_lshlrev_b64 v[2:3], 2, v[2:3]
	v_add_co_u32_e32 v2, vcc, s16, v2
	v_addc_co_u32_e32 v3, vcc, v4, v3, vcc
	global_store_dword v[2:3], v1, off
	s_cbranch_execnz .LBB251_40
.LBB251_39:
	v_mad_u64_u32 v[2:3], s[0:1], s6, 28, v[0:1]
	v_mov_b32_e32 v3, 0
	v_mov_b32_e32 v0, s17
	v_lshlrev_b64 v[2:3], 2, v[2:3]
	v_add_co_u32_e32 v2, vcc, s16, v2
	v_addc_co_u32_e32 v3, vcc, v0, v3, vcc
	global_load_dword v0, v[2:3], off
	s_waitcnt vmcnt(0)
	v_fmac_f32_e32 v1, s12, v0
	global_store_dword v[2:3], v1, off
.LBB251_40:
	s_endpgm
.LBB251_41:
	s_branch .LBB251_39
	.section	.rodata,"a",@progbits
	.p2align	6, 0x0
	.amdhsa_kernel _ZN9rocsparseL20bsrxmvn_17_32_kernelILj28EfiiaafEEvT2_20rocsparse_direction_NS_24const_host_device_scalarIT0_EES1_PKS1_PKT1_SA_S7_PKT3_PKT4_S5_PT5_21rocsparse_index_base_b
		.amdhsa_group_segment_fixed_size 3136
		.amdhsa_private_segment_fixed_size 0
		.amdhsa_kernarg_size 96
		.amdhsa_user_sgpr_count 6
		.amdhsa_user_sgpr_private_segment_buffer 1
		.amdhsa_user_sgpr_dispatch_ptr 0
		.amdhsa_user_sgpr_queue_ptr 0
		.amdhsa_user_sgpr_kernarg_segment_ptr 1
		.amdhsa_user_sgpr_dispatch_id 0
		.amdhsa_user_sgpr_flat_scratch_init 0
		.amdhsa_user_sgpr_private_segment_size 0
		.amdhsa_uses_dynamic_stack 0
		.amdhsa_system_sgpr_private_segment_wavefront_offset 0
		.amdhsa_system_sgpr_workgroup_id_x 1
		.amdhsa_system_sgpr_workgroup_id_y 0
		.amdhsa_system_sgpr_workgroup_id_z 0
		.amdhsa_system_sgpr_workgroup_info 0
		.amdhsa_system_vgpr_workitem_id 0
		.amdhsa_next_free_vgpr 11
		.amdhsa_next_free_sgpr 22
		.amdhsa_reserve_vcc 1
		.amdhsa_reserve_flat_scratch 0
		.amdhsa_float_round_mode_32 0
		.amdhsa_float_round_mode_16_64 0
		.amdhsa_float_denorm_mode_32 3
		.amdhsa_float_denorm_mode_16_64 3
		.amdhsa_dx10_clamp 1
		.amdhsa_ieee_mode 1
		.amdhsa_fp16_overflow 0
		.amdhsa_exception_fp_ieee_invalid_op 0
		.amdhsa_exception_fp_denorm_src 0
		.amdhsa_exception_fp_ieee_div_zero 0
		.amdhsa_exception_fp_ieee_overflow 0
		.amdhsa_exception_fp_ieee_underflow 0
		.amdhsa_exception_fp_ieee_inexact 0
		.amdhsa_exception_int_div_zero 0
	.end_amdhsa_kernel
	.section	.text._ZN9rocsparseL20bsrxmvn_17_32_kernelILj28EfiiaafEEvT2_20rocsparse_direction_NS_24const_host_device_scalarIT0_EES1_PKS1_PKT1_SA_S7_PKT3_PKT4_S5_PT5_21rocsparse_index_base_b,"axG",@progbits,_ZN9rocsparseL20bsrxmvn_17_32_kernelILj28EfiiaafEEvT2_20rocsparse_direction_NS_24const_host_device_scalarIT0_EES1_PKS1_PKT1_SA_S7_PKT3_PKT4_S5_PT5_21rocsparse_index_base_b,comdat
.Lfunc_end251:
	.size	_ZN9rocsparseL20bsrxmvn_17_32_kernelILj28EfiiaafEEvT2_20rocsparse_direction_NS_24const_host_device_scalarIT0_EES1_PKS1_PKT1_SA_S7_PKT3_PKT4_S5_PT5_21rocsparse_index_base_b, .Lfunc_end251-_ZN9rocsparseL20bsrxmvn_17_32_kernelILj28EfiiaafEEvT2_20rocsparse_direction_NS_24const_host_device_scalarIT0_EES1_PKS1_PKT1_SA_S7_PKT3_PKT4_S5_PT5_21rocsparse_index_base_b
                                        ; -- End function
	.set _ZN9rocsparseL20bsrxmvn_17_32_kernelILj28EfiiaafEEvT2_20rocsparse_direction_NS_24const_host_device_scalarIT0_EES1_PKS1_PKT1_SA_S7_PKT3_PKT4_S5_PT5_21rocsparse_index_base_b.num_vgpr, 11
	.set _ZN9rocsparseL20bsrxmvn_17_32_kernelILj28EfiiaafEEvT2_20rocsparse_direction_NS_24const_host_device_scalarIT0_EES1_PKS1_PKT1_SA_S7_PKT3_PKT4_S5_PT5_21rocsparse_index_base_b.num_agpr, 0
	.set _ZN9rocsparseL20bsrxmvn_17_32_kernelILj28EfiiaafEEvT2_20rocsparse_direction_NS_24const_host_device_scalarIT0_EES1_PKS1_PKT1_SA_S7_PKT3_PKT4_S5_PT5_21rocsparse_index_base_b.numbered_sgpr, 22
	.set _ZN9rocsparseL20bsrxmvn_17_32_kernelILj28EfiiaafEEvT2_20rocsparse_direction_NS_24const_host_device_scalarIT0_EES1_PKS1_PKT1_SA_S7_PKT3_PKT4_S5_PT5_21rocsparse_index_base_b.num_named_barrier, 0
	.set _ZN9rocsparseL20bsrxmvn_17_32_kernelILj28EfiiaafEEvT2_20rocsparse_direction_NS_24const_host_device_scalarIT0_EES1_PKS1_PKT1_SA_S7_PKT3_PKT4_S5_PT5_21rocsparse_index_base_b.private_seg_size, 0
	.set _ZN9rocsparseL20bsrxmvn_17_32_kernelILj28EfiiaafEEvT2_20rocsparse_direction_NS_24const_host_device_scalarIT0_EES1_PKS1_PKT1_SA_S7_PKT3_PKT4_S5_PT5_21rocsparse_index_base_b.uses_vcc, 1
	.set _ZN9rocsparseL20bsrxmvn_17_32_kernelILj28EfiiaafEEvT2_20rocsparse_direction_NS_24const_host_device_scalarIT0_EES1_PKS1_PKT1_SA_S7_PKT3_PKT4_S5_PT5_21rocsparse_index_base_b.uses_flat_scratch, 0
	.set _ZN9rocsparseL20bsrxmvn_17_32_kernelILj28EfiiaafEEvT2_20rocsparse_direction_NS_24const_host_device_scalarIT0_EES1_PKS1_PKT1_SA_S7_PKT3_PKT4_S5_PT5_21rocsparse_index_base_b.has_dyn_sized_stack, 0
	.set _ZN9rocsparseL20bsrxmvn_17_32_kernelILj28EfiiaafEEvT2_20rocsparse_direction_NS_24const_host_device_scalarIT0_EES1_PKS1_PKT1_SA_S7_PKT3_PKT4_S5_PT5_21rocsparse_index_base_b.has_recursion, 0
	.set _ZN9rocsparseL20bsrxmvn_17_32_kernelILj28EfiiaafEEvT2_20rocsparse_direction_NS_24const_host_device_scalarIT0_EES1_PKS1_PKT1_SA_S7_PKT3_PKT4_S5_PT5_21rocsparse_index_base_b.has_indirect_call, 0
	.section	.AMDGPU.csdata,"",@progbits
; Kernel info:
; codeLenInByte = 1232
; TotalNumSgprs: 26
; NumVgprs: 11
; ScratchSize: 0
; MemoryBound: 0
; FloatMode: 240
; IeeeMode: 1
; LDSByteSize: 3136 bytes/workgroup (compile time only)
; SGPRBlocks: 3
; VGPRBlocks: 2
; NumSGPRsForWavesPerEU: 26
; NumVGPRsForWavesPerEU: 11
; Occupancy: 10
; WaveLimiterHint : 1
; COMPUTE_PGM_RSRC2:SCRATCH_EN: 0
; COMPUTE_PGM_RSRC2:USER_SGPR: 6
; COMPUTE_PGM_RSRC2:TRAP_HANDLER: 0
; COMPUTE_PGM_RSRC2:TGID_X_EN: 1
; COMPUTE_PGM_RSRC2:TGID_Y_EN: 0
; COMPUTE_PGM_RSRC2:TGID_Z_EN: 0
; COMPUTE_PGM_RSRC2:TIDIG_COMP_CNT: 0
	.section	.text._ZN9rocsparseL20bsrxmvn_17_32_kernelILj29EfiiaafEEvT2_20rocsparse_direction_NS_24const_host_device_scalarIT0_EES1_PKS1_PKT1_SA_S7_PKT3_PKT4_S5_PT5_21rocsparse_index_base_b,"axG",@progbits,_ZN9rocsparseL20bsrxmvn_17_32_kernelILj29EfiiaafEEvT2_20rocsparse_direction_NS_24const_host_device_scalarIT0_EES1_PKS1_PKT1_SA_S7_PKT3_PKT4_S5_PT5_21rocsparse_index_base_b,comdat
	.globl	_ZN9rocsparseL20bsrxmvn_17_32_kernelILj29EfiiaafEEvT2_20rocsparse_direction_NS_24const_host_device_scalarIT0_EES1_PKS1_PKT1_SA_S7_PKT3_PKT4_S5_PT5_21rocsparse_index_base_b ; -- Begin function _ZN9rocsparseL20bsrxmvn_17_32_kernelILj29EfiiaafEEvT2_20rocsparse_direction_NS_24const_host_device_scalarIT0_EES1_PKS1_PKT1_SA_S7_PKT3_PKT4_S5_PT5_21rocsparse_index_base_b
	.p2align	8
	.type	_ZN9rocsparseL20bsrxmvn_17_32_kernelILj29EfiiaafEEvT2_20rocsparse_direction_NS_24const_host_device_scalarIT0_EES1_PKS1_PKT1_SA_S7_PKT3_PKT4_S5_PT5_21rocsparse_index_base_b,@function
_ZN9rocsparseL20bsrxmvn_17_32_kernelILj29EfiiaafEEvT2_20rocsparse_direction_NS_24const_host_device_scalarIT0_EES1_PKS1_PKT1_SA_S7_PKT3_PKT4_S5_PT5_21rocsparse_index_base_b: ; @_ZN9rocsparseL20bsrxmvn_17_32_kernelILj29EfiiaafEEvT2_20rocsparse_direction_NS_24const_host_device_scalarIT0_EES1_PKS1_PKT1_SA_S7_PKT3_PKT4_S5_PT5_21rocsparse_index_base_b
; %bb.0:
	s_load_dwordx2 s[18:19], s[4:5], 0x58
	s_load_dwordx2 s[14:15], s[4:5], 0x8
	;; [unrolled: 1-line block ×3, first 2 shown]
	s_waitcnt lgkmcnt(0)
	s_bitcmp1_b32 s19, 0
	s_cselect_b64 s[2:3], -1, 0
	s_xor_b64 s[0:1], s[2:3], -1
	s_and_b64 vcc, exec, s[2:3]
	s_cbranch_vccnz .LBB252_2
; %bb.1:
	s_load_dword s14, s[14:15], 0x0
.LBB252_2:
	s_andn2_b64 vcc, exec, s[0:1]
	s_cbranch_vccnz .LBB252_4
; %bb.3:
	s_load_dword s12, s[12:13], 0x0
.LBB252_4:
	s_waitcnt lgkmcnt(0)
	v_cmp_neq_f32_e64 s[0:1], s14, 0
	v_cmp_neq_f32_e64 s[2:3], s12, 1.0
	s_or_b64 s[0:1], s[0:1], s[2:3]
	s_andn2_b64 vcc, exec, s[0:1]
	s_cbranch_vccnz .LBB252_40
; %bb.5:
	s_load_dwordx4 s[0:3], s[4:5], 0x18
	s_load_dwordx2 s[8:9], s[4:5], 0x28
	s_waitcnt lgkmcnt(0)
	s_cmp_eq_u64 s[0:1], 0
	s_cbranch_scc1 .LBB252_7
; %bb.6:
	s_ashr_i32 s7, s6, 31
	s_lshl_b64 s[6:7], s[6:7], 2
	s_add_u32 s0, s0, s6
	s_addc_u32 s1, s1, s7
	s_load_dword s0, s[0:1], 0x0
	s_waitcnt lgkmcnt(0)
	s_sub_i32 s6, s0, s18
.LBB252_7:
	s_load_dword s0, s[4:5], 0x4
	s_load_dwordx2 s[16:17], s[4:5], 0x50
	v_mul_u32_u24_e32 v1, 0x8d4, v0
	v_mov_b32_e32 v2, 29
	v_mul_lo_u16_sdwa v2, v1, v2 dst_sel:DWORD dst_unused:UNUSED_PAD src0_sel:WORD_1 src1_sel:DWORD
	s_waitcnt lgkmcnt(0)
	s_cmp_eq_u32 s0, 1
	s_cselect_b64 vcc, -1, 0
	s_cmp_lg_u32 s0, 1
	s_cselect_b64 s[20:21], -1, 0
	s_ashr_i32 s7, s6, 31
	s_lshl_b64 s[0:1], s[6:7], 2
	s_add_u32 s2, s2, s0
	s_addc_u32 s3, s3, s1
	s_load_dword s7, s[2:3], 0x0
	s_add_u32 s2, s2, 4
	s_addc_u32 s3, s3, 0
	s_add_u32 s0, s8, s0
	s_addc_u32 s1, s9, s1
	s_cmp_eq_u64 s[8:9], 0
	s_cselect_b32 s1, s3, s1
	s_cselect_b32 s0, s2, s0
	s_load_dword s0, s[0:1], 0x0
	v_sub_u16_e32 v7, v0, v2
	v_mov_b32_e32 v6, 0
	s_waitcnt lgkmcnt(0)
	s_cmp_ge_i32 s7, s0
	s_cbranch_scc1 .LBB252_12
; %bb.8:
	s_load_dwordx4 s[8:11], s[4:5], 0x30
	s_load_dwordx2 s[2:3], s[4:5], 0x40
	s_sub_i32 s4, s0, s18
	s_mov_b32 s0, 0xffff
	s_movk_i32 s1, 0x349
	v_and_b32_sdwa v1, s0, v1 dst_sel:DWORD dst_unused:UNUSED_PAD src0_sel:DWORD src1_sel:WORD_1
	v_subrev_u32_e32 v2, 29, v1
	v_cmp_gt_u32_e64 s[0:1], s1, v0
	s_sub_i32 s5, s7, s18
	v_cndmask_b32_e64 v1, v2, v1, s[0:1]
	s_mul_i32 s1, s5, 0x349
	s_mul_hi_i32 s0, s5, 0x349
	s_waitcnt lgkmcnt(0)
	s_add_u32 s1, s10, s1
	s_addc_u32 s0, s11, s0
	v_cndmask_b32_e32 v1, v7, v1, vcc
	v_mov_b32_e32 v3, s0
	v_add_co_u32_e32 v2, vcc, s1, v0
	v_addc_co_u32_e32 v3, vcc, 0, v3, vcc
	s_movk_i32 s0, 0x348
	v_cmp_lt_u32_e32 vcc, s0, v0
	v_mov_b32_e32 v6, 0
	v_cndmask_b32_e64 v8, 0, 1, vcc
	s_branch .LBB252_10
.LBB252_9:                              ;   in Loop: Header=BB252_10 Depth=1
	s_or_b64 exec, exec, s[0:1]
	s_add_i32 s5, s5, 1
	s_cmp_lt_i32 s5, s4
	s_cbranch_scc0 .LBB252_12
.LBB252_10:                             ; =>This Inner Loop Header: Depth=1
	v_add_u32_e32 v4, s5, v8
	v_cmp_gt_i32_e32 vcc, s4, v4
	s_and_saveexec_b64 s[0:1], vcc
	s_cbranch_execz .LBB252_9
; %bb.11:                               ;   in Loop: Header=BB252_10 Depth=1
	v_ashrrev_i32_e32 v5, 31, v4
	v_lshlrev_b64 v[4:5], 2, v[4:5]
	v_mov_b32_e32 v9, s9
	v_add_co_u32_e32 v4, vcc, s8, v4
	v_addc_co_u32_e32 v5, vcc, v9, v5, vcc
	global_load_dword v4, v[4:5], off
	s_waitcnt vmcnt(0)
	v_subrev_u32_e32 v4, s18, v4
	v_mad_u64_u32 v[4:5], s[10:11], v4, 29, v[1:2]
	v_mov_b32_e32 v5, s3
	global_load_sbyte v9, v[2:3], off
	v_ashrrev_i32_e32 v10, 31, v4
	v_add_co_u32_e32 v4, vcc, s2, v4
	v_addc_co_u32_e32 v5, vcc, v5, v10, vcc
	global_load_sbyte v4, v[4:5], off
	v_add_co_u32_e32 v2, vcc, 0x349, v2
	v_addc_co_u32_e32 v3, vcc, 0, v3, vcc
	s_waitcnt vmcnt(1)
	v_cvt_f32_i32_e32 v5, v9
	s_waitcnt vmcnt(0)
	v_cvt_f32_i32_e32 v4, v4
	v_fmac_f32_e32 v6, v5, v4
	s_branch .LBB252_9
.LBB252_12:
	v_lshlrev_b32_e32 v1, 2, v0
	s_and_b64 vcc, exec, s[20:21]
	ds_write_b32 v1, v6
	s_waitcnt lgkmcnt(0)
	s_barrier
	s_cbranch_vccz .LBB252_24
; %bb.13:
	v_cmp_gt_u16_e32 vcc, 13, v7
	s_and_saveexec_b64 s[0:1], vcc
	s_cbranch_execz .LBB252_15
; %bb.14:
	ds_read2_b32 v[2:3], v1 offset1:16
	s_waitcnt lgkmcnt(0)
	v_add_f32_e32 v2, v3, v2
	ds_write_b32 v1, v2
.LBB252_15:
	s_or_b64 exec, exec, s[0:1]
	v_cmp_gt_u16_e32 vcc, 8, v7
	s_waitcnt lgkmcnt(0)
	s_barrier
	s_and_saveexec_b64 s[0:1], vcc
	s_cbranch_execz .LBB252_17
; %bb.16:
	ds_read2_b32 v[2:3], v1 offset1:8
	s_waitcnt lgkmcnt(0)
	v_add_f32_e32 v2, v3, v2
	ds_write_b32 v1, v2
.LBB252_17:
	s_or_b64 exec, exec, s[0:1]
	v_cmp_gt_u16_e32 vcc, 4, v7
	s_waitcnt lgkmcnt(0)
	s_barrier
	;; [unrolled: 12-line block ×3, first 2 shown]
	s_and_saveexec_b64 s[0:1], vcc
	s_cbranch_execz .LBB252_21
; %bb.20:
	ds_read2_b32 v[2:3], v1 offset1:2
	s_waitcnt lgkmcnt(0)
	v_add_f32_e32 v2, v3, v2
	ds_write_b32 v1, v2
.LBB252_21:
	s_or_b64 exec, exec, s[0:1]
	v_cmp_gt_u32_e32 vcc, 29, v0
	v_mov_b32_e32 v2, v6
	s_waitcnt lgkmcnt(0)
	s_barrier
	s_and_saveexec_b64 s[0:1], vcc
	s_cbranch_execz .LBB252_23
; %bb.22:
	s_movk_i32 s2, 0x70
	v_mad_u32_u24 v2, v0, s2, v1
	ds_read2_b32 v[2:3], v2 offset1:1
	s_waitcnt lgkmcnt(0)
	v_add_f32_e32 v2, v2, v3
.LBB252_23:
	s_or_b64 exec, exec, s[0:1]
	s_branch .LBB252_36
.LBB252_24:
                                        ; implicit-def: $vgpr2
	s_cbranch_execz .LBB252_36
; %bb.25:
	s_movk_i32 s0, 0x179
	v_cmp_gt_u32_e32 vcc, s0, v0
	s_and_saveexec_b64 s[0:1], vcc
	s_cbranch_execz .LBB252_27
; %bb.26:
	ds_read_b32 v2, v1 offset:1856
	ds_read_b32 v3, v1
	s_waitcnt lgkmcnt(0)
	v_add_f32_e32 v2, v2, v3
	ds_write_b32 v1, v2
.LBB252_27:
	s_or_b64 exec, exec, s[0:1]
	s_movk_i32 s0, 0xe8
	v_cmp_gt_u32_e32 vcc, s0, v0
	s_waitcnt lgkmcnt(0)
	s_barrier
	s_and_saveexec_b64 s[0:1], vcc
	s_cbranch_execz .LBB252_29
; %bb.28:
	ds_read2_b32 v[2:3], v1 offset1:232
	s_waitcnt lgkmcnt(0)
	v_add_f32_e32 v2, v3, v2
	ds_write_b32 v1, v2
.LBB252_29:
	s_or_b64 exec, exec, s[0:1]
	s_movk_i32 s0, 0x74
	v_cmp_gt_u32_e32 vcc, s0, v0
	s_waitcnt lgkmcnt(0)
	s_barrier
	s_and_saveexec_b64 s[0:1], vcc
	s_cbranch_execz .LBB252_31
; %bb.30:
	ds_read2_b32 v[2:3], v1 offset1:116
	s_waitcnt lgkmcnt(0)
	v_add_f32_e32 v2, v3, v2
	ds_write_b32 v1, v2
.LBB252_31:
	s_or_b64 exec, exec, s[0:1]
	v_cmp_gt_u32_e32 vcc, 58, v0
	s_waitcnt lgkmcnt(0)
	s_barrier
	s_and_saveexec_b64 s[0:1], vcc
	s_cbranch_execz .LBB252_33
; %bb.32:
	ds_read2_b32 v[2:3], v1 offset1:58
	s_waitcnt lgkmcnt(0)
	v_add_f32_e32 v2, v3, v2
	ds_write_b32 v1, v2
.LBB252_33:
	s_or_b64 exec, exec, s[0:1]
	v_cmp_gt_u32_e32 vcc, 29, v0
	s_waitcnt lgkmcnt(0)
	s_and_saveexec_b64 s[0:1], vcc
	s_cbranch_execz .LBB252_35
; %bb.34:
	ds_read2_b32 v[1:2], v1 offset1:29
	s_waitcnt lgkmcnt(0)
	v_add_f32_e32 v6, v1, v2
.LBB252_35:
	s_or_b64 exec, exec, s[0:1]
	v_mov_b32_e32 v2, v6
.LBB252_36:
	v_cmp_gt_u32_e32 vcc, 29, v0
	s_and_saveexec_b64 s[0:1], vcc
	s_cbranch_execz .LBB252_40
; %bb.37:
	v_cmp_eq_f32_e64 s[0:1], s12, 0
	s_and_b64 vcc, exec, s[0:1]
	v_mul_f32_e32 v1, s14, v2
	s_cbranch_vccz .LBB252_41
; %bb.38:
	v_mad_u64_u32 v[2:3], s[0:1], s6, 29, v[0:1]
	v_mov_b32_e32 v3, 0
	v_mov_b32_e32 v4, s17
	v_lshlrev_b64 v[2:3], 2, v[2:3]
	v_add_co_u32_e32 v2, vcc, s16, v2
	v_addc_co_u32_e32 v3, vcc, v4, v3, vcc
	global_store_dword v[2:3], v1, off
	s_cbranch_execnz .LBB252_40
.LBB252_39:
	v_mad_u64_u32 v[2:3], s[0:1], s6, 29, v[0:1]
	v_mov_b32_e32 v3, 0
	v_mov_b32_e32 v0, s17
	v_lshlrev_b64 v[2:3], 2, v[2:3]
	v_add_co_u32_e32 v2, vcc, s16, v2
	v_addc_co_u32_e32 v3, vcc, v0, v3, vcc
	global_load_dword v0, v[2:3], off
	s_waitcnt vmcnt(0)
	v_fmac_f32_e32 v1, s12, v0
	global_store_dword v[2:3], v1, off
.LBB252_40:
	s_endpgm
.LBB252_41:
	s_branch .LBB252_39
	.section	.rodata,"a",@progbits
	.p2align	6, 0x0
	.amdhsa_kernel _ZN9rocsparseL20bsrxmvn_17_32_kernelILj29EfiiaafEEvT2_20rocsparse_direction_NS_24const_host_device_scalarIT0_EES1_PKS1_PKT1_SA_S7_PKT3_PKT4_S5_PT5_21rocsparse_index_base_b
		.amdhsa_group_segment_fixed_size 3364
		.amdhsa_private_segment_fixed_size 0
		.amdhsa_kernarg_size 96
		.amdhsa_user_sgpr_count 6
		.amdhsa_user_sgpr_private_segment_buffer 1
		.amdhsa_user_sgpr_dispatch_ptr 0
		.amdhsa_user_sgpr_queue_ptr 0
		.amdhsa_user_sgpr_kernarg_segment_ptr 1
		.amdhsa_user_sgpr_dispatch_id 0
		.amdhsa_user_sgpr_flat_scratch_init 0
		.amdhsa_user_sgpr_private_segment_size 0
		.amdhsa_uses_dynamic_stack 0
		.amdhsa_system_sgpr_private_segment_wavefront_offset 0
		.amdhsa_system_sgpr_workgroup_id_x 1
		.amdhsa_system_sgpr_workgroup_id_y 0
		.amdhsa_system_sgpr_workgroup_id_z 0
		.amdhsa_system_sgpr_workgroup_info 0
		.amdhsa_system_vgpr_workitem_id 0
		.amdhsa_next_free_vgpr 33
		.amdhsa_next_free_sgpr 77
		.amdhsa_reserve_vcc 1
		.amdhsa_reserve_flat_scratch 0
		.amdhsa_float_round_mode_32 0
		.amdhsa_float_round_mode_16_64 0
		.amdhsa_float_denorm_mode_32 3
		.amdhsa_float_denorm_mode_16_64 3
		.amdhsa_dx10_clamp 1
		.amdhsa_ieee_mode 1
		.amdhsa_fp16_overflow 0
		.amdhsa_exception_fp_ieee_invalid_op 0
		.amdhsa_exception_fp_denorm_src 0
		.amdhsa_exception_fp_ieee_div_zero 0
		.amdhsa_exception_fp_ieee_overflow 0
		.amdhsa_exception_fp_ieee_underflow 0
		.amdhsa_exception_fp_ieee_inexact 0
		.amdhsa_exception_int_div_zero 0
	.end_amdhsa_kernel
	.section	.text._ZN9rocsparseL20bsrxmvn_17_32_kernelILj29EfiiaafEEvT2_20rocsparse_direction_NS_24const_host_device_scalarIT0_EES1_PKS1_PKT1_SA_S7_PKT3_PKT4_S5_PT5_21rocsparse_index_base_b,"axG",@progbits,_ZN9rocsparseL20bsrxmvn_17_32_kernelILj29EfiiaafEEvT2_20rocsparse_direction_NS_24const_host_device_scalarIT0_EES1_PKS1_PKT1_SA_S7_PKT3_PKT4_S5_PT5_21rocsparse_index_base_b,comdat
.Lfunc_end252:
	.size	_ZN9rocsparseL20bsrxmvn_17_32_kernelILj29EfiiaafEEvT2_20rocsparse_direction_NS_24const_host_device_scalarIT0_EES1_PKS1_PKT1_SA_S7_PKT3_PKT4_S5_PT5_21rocsparse_index_base_b, .Lfunc_end252-_ZN9rocsparseL20bsrxmvn_17_32_kernelILj29EfiiaafEEvT2_20rocsparse_direction_NS_24const_host_device_scalarIT0_EES1_PKS1_PKT1_SA_S7_PKT3_PKT4_S5_PT5_21rocsparse_index_base_b
                                        ; -- End function
	.set _ZN9rocsparseL20bsrxmvn_17_32_kernelILj29EfiiaafEEvT2_20rocsparse_direction_NS_24const_host_device_scalarIT0_EES1_PKS1_PKT1_SA_S7_PKT3_PKT4_S5_PT5_21rocsparse_index_base_b.num_vgpr, 11
	.set _ZN9rocsparseL20bsrxmvn_17_32_kernelILj29EfiiaafEEvT2_20rocsparse_direction_NS_24const_host_device_scalarIT0_EES1_PKS1_PKT1_SA_S7_PKT3_PKT4_S5_PT5_21rocsparse_index_base_b.num_agpr, 0
	.set _ZN9rocsparseL20bsrxmvn_17_32_kernelILj29EfiiaafEEvT2_20rocsparse_direction_NS_24const_host_device_scalarIT0_EES1_PKS1_PKT1_SA_S7_PKT3_PKT4_S5_PT5_21rocsparse_index_base_b.numbered_sgpr, 22
	.set _ZN9rocsparseL20bsrxmvn_17_32_kernelILj29EfiiaafEEvT2_20rocsparse_direction_NS_24const_host_device_scalarIT0_EES1_PKS1_PKT1_SA_S7_PKT3_PKT4_S5_PT5_21rocsparse_index_base_b.num_named_barrier, 0
	.set _ZN9rocsparseL20bsrxmvn_17_32_kernelILj29EfiiaafEEvT2_20rocsparse_direction_NS_24const_host_device_scalarIT0_EES1_PKS1_PKT1_SA_S7_PKT3_PKT4_S5_PT5_21rocsparse_index_base_b.private_seg_size, 0
	.set _ZN9rocsparseL20bsrxmvn_17_32_kernelILj29EfiiaafEEvT2_20rocsparse_direction_NS_24const_host_device_scalarIT0_EES1_PKS1_PKT1_SA_S7_PKT3_PKT4_S5_PT5_21rocsparse_index_base_b.uses_vcc, 1
	.set _ZN9rocsparseL20bsrxmvn_17_32_kernelILj29EfiiaafEEvT2_20rocsparse_direction_NS_24const_host_device_scalarIT0_EES1_PKS1_PKT1_SA_S7_PKT3_PKT4_S5_PT5_21rocsparse_index_base_b.uses_flat_scratch, 0
	.set _ZN9rocsparseL20bsrxmvn_17_32_kernelILj29EfiiaafEEvT2_20rocsparse_direction_NS_24const_host_device_scalarIT0_EES1_PKS1_PKT1_SA_S7_PKT3_PKT4_S5_PT5_21rocsparse_index_base_b.has_dyn_sized_stack, 0
	.set _ZN9rocsparseL20bsrxmvn_17_32_kernelILj29EfiiaafEEvT2_20rocsparse_direction_NS_24const_host_device_scalarIT0_EES1_PKS1_PKT1_SA_S7_PKT3_PKT4_S5_PT5_21rocsparse_index_base_b.has_recursion, 0
	.set _ZN9rocsparseL20bsrxmvn_17_32_kernelILj29EfiiaafEEvT2_20rocsparse_direction_NS_24const_host_device_scalarIT0_EES1_PKS1_PKT1_SA_S7_PKT3_PKT4_S5_PT5_21rocsparse_index_base_b.has_indirect_call, 0
	.section	.AMDGPU.csdata,"",@progbits
; Kernel info:
; codeLenInByte = 1240
; TotalNumSgprs: 26
; NumVgprs: 11
; ScratchSize: 0
; MemoryBound: 0
; FloatMode: 240
; IeeeMode: 1
; LDSByteSize: 3364 bytes/workgroup (compile time only)
; SGPRBlocks: 10
; VGPRBlocks: 8
; NumSGPRsForWavesPerEU: 81
; NumVGPRsForWavesPerEU: 33
; Occupancy: 7
; WaveLimiterHint : 1
; COMPUTE_PGM_RSRC2:SCRATCH_EN: 0
; COMPUTE_PGM_RSRC2:USER_SGPR: 6
; COMPUTE_PGM_RSRC2:TRAP_HANDLER: 0
; COMPUTE_PGM_RSRC2:TGID_X_EN: 1
; COMPUTE_PGM_RSRC2:TGID_Y_EN: 0
; COMPUTE_PGM_RSRC2:TGID_Z_EN: 0
; COMPUTE_PGM_RSRC2:TIDIG_COMP_CNT: 0
	.section	.text._ZN9rocsparseL20bsrxmvn_17_32_kernelILj30EfiiaafEEvT2_20rocsparse_direction_NS_24const_host_device_scalarIT0_EES1_PKS1_PKT1_SA_S7_PKT3_PKT4_S5_PT5_21rocsparse_index_base_b,"axG",@progbits,_ZN9rocsparseL20bsrxmvn_17_32_kernelILj30EfiiaafEEvT2_20rocsparse_direction_NS_24const_host_device_scalarIT0_EES1_PKS1_PKT1_SA_S7_PKT3_PKT4_S5_PT5_21rocsparse_index_base_b,comdat
	.globl	_ZN9rocsparseL20bsrxmvn_17_32_kernelILj30EfiiaafEEvT2_20rocsparse_direction_NS_24const_host_device_scalarIT0_EES1_PKS1_PKT1_SA_S7_PKT3_PKT4_S5_PT5_21rocsparse_index_base_b ; -- Begin function _ZN9rocsparseL20bsrxmvn_17_32_kernelILj30EfiiaafEEvT2_20rocsparse_direction_NS_24const_host_device_scalarIT0_EES1_PKS1_PKT1_SA_S7_PKT3_PKT4_S5_PT5_21rocsparse_index_base_b
	.p2align	8
	.type	_ZN9rocsparseL20bsrxmvn_17_32_kernelILj30EfiiaafEEvT2_20rocsparse_direction_NS_24const_host_device_scalarIT0_EES1_PKS1_PKT1_SA_S7_PKT3_PKT4_S5_PT5_21rocsparse_index_base_b,@function
_ZN9rocsparseL20bsrxmvn_17_32_kernelILj30EfiiaafEEvT2_20rocsparse_direction_NS_24const_host_device_scalarIT0_EES1_PKS1_PKT1_SA_S7_PKT3_PKT4_S5_PT5_21rocsparse_index_base_b: ; @_ZN9rocsparseL20bsrxmvn_17_32_kernelILj30EfiiaafEEvT2_20rocsparse_direction_NS_24const_host_device_scalarIT0_EES1_PKS1_PKT1_SA_S7_PKT3_PKT4_S5_PT5_21rocsparse_index_base_b
; %bb.0:
	s_load_dwordx2 s[18:19], s[4:5], 0x58
	s_load_dwordx2 s[14:15], s[4:5], 0x8
	;; [unrolled: 1-line block ×3, first 2 shown]
	s_waitcnt lgkmcnt(0)
	s_bitcmp1_b32 s19, 0
	s_cselect_b64 s[2:3], -1, 0
	s_xor_b64 s[0:1], s[2:3], -1
	s_and_b64 vcc, exec, s[2:3]
	s_cbranch_vccnz .LBB253_2
; %bb.1:
	s_load_dword s14, s[14:15], 0x0
.LBB253_2:
	s_andn2_b64 vcc, exec, s[0:1]
	s_cbranch_vccnz .LBB253_4
; %bb.3:
	s_load_dword s12, s[12:13], 0x0
.LBB253_4:
	s_waitcnt lgkmcnt(0)
	v_cmp_neq_f32_e64 s[0:1], s14, 0
	v_cmp_neq_f32_e64 s[2:3], s12, 1.0
	s_or_b64 s[0:1], s[0:1], s[2:3]
	s_andn2_b64 vcc, exec, s[0:1]
	s_cbranch_vccnz .LBB253_40
; %bb.5:
	s_load_dwordx4 s[0:3], s[4:5], 0x18
	s_load_dwordx2 s[8:9], s[4:5], 0x28
	s_waitcnt lgkmcnt(0)
	s_cmp_eq_u64 s[0:1], 0
	s_cbranch_scc1 .LBB253_7
; %bb.6:
	s_ashr_i32 s7, s6, 31
	s_lshl_b64 s[6:7], s[6:7], 2
	s_add_u32 s0, s0, s6
	s_addc_u32 s1, s1, s7
	s_load_dword s0, s[0:1], 0x0
	s_waitcnt lgkmcnt(0)
	s_sub_i32 s6, s0, s18
.LBB253_7:
	s_load_dword s0, s[4:5], 0x4
	s_load_dwordx2 s[16:17], s[4:5], 0x50
	v_mul_u32_u24_e32 v1, 0x889, v0
	v_mov_b32_e32 v2, 30
	v_mul_lo_u16_sdwa v2, v1, v2 dst_sel:DWORD dst_unused:UNUSED_PAD src0_sel:WORD_1 src1_sel:DWORD
	s_waitcnt lgkmcnt(0)
	s_cmp_eq_u32 s0, 1
	s_cselect_b64 vcc, -1, 0
	s_cmp_lg_u32 s0, 1
	s_cselect_b64 s[20:21], -1, 0
	s_ashr_i32 s7, s6, 31
	s_lshl_b64 s[0:1], s[6:7], 2
	s_add_u32 s2, s2, s0
	s_addc_u32 s3, s3, s1
	s_load_dword s7, s[2:3], 0x0
	s_add_u32 s2, s2, 4
	s_addc_u32 s3, s3, 0
	s_add_u32 s0, s8, s0
	s_addc_u32 s1, s9, s1
	s_cmp_eq_u64 s[8:9], 0
	s_cselect_b32 s1, s3, s1
	s_cselect_b32 s0, s2, s0
	s_load_dword s0, s[0:1], 0x0
	v_sub_u16_e32 v7, v0, v2
	v_mov_b32_e32 v6, 0
	s_waitcnt lgkmcnt(0)
	s_cmp_ge_i32 s7, s0
	s_cbranch_scc1 .LBB253_12
; %bb.8:
	s_load_dwordx4 s[8:11], s[4:5], 0x30
	s_load_dwordx2 s[2:3], s[4:5], 0x40
	s_sub_i32 s4, s0, s18
	s_mov_b32 s0, 0xffff
	s_movk_i32 s1, 0x384
	v_and_b32_sdwa v1, s0, v1 dst_sel:DWORD dst_unused:UNUSED_PAD src0_sel:DWORD src1_sel:WORD_1
	v_subrev_u32_e32 v2, 30, v1
	v_cmp_gt_u32_e64 s[0:1], s1, v0
	s_sub_i32 s5, s7, s18
	v_cndmask_b32_e64 v1, v2, v1, s[0:1]
	s_mul_i32 s1, s5, 0x384
	s_mul_hi_i32 s0, s5, 0x384
	s_waitcnt lgkmcnt(0)
	s_add_u32 s1, s10, s1
	s_addc_u32 s0, s11, s0
	v_cndmask_b32_e32 v1, v7, v1, vcc
	v_mov_b32_e32 v3, s0
	v_add_co_u32_e32 v2, vcc, s1, v0
	v_addc_co_u32_e32 v3, vcc, 0, v3, vcc
	s_movk_i32 s0, 0x383
	v_cmp_lt_u32_e32 vcc, s0, v0
	v_mov_b32_e32 v6, 0
	v_cndmask_b32_e64 v8, 0, 1, vcc
	s_branch .LBB253_10
.LBB253_9:                              ;   in Loop: Header=BB253_10 Depth=1
	s_or_b64 exec, exec, s[0:1]
	s_add_i32 s5, s5, 1
	s_cmp_lt_i32 s5, s4
	s_cbranch_scc0 .LBB253_12
.LBB253_10:                             ; =>This Inner Loop Header: Depth=1
	v_add_u32_e32 v4, s5, v8
	v_cmp_gt_i32_e32 vcc, s4, v4
	s_and_saveexec_b64 s[0:1], vcc
	s_cbranch_execz .LBB253_9
; %bb.11:                               ;   in Loop: Header=BB253_10 Depth=1
	v_ashrrev_i32_e32 v5, 31, v4
	v_lshlrev_b64 v[4:5], 2, v[4:5]
	v_mov_b32_e32 v9, s9
	v_add_co_u32_e32 v4, vcc, s8, v4
	v_addc_co_u32_e32 v5, vcc, v9, v5, vcc
	global_load_dword v4, v[4:5], off
	s_waitcnt vmcnt(0)
	v_subrev_u32_e32 v4, s18, v4
	v_mad_u64_u32 v[4:5], s[10:11], v4, 30, v[1:2]
	v_mov_b32_e32 v5, s3
	global_load_sbyte v9, v[2:3], off
	v_ashrrev_i32_e32 v10, 31, v4
	v_add_co_u32_e32 v4, vcc, s2, v4
	v_addc_co_u32_e32 v5, vcc, v5, v10, vcc
	global_load_sbyte v4, v[4:5], off
	v_add_co_u32_e32 v2, vcc, 0x384, v2
	v_addc_co_u32_e32 v3, vcc, 0, v3, vcc
	s_waitcnt vmcnt(1)
	v_cvt_f32_i32_e32 v5, v9
	s_waitcnt vmcnt(0)
	v_cvt_f32_i32_e32 v4, v4
	v_fmac_f32_e32 v6, v5, v4
	s_branch .LBB253_9
.LBB253_12:
	v_lshlrev_b32_e32 v1, 2, v0
	s_and_b64 vcc, exec, s[20:21]
	ds_write_b32 v1, v6
	s_waitcnt lgkmcnt(0)
	s_barrier
	s_cbranch_vccz .LBB253_24
; %bb.13:
	v_cmp_gt_u16_e32 vcc, 14, v7
	s_and_saveexec_b64 s[0:1], vcc
	s_cbranch_execz .LBB253_15
; %bb.14:
	ds_read2_b32 v[2:3], v1 offset1:16
	s_waitcnt lgkmcnt(0)
	v_add_f32_e32 v2, v3, v2
	ds_write_b32 v1, v2
.LBB253_15:
	s_or_b64 exec, exec, s[0:1]
	v_cmp_gt_u16_e32 vcc, 8, v7
	s_waitcnt lgkmcnt(0)
	s_barrier
	s_and_saveexec_b64 s[0:1], vcc
	s_cbranch_execz .LBB253_17
; %bb.16:
	ds_read2_b32 v[2:3], v1 offset1:8
	s_waitcnt lgkmcnt(0)
	v_add_f32_e32 v2, v3, v2
	ds_write_b32 v1, v2
.LBB253_17:
	s_or_b64 exec, exec, s[0:1]
	v_cmp_gt_u16_e32 vcc, 4, v7
	s_waitcnt lgkmcnt(0)
	s_barrier
	;; [unrolled: 12-line block ×3, first 2 shown]
	s_and_saveexec_b64 s[0:1], vcc
	s_cbranch_execz .LBB253_21
; %bb.20:
	ds_read2_b32 v[2:3], v1 offset1:2
	s_waitcnt lgkmcnt(0)
	v_add_f32_e32 v2, v3, v2
	ds_write_b32 v1, v2
.LBB253_21:
	s_or_b64 exec, exec, s[0:1]
	v_cmp_gt_u32_e32 vcc, 30, v0
	v_mov_b32_e32 v2, v6
	s_waitcnt lgkmcnt(0)
	s_barrier
	s_and_saveexec_b64 s[0:1], vcc
	s_cbranch_execz .LBB253_23
; %bb.22:
	s_movk_i32 s2, 0x74
	v_mad_u32_u24 v2, v0, s2, v1
	ds_read_b64 v[2:3], v2
	s_waitcnt lgkmcnt(0)
	v_add_f32_e32 v2, v2, v3
.LBB253_23:
	s_or_b64 exec, exec, s[0:1]
	s_branch .LBB253_36
.LBB253_24:
                                        ; implicit-def: $vgpr2
	s_cbranch_execz .LBB253_36
; %bb.25:
	s_movk_i32 s0, 0x1a4
	v_cmp_gt_u32_e32 vcc, s0, v0
	s_and_saveexec_b64 s[0:1], vcc
	s_cbranch_execz .LBB253_27
; %bb.26:
	ds_read_b32 v2, v1 offset:1920
	ds_read_b32 v3, v1
	s_waitcnt lgkmcnt(0)
	v_add_f32_e32 v2, v2, v3
	ds_write_b32 v1, v2
.LBB253_27:
	s_or_b64 exec, exec, s[0:1]
	s_movk_i32 s0, 0xf0
	v_cmp_gt_u32_e32 vcc, s0, v0
	s_waitcnt lgkmcnt(0)
	s_barrier
	s_and_saveexec_b64 s[0:1], vcc
	s_cbranch_execz .LBB253_29
; %bb.28:
	ds_read2_b32 v[2:3], v1 offset1:240
	s_waitcnt lgkmcnt(0)
	v_add_f32_e32 v2, v3, v2
	ds_write_b32 v1, v2
.LBB253_29:
	s_or_b64 exec, exec, s[0:1]
	s_movk_i32 s0, 0x78
	v_cmp_gt_u32_e32 vcc, s0, v0
	s_waitcnt lgkmcnt(0)
	s_barrier
	s_and_saveexec_b64 s[0:1], vcc
	s_cbranch_execz .LBB253_31
; %bb.30:
	ds_read2_b32 v[2:3], v1 offset1:120
	s_waitcnt lgkmcnt(0)
	v_add_f32_e32 v2, v3, v2
	ds_write_b32 v1, v2
.LBB253_31:
	s_or_b64 exec, exec, s[0:1]
	v_cmp_gt_u32_e32 vcc, 60, v0
	s_waitcnt lgkmcnt(0)
	s_barrier
	s_and_saveexec_b64 s[0:1], vcc
	s_cbranch_execz .LBB253_33
; %bb.32:
	ds_read2_b32 v[2:3], v1 offset1:60
	s_waitcnt lgkmcnt(0)
	v_add_f32_e32 v2, v3, v2
	ds_write_b32 v1, v2
.LBB253_33:
	s_or_b64 exec, exec, s[0:1]
	v_cmp_gt_u32_e32 vcc, 30, v0
	s_waitcnt lgkmcnt(0)
	s_and_saveexec_b64 s[0:1], vcc
	s_cbranch_execz .LBB253_35
; %bb.34:
	ds_read2_b32 v[1:2], v1 offset1:30
	s_waitcnt lgkmcnt(0)
	v_add_f32_e32 v6, v1, v2
.LBB253_35:
	s_or_b64 exec, exec, s[0:1]
	v_mov_b32_e32 v2, v6
.LBB253_36:
	v_cmp_gt_u32_e32 vcc, 30, v0
	s_and_saveexec_b64 s[0:1], vcc
	s_cbranch_execz .LBB253_40
; %bb.37:
	v_cmp_eq_f32_e64 s[0:1], s12, 0
	s_and_b64 vcc, exec, s[0:1]
	v_mul_f32_e32 v1, s14, v2
	s_cbranch_vccz .LBB253_41
; %bb.38:
	v_mad_u64_u32 v[2:3], s[0:1], s6, 30, v[0:1]
	v_mov_b32_e32 v3, 0
	v_mov_b32_e32 v4, s17
	v_lshlrev_b64 v[2:3], 2, v[2:3]
	v_add_co_u32_e32 v2, vcc, s16, v2
	v_addc_co_u32_e32 v3, vcc, v4, v3, vcc
	global_store_dword v[2:3], v1, off
	s_cbranch_execnz .LBB253_40
.LBB253_39:
	v_mad_u64_u32 v[2:3], s[0:1], s6, 30, v[0:1]
	v_mov_b32_e32 v3, 0
	v_mov_b32_e32 v0, s17
	v_lshlrev_b64 v[2:3], 2, v[2:3]
	v_add_co_u32_e32 v2, vcc, s16, v2
	v_addc_co_u32_e32 v3, vcc, v0, v3, vcc
	global_load_dword v0, v[2:3], off
	s_waitcnt vmcnt(0)
	v_fmac_f32_e32 v1, s12, v0
	global_store_dword v[2:3], v1, off
.LBB253_40:
	s_endpgm
.LBB253_41:
	s_branch .LBB253_39
	.section	.rodata,"a",@progbits
	.p2align	6, 0x0
	.amdhsa_kernel _ZN9rocsparseL20bsrxmvn_17_32_kernelILj30EfiiaafEEvT2_20rocsparse_direction_NS_24const_host_device_scalarIT0_EES1_PKS1_PKT1_SA_S7_PKT3_PKT4_S5_PT5_21rocsparse_index_base_b
		.amdhsa_group_segment_fixed_size 3600
		.amdhsa_private_segment_fixed_size 0
		.amdhsa_kernarg_size 96
		.amdhsa_user_sgpr_count 6
		.amdhsa_user_sgpr_private_segment_buffer 1
		.amdhsa_user_sgpr_dispatch_ptr 0
		.amdhsa_user_sgpr_queue_ptr 0
		.amdhsa_user_sgpr_kernarg_segment_ptr 1
		.amdhsa_user_sgpr_dispatch_id 0
		.amdhsa_user_sgpr_flat_scratch_init 0
		.amdhsa_user_sgpr_private_segment_size 0
		.amdhsa_uses_dynamic_stack 0
		.amdhsa_system_sgpr_private_segment_wavefront_offset 0
		.amdhsa_system_sgpr_workgroup_id_x 1
		.amdhsa_system_sgpr_workgroup_id_y 0
		.amdhsa_system_sgpr_workgroup_id_z 0
		.amdhsa_system_sgpr_workgroup_info 0
		.amdhsa_system_vgpr_workitem_id 0
		.amdhsa_next_free_vgpr 29
		.amdhsa_next_free_sgpr 61
		.amdhsa_reserve_vcc 1
		.amdhsa_reserve_flat_scratch 0
		.amdhsa_float_round_mode_32 0
		.amdhsa_float_round_mode_16_64 0
		.amdhsa_float_denorm_mode_32 3
		.amdhsa_float_denorm_mode_16_64 3
		.amdhsa_dx10_clamp 1
		.amdhsa_ieee_mode 1
		.amdhsa_fp16_overflow 0
		.amdhsa_exception_fp_ieee_invalid_op 0
		.amdhsa_exception_fp_denorm_src 0
		.amdhsa_exception_fp_ieee_div_zero 0
		.amdhsa_exception_fp_ieee_overflow 0
		.amdhsa_exception_fp_ieee_underflow 0
		.amdhsa_exception_fp_ieee_inexact 0
		.amdhsa_exception_int_div_zero 0
	.end_amdhsa_kernel
	.section	.text._ZN9rocsparseL20bsrxmvn_17_32_kernelILj30EfiiaafEEvT2_20rocsparse_direction_NS_24const_host_device_scalarIT0_EES1_PKS1_PKT1_SA_S7_PKT3_PKT4_S5_PT5_21rocsparse_index_base_b,"axG",@progbits,_ZN9rocsparseL20bsrxmvn_17_32_kernelILj30EfiiaafEEvT2_20rocsparse_direction_NS_24const_host_device_scalarIT0_EES1_PKS1_PKT1_SA_S7_PKT3_PKT4_S5_PT5_21rocsparse_index_base_b,comdat
.Lfunc_end253:
	.size	_ZN9rocsparseL20bsrxmvn_17_32_kernelILj30EfiiaafEEvT2_20rocsparse_direction_NS_24const_host_device_scalarIT0_EES1_PKS1_PKT1_SA_S7_PKT3_PKT4_S5_PT5_21rocsparse_index_base_b, .Lfunc_end253-_ZN9rocsparseL20bsrxmvn_17_32_kernelILj30EfiiaafEEvT2_20rocsparse_direction_NS_24const_host_device_scalarIT0_EES1_PKS1_PKT1_SA_S7_PKT3_PKT4_S5_PT5_21rocsparse_index_base_b
                                        ; -- End function
	.set _ZN9rocsparseL20bsrxmvn_17_32_kernelILj30EfiiaafEEvT2_20rocsparse_direction_NS_24const_host_device_scalarIT0_EES1_PKS1_PKT1_SA_S7_PKT3_PKT4_S5_PT5_21rocsparse_index_base_b.num_vgpr, 11
	.set _ZN9rocsparseL20bsrxmvn_17_32_kernelILj30EfiiaafEEvT2_20rocsparse_direction_NS_24const_host_device_scalarIT0_EES1_PKS1_PKT1_SA_S7_PKT3_PKT4_S5_PT5_21rocsparse_index_base_b.num_agpr, 0
	.set _ZN9rocsparseL20bsrxmvn_17_32_kernelILj30EfiiaafEEvT2_20rocsparse_direction_NS_24const_host_device_scalarIT0_EES1_PKS1_PKT1_SA_S7_PKT3_PKT4_S5_PT5_21rocsparse_index_base_b.numbered_sgpr, 22
	.set _ZN9rocsparseL20bsrxmvn_17_32_kernelILj30EfiiaafEEvT2_20rocsparse_direction_NS_24const_host_device_scalarIT0_EES1_PKS1_PKT1_SA_S7_PKT3_PKT4_S5_PT5_21rocsparse_index_base_b.num_named_barrier, 0
	.set _ZN9rocsparseL20bsrxmvn_17_32_kernelILj30EfiiaafEEvT2_20rocsparse_direction_NS_24const_host_device_scalarIT0_EES1_PKS1_PKT1_SA_S7_PKT3_PKT4_S5_PT5_21rocsparse_index_base_b.private_seg_size, 0
	.set _ZN9rocsparseL20bsrxmvn_17_32_kernelILj30EfiiaafEEvT2_20rocsparse_direction_NS_24const_host_device_scalarIT0_EES1_PKS1_PKT1_SA_S7_PKT3_PKT4_S5_PT5_21rocsparse_index_base_b.uses_vcc, 1
	.set _ZN9rocsparseL20bsrxmvn_17_32_kernelILj30EfiiaafEEvT2_20rocsparse_direction_NS_24const_host_device_scalarIT0_EES1_PKS1_PKT1_SA_S7_PKT3_PKT4_S5_PT5_21rocsparse_index_base_b.uses_flat_scratch, 0
	.set _ZN9rocsparseL20bsrxmvn_17_32_kernelILj30EfiiaafEEvT2_20rocsparse_direction_NS_24const_host_device_scalarIT0_EES1_PKS1_PKT1_SA_S7_PKT3_PKT4_S5_PT5_21rocsparse_index_base_b.has_dyn_sized_stack, 0
	.set _ZN9rocsparseL20bsrxmvn_17_32_kernelILj30EfiiaafEEvT2_20rocsparse_direction_NS_24const_host_device_scalarIT0_EES1_PKS1_PKT1_SA_S7_PKT3_PKT4_S5_PT5_21rocsparse_index_base_b.has_recursion, 0
	.set _ZN9rocsparseL20bsrxmvn_17_32_kernelILj30EfiiaafEEvT2_20rocsparse_direction_NS_24const_host_device_scalarIT0_EES1_PKS1_PKT1_SA_S7_PKT3_PKT4_S5_PT5_21rocsparse_index_base_b.has_indirect_call, 0
	.section	.AMDGPU.csdata,"",@progbits
; Kernel info:
; codeLenInByte = 1240
; TotalNumSgprs: 26
; NumVgprs: 11
; ScratchSize: 0
; MemoryBound: 0
; FloatMode: 240
; IeeeMode: 1
; LDSByteSize: 3600 bytes/workgroup (compile time only)
; SGPRBlocks: 8
; VGPRBlocks: 7
; NumSGPRsForWavesPerEU: 65
; NumVGPRsForWavesPerEU: 29
; Occupancy: 8
; WaveLimiterHint : 1
; COMPUTE_PGM_RSRC2:SCRATCH_EN: 0
; COMPUTE_PGM_RSRC2:USER_SGPR: 6
; COMPUTE_PGM_RSRC2:TRAP_HANDLER: 0
; COMPUTE_PGM_RSRC2:TGID_X_EN: 1
; COMPUTE_PGM_RSRC2:TGID_Y_EN: 0
; COMPUTE_PGM_RSRC2:TGID_Z_EN: 0
; COMPUTE_PGM_RSRC2:TIDIG_COMP_CNT: 0
	.section	.text._ZN9rocsparseL20bsrxmvn_17_32_kernelILj31EfiiaafEEvT2_20rocsparse_direction_NS_24const_host_device_scalarIT0_EES1_PKS1_PKT1_SA_S7_PKT3_PKT4_S5_PT5_21rocsparse_index_base_b,"axG",@progbits,_ZN9rocsparseL20bsrxmvn_17_32_kernelILj31EfiiaafEEvT2_20rocsparse_direction_NS_24const_host_device_scalarIT0_EES1_PKS1_PKT1_SA_S7_PKT3_PKT4_S5_PT5_21rocsparse_index_base_b,comdat
	.globl	_ZN9rocsparseL20bsrxmvn_17_32_kernelILj31EfiiaafEEvT2_20rocsparse_direction_NS_24const_host_device_scalarIT0_EES1_PKS1_PKT1_SA_S7_PKT3_PKT4_S5_PT5_21rocsparse_index_base_b ; -- Begin function _ZN9rocsparseL20bsrxmvn_17_32_kernelILj31EfiiaafEEvT2_20rocsparse_direction_NS_24const_host_device_scalarIT0_EES1_PKS1_PKT1_SA_S7_PKT3_PKT4_S5_PT5_21rocsparse_index_base_b
	.p2align	8
	.type	_ZN9rocsparseL20bsrxmvn_17_32_kernelILj31EfiiaafEEvT2_20rocsparse_direction_NS_24const_host_device_scalarIT0_EES1_PKS1_PKT1_SA_S7_PKT3_PKT4_S5_PT5_21rocsparse_index_base_b,@function
_ZN9rocsparseL20bsrxmvn_17_32_kernelILj31EfiiaafEEvT2_20rocsparse_direction_NS_24const_host_device_scalarIT0_EES1_PKS1_PKT1_SA_S7_PKT3_PKT4_S5_PT5_21rocsparse_index_base_b: ; @_ZN9rocsparseL20bsrxmvn_17_32_kernelILj31EfiiaafEEvT2_20rocsparse_direction_NS_24const_host_device_scalarIT0_EES1_PKS1_PKT1_SA_S7_PKT3_PKT4_S5_PT5_21rocsparse_index_base_b
; %bb.0:
	s_load_dwordx2 s[18:19], s[4:5], 0x58
	s_load_dwordx2 s[14:15], s[4:5], 0x8
	s_load_dwordx2 s[12:13], s[4:5], 0x48
	s_waitcnt lgkmcnt(0)
	s_bitcmp1_b32 s19, 0
	s_cselect_b64 s[2:3], -1, 0
	s_xor_b64 s[0:1], s[2:3], -1
	s_and_b64 vcc, exec, s[2:3]
	s_cbranch_vccnz .LBB254_2
; %bb.1:
	s_load_dword s14, s[14:15], 0x0
.LBB254_2:
	s_andn2_b64 vcc, exec, s[0:1]
	s_cbranch_vccnz .LBB254_4
; %bb.3:
	s_load_dword s12, s[12:13], 0x0
.LBB254_4:
	s_waitcnt lgkmcnt(0)
	v_cmp_neq_f32_e64 s[0:1], s14, 0
	v_cmp_neq_f32_e64 s[2:3], s12, 1.0
	s_or_b64 s[0:1], s[0:1], s[2:3]
	s_andn2_b64 vcc, exec, s[0:1]
	s_cbranch_vccnz .LBB254_40
; %bb.5:
	s_load_dwordx4 s[0:3], s[4:5], 0x18
	s_load_dwordx2 s[8:9], s[4:5], 0x28
	s_waitcnt lgkmcnt(0)
	s_cmp_eq_u64 s[0:1], 0
	s_cbranch_scc1 .LBB254_7
; %bb.6:
	s_ashr_i32 s7, s6, 31
	s_lshl_b64 s[6:7], s[6:7], 2
	s_add_u32 s0, s0, s6
	s_addc_u32 s1, s1, s7
	s_load_dword s0, s[0:1], 0x0
	s_waitcnt lgkmcnt(0)
	s_sub_i32 s6, s0, s18
.LBB254_7:
	s_load_dword s0, s[4:5], 0x4
	s_load_dwordx2 s[16:17], s[4:5], 0x50
	v_mul_u32_u24_e32 v1, 0x843, v0
	v_mov_b32_e32 v2, 31
	v_mul_lo_u16_sdwa v2, v1, v2 dst_sel:DWORD dst_unused:UNUSED_PAD src0_sel:WORD_1 src1_sel:DWORD
	s_waitcnt lgkmcnt(0)
	s_cmp_eq_u32 s0, 1
	s_cselect_b64 vcc, -1, 0
	s_cmp_lg_u32 s0, 1
	s_cselect_b64 s[20:21], -1, 0
	s_ashr_i32 s7, s6, 31
	s_lshl_b64 s[0:1], s[6:7], 2
	s_add_u32 s2, s2, s0
	s_addc_u32 s3, s3, s1
	s_load_dword s7, s[2:3], 0x0
	s_add_u32 s2, s2, 4
	s_addc_u32 s3, s3, 0
	s_add_u32 s0, s8, s0
	s_addc_u32 s1, s9, s1
	s_cmp_eq_u64 s[8:9], 0
	s_cselect_b32 s1, s3, s1
	s_cselect_b32 s0, s2, s0
	s_load_dword s0, s[0:1], 0x0
	v_sub_u16_e32 v7, v0, v2
	v_mov_b32_e32 v6, 0
	s_waitcnt lgkmcnt(0)
	s_cmp_ge_i32 s7, s0
	s_cbranch_scc1 .LBB254_12
; %bb.8:
	s_load_dwordx4 s[8:11], s[4:5], 0x30
	s_load_dwordx2 s[2:3], s[4:5], 0x40
	s_sub_i32 s4, s0, s18
	s_mov_b32 s0, 0xffff
	s_movk_i32 s1, 0x3c1
	v_and_b32_sdwa v1, s0, v1 dst_sel:DWORD dst_unused:UNUSED_PAD src0_sel:DWORD src1_sel:WORD_1
	v_subrev_u32_e32 v2, 31, v1
	v_cmp_gt_u32_e64 s[0:1], s1, v0
	s_sub_i32 s5, s7, s18
	v_cndmask_b32_e64 v1, v2, v1, s[0:1]
	s_mul_i32 s1, s5, 0x3c1
	s_mul_hi_i32 s0, s5, 0x3c1
	s_waitcnt lgkmcnt(0)
	s_add_u32 s1, s10, s1
	s_addc_u32 s0, s11, s0
	v_cndmask_b32_e32 v1, v7, v1, vcc
	v_mov_b32_e32 v3, s0
	v_add_co_u32_e32 v2, vcc, s1, v0
	v_addc_co_u32_e32 v3, vcc, 0, v3, vcc
	s_movk_i32 s0, 0x3c0
	v_cmp_lt_u32_e32 vcc, s0, v0
	v_mov_b32_e32 v6, 0
	v_cndmask_b32_e64 v8, 0, 1, vcc
	s_branch .LBB254_10
.LBB254_9:                              ;   in Loop: Header=BB254_10 Depth=1
	s_or_b64 exec, exec, s[0:1]
	s_add_i32 s5, s5, 1
	s_cmp_lt_i32 s5, s4
	s_cbranch_scc0 .LBB254_12
.LBB254_10:                             ; =>This Inner Loop Header: Depth=1
	v_add_u32_e32 v4, s5, v8
	v_cmp_gt_i32_e32 vcc, s4, v4
	s_and_saveexec_b64 s[0:1], vcc
	s_cbranch_execz .LBB254_9
; %bb.11:                               ;   in Loop: Header=BB254_10 Depth=1
	v_ashrrev_i32_e32 v5, 31, v4
	v_lshlrev_b64 v[4:5], 2, v[4:5]
	v_mov_b32_e32 v9, s9
	v_add_co_u32_e32 v4, vcc, s8, v4
	v_addc_co_u32_e32 v5, vcc, v9, v5, vcc
	global_load_dword v4, v[4:5], off
	s_waitcnt vmcnt(0)
	v_subrev_u32_e32 v4, s18, v4
	v_mad_u64_u32 v[4:5], s[10:11], v4, 31, v[1:2]
	v_mov_b32_e32 v5, s3
	global_load_sbyte v9, v[2:3], off
	v_ashrrev_i32_e32 v10, 31, v4
	v_add_co_u32_e32 v4, vcc, s2, v4
	v_addc_co_u32_e32 v5, vcc, v5, v10, vcc
	global_load_sbyte v4, v[4:5], off
	v_add_co_u32_e32 v2, vcc, 0x3c1, v2
	v_addc_co_u32_e32 v3, vcc, 0, v3, vcc
	s_waitcnt vmcnt(1)
	v_cvt_f32_i32_e32 v5, v9
	s_waitcnt vmcnt(0)
	v_cvt_f32_i32_e32 v4, v4
	v_fmac_f32_e32 v6, v5, v4
	s_branch .LBB254_9
.LBB254_12:
	v_lshlrev_b32_e32 v1, 2, v0
	s_and_b64 vcc, exec, s[20:21]
	ds_write_b32 v1, v6
	s_waitcnt lgkmcnt(0)
	s_barrier
	s_cbranch_vccz .LBB254_24
; %bb.13:
	v_cmp_gt_u16_e32 vcc, 15, v7
	s_and_saveexec_b64 s[0:1], vcc
	s_cbranch_execz .LBB254_15
; %bb.14:
	ds_read2_b32 v[2:3], v1 offset1:16
	s_waitcnt lgkmcnt(0)
	v_add_f32_e32 v2, v3, v2
	ds_write_b32 v1, v2
.LBB254_15:
	s_or_b64 exec, exec, s[0:1]
	v_cmp_gt_u16_e32 vcc, 8, v7
	s_waitcnt lgkmcnt(0)
	s_barrier
	s_and_saveexec_b64 s[0:1], vcc
	s_cbranch_execz .LBB254_17
; %bb.16:
	ds_read2_b32 v[2:3], v1 offset1:8
	s_waitcnt lgkmcnt(0)
	v_add_f32_e32 v2, v3, v2
	ds_write_b32 v1, v2
.LBB254_17:
	s_or_b64 exec, exec, s[0:1]
	v_cmp_gt_u16_e32 vcc, 4, v7
	s_waitcnt lgkmcnt(0)
	s_barrier
	;; [unrolled: 12-line block ×3, first 2 shown]
	s_and_saveexec_b64 s[0:1], vcc
	s_cbranch_execz .LBB254_21
; %bb.20:
	ds_read2_b32 v[2:3], v1 offset1:2
	s_waitcnt lgkmcnt(0)
	v_add_f32_e32 v2, v3, v2
	ds_write_b32 v1, v2
.LBB254_21:
	s_or_b64 exec, exec, s[0:1]
	v_cmp_gt_u32_e32 vcc, 31, v0
	v_mov_b32_e32 v2, v6
	s_waitcnt lgkmcnt(0)
	s_barrier
	s_and_saveexec_b64 s[0:1], vcc
	s_cbranch_execz .LBB254_23
; %bb.22:
	s_movk_i32 s2, 0x78
	v_mad_u32_u24 v2, v0, s2, v1
	ds_read2_b32 v[2:3], v2 offset1:1
	s_waitcnt lgkmcnt(0)
	v_add_f32_e32 v2, v2, v3
.LBB254_23:
	s_or_b64 exec, exec, s[0:1]
	s_branch .LBB254_36
.LBB254_24:
                                        ; implicit-def: $vgpr2
	s_cbranch_execz .LBB254_36
; %bb.25:
	s_movk_i32 s0, 0x1d1
	v_cmp_gt_u32_e32 vcc, s0, v0
	s_and_saveexec_b64 s[0:1], vcc
	s_cbranch_execz .LBB254_27
; %bb.26:
	ds_read_b32 v2, v1 offset:1984
	ds_read_b32 v3, v1
	s_waitcnt lgkmcnt(0)
	v_add_f32_e32 v2, v2, v3
	ds_write_b32 v1, v2
.LBB254_27:
	s_or_b64 exec, exec, s[0:1]
	s_movk_i32 s0, 0xf8
	v_cmp_gt_u32_e32 vcc, s0, v0
	s_waitcnt lgkmcnt(0)
	s_barrier
	s_and_saveexec_b64 s[0:1], vcc
	s_cbranch_execz .LBB254_29
; %bb.28:
	ds_read2_b32 v[2:3], v1 offset1:248
	s_waitcnt lgkmcnt(0)
	v_add_f32_e32 v2, v3, v2
	ds_write_b32 v1, v2
.LBB254_29:
	s_or_b64 exec, exec, s[0:1]
	s_movk_i32 s0, 0x7c
	v_cmp_gt_u32_e32 vcc, s0, v0
	s_waitcnt lgkmcnt(0)
	s_barrier
	s_and_saveexec_b64 s[0:1], vcc
	s_cbranch_execz .LBB254_31
; %bb.30:
	ds_read2_b32 v[2:3], v1 offset1:124
	s_waitcnt lgkmcnt(0)
	v_add_f32_e32 v2, v3, v2
	ds_write_b32 v1, v2
.LBB254_31:
	s_or_b64 exec, exec, s[0:1]
	v_cmp_gt_u32_e32 vcc, 62, v0
	s_waitcnt lgkmcnt(0)
	s_barrier
	s_and_saveexec_b64 s[0:1], vcc
	s_cbranch_execz .LBB254_33
; %bb.32:
	ds_read2_b32 v[2:3], v1 offset1:62
	s_waitcnt lgkmcnt(0)
	v_add_f32_e32 v2, v3, v2
	ds_write_b32 v1, v2
.LBB254_33:
	s_or_b64 exec, exec, s[0:1]
	v_cmp_gt_u32_e32 vcc, 31, v0
	s_waitcnt lgkmcnt(0)
	s_and_saveexec_b64 s[0:1], vcc
	s_cbranch_execz .LBB254_35
; %bb.34:
	ds_read2_b32 v[1:2], v1 offset1:31
	s_waitcnt lgkmcnt(0)
	v_add_f32_e32 v6, v1, v2
.LBB254_35:
	s_or_b64 exec, exec, s[0:1]
	v_mov_b32_e32 v2, v6
.LBB254_36:
	v_cmp_gt_u32_e32 vcc, 31, v0
	s_and_saveexec_b64 s[0:1], vcc
	s_cbranch_execz .LBB254_40
; %bb.37:
	v_cmp_eq_f32_e64 s[0:1], s12, 0
	s_and_b64 vcc, exec, s[0:1]
	v_mul_f32_e32 v1, s14, v2
	s_cbranch_vccz .LBB254_41
; %bb.38:
	v_mad_u64_u32 v[2:3], s[0:1], s6, 31, v[0:1]
	v_mov_b32_e32 v3, 0
	v_mov_b32_e32 v4, s17
	v_lshlrev_b64 v[2:3], 2, v[2:3]
	v_add_co_u32_e32 v2, vcc, s16, v2
	v_addc_co_u32_e32 v3, vcc, v4, v3, vcc
	global_store_dword v[2:3], v1, off
	s_cbranch_execnz .LBB254_40
.LBB254_39:
	v_mad_u64_u32 v[2:3], s[0:1], s6, 31, v[0:1]
	v_mov_b32_e32 v3, 0
	v_mov_b32_e32 v0, s17
	v_lshlrev_b64 v[2:3], 2, v[2:3]
	v_add_co_u32_e32 v2, vcc, s16, v2
	v_addc_co_u32_e32 v3, vcc, v0, v3, vcc
	global_load_dword v0, v[2:3], off
	s_waitcnt vmcnt(0)
	v_fmac_f32_e32 v1, s12, v0
	global_store_dword v[2:3], v1, off
.LBB254_40:
	s_endpgm
.LBB254_41:
	s_branch .LBB254_39
	.section	.rodata,"a",@progbits
	.p2align	6, 0x0
	.amdhsa_kernel _ZN9rocsparseL20bsrxmvn_17_32_kernelILj31EfiiaafEEvT2_20rocsparse_direction_NS_24const_host_device_scalarIT0_EES1_PKS1_PKT1_SA_S7_PKT3_PKT4_S5_PT5_21rocsparse_index_base_b
		.amdhsa_group_segment_fixed_size 3844
		.amdhsa_private_segment_fixed_size 0
		.amdhsa_kernarg_size 96
		.amdhsa_user_sgpr_count 6
		.amdhsa_user_sgpr_private_segment_buffer 1
		.amdhsa_user_sgpr_dispatch_ptr 0
		.amdhsa_user_sgpr_queue_ptr 0
		.amdhsa_user_sgpr_kernarg_segment_ptr 1
		.amdhsa_user_sgpr_dispatch_id 0
		.amdhsa_user_sgpr_flat_scratch_init 0
		.amdhsa_user_sgpr_private_segment_size 0
		.amdhsa_uses_dynamic_stack 0
		.amdhsa_system_sgpr_private_segment_wavefront_offset 0
		.amdhsa_system_sgpr_workgroup_id_x 1
		.amdhsa_system_sgpr_workgroup_id_y 0
		.amdhsa_system_sgpr_workgroup_id_z 0
		.amdhsa_system_sgpr_workgroup_info 0
		.amdhsa_system_vgpr_workitem_id 0
		.amdhsa_next_free_vgpr 29
		.amdhsa_next_free_sgpr 61
		.amdhsa_reserve_vcc 1
		.amdhsa_reserve_flat_scratch 0
		.amdhsa_float_round_mode_32 0
		.amdhsa_float_round_mode_16_64 0
		.amdhsa_float_denorm_mode_32 3
		.amdhsa_float_denorm_mode_16_64 3
		.amdhsa_dx10_clamp 1
		.amdhsa_ieee_mode 1
		.amdhsa_fp16_overflow 0
		.amdhsa_exception_fp_ieee_invalid_op 0
		.amdhsa_exception_fp_denorm_src 0
		.amdhsa_exception_fp_ieee_div_zero 0
		.amdhsa_exception_fp_ieee_overflow 0
		.amdhsa_exception_fp_ieee_underflow 0
		.amdhsa_exception_fp_ieee_inexact 0
		.amdhsa_exception_int_div_zero 0
	.end_amdhsa_kernel
	.section	.text._ZN9rocsparseL20bsrxmvn_17_32_kernelILj31EfiiaafEEvT2_20rocsparse_direction_NS_24const_host_device_scalarIT0_EES1_PKS1_PKT1_SA_S7_PKT3_PKT4_S5_PT5_21rocsparse_index_base_b,"axG",@progbits,_ZN9rocsparseL20bsrxmvn_17_32_kernelILj31EfiiaafEEvT2_20rocsparse_direction_NS_24const_host_device_scalarIT0_EES1_PKS1_PKT1_SA_S7_PKT3_PKT4_S5_PT5_21rocsparse_index_base_b,comdat
.Lfunc_end254:
	.size	_ZN9rocsparseL20bsrxmvn_17_32_kernelILj31EfiiaafEEvT2_20rocsparse_direction_NS_24const_host_device_scalarIT0_EES1_PKS1_PKT1_SA_S7_PKT3_PKT4_S5_PT5_21rocsparse_index_base_b, .Lfunc_end254-_ZN9rocsparseL20bsrxmvn_17_32_kernelILj31EfiiaafEEvT2_20rocsparse_direction_NS_24const_host_device_scalarIT0_EES1_PKS1_PKT1_SA_S7_PKT3_PKT4_S5_PT5_21rocsparse_index_base_b
                                        ; -- End function
	.set _ZN9rocsparseL20bsrxmvn_17_32_kernelILj31EfiiaafEEvT2_20rocsparse_direction_NS_24const_host_device_scalarIT0_EES1_PKS1_PKT1_SA_S7_PKT3_PKT4_S5_PT5_21rocsparse_index_base_b.num_vgpr, 11
	.set _ZN9rocsparseL20bsrxmvn_17_32_kernelILj31EfiiaafEEvT2_20rocsparse_direction_NS_24const_host_device_scalarIT0_EES1_PKS1_PKT1_SA_S7_PKT3_PKT4_S5_PT5_21rocsparse_index_base_b.num_agpr, 0
	.set _ZN9rocsparseL20bsrxmvn_17_32_kernelILj31EfiiaafEEvT2_20rocsparse_direction_NS_24const_host_device_scalarIT0_EES1_PKS1_PKT1_SA_S7_PKT3_PKT4_S5_PT5_21rocsparse_index_base_b.numbered_sgpr, 22
	.set _ZN9rocsparseL20bsrxmvn_17_32_kernelILj31EfiiaafEEvT2_20rocsparse_direction_NS_24const_host_device_scalarIT0_EES1_PKS1_PKT1_SA_S7_PKT3_PKT4_S5_PT5_21rocsparse_index_base_b.num_named_barrier, 0
	.set _ZN9rocsparseL20bsrxmvn_17_32_kernelILj31EfiiaafEEvT2_20rocsparse_direction_NS_24const_host_device_scalarIT0_EES1_PKS1_PKT1_SA_S7_PKT3_PKT4_S5_PT5_21rocsparse_index_base_b.private_seg_size, 0
	.set _ZN9rocsparseL20bsrxmvn_17_32_kernelILj31EfiiaafEEvT2_20rocsparse_direction_NS_24const_host_device_scalarIT0_EES1_PKS1_PKT1_SA_S7_PKT3_PKT4_S5_PT5_21rocsparse_index_base_b.uses_vcc, 1
	.set _ZN9rocsparseL20bsrxmvn_17_32_kernelILj31EfiiaafEEvT2_20rocsparse_direction_NS_24const_host_device_scalarIT0_EES1_PKS1_PKT1_SA_S7_PKT3_PKT4_S5_PT5_21rocsparse_index_base_b.uses_flat_scratch, 0
	.set _ZN9rocsparseL20bsrxmvn_17_32_kernelILj31EfiiaafEEvT2_20rocsparse_direction_NS_24const_host_device_scalarIT0_EES1_PKS1_PKT1_SA_S7_PKT3_PKT4_S5_PT5_21rocsparse_index_base_b.has_dyn_sized_stack, 0
	.set _ZN9rocsparseL20bsrxmvn_17_32_kernelILj31EfiiaafEEvT2_20rocsparse_direction_NS_24const_host_device_scalarIT0_EES1_PKS1_PKT1_SA_S7_PKT3_PKT4_S5_PT5_21rocsparse_index_base_b.has_recursion, 0
	.set _ZN9rocsparseL20bsrxmvn_17_32_kernelILj31EfiiaafEEvT2_20rocsparse_direction_NS_24const_host_device_scalarIT0_EES1_PKS1_PKT1_SA_S7_PKT3_PKT4_S5_PT5_21rocsparse_index_base_b.has_indirect_call, 0
	.section	.AMDGPU.csdata,"",@progbits
; Kernel info:
; codeLenInByte = 1240
; TotalNumSgprs: 26
; NumVgprs: 11
; ScratchSize: 0
; MemoryBound: 0
; FloatMode: 240
; IeeeMode: 1
; LDSByteSize: 3844 bytes/workgroup (compile time only)
; SGPRBlocks: 8
; VGPRBlocks: 7
; NumSGPRsForWavesPerEU: 65
; NumVGPRsForWavesPerEU: 29
; Occupancy: 8
; WaveLimiterHint : 1
; COMPUTE_PGM_RSRC2:SCRATCH_EN: 0
; COMPUTE_PGM_RSRC2:USER_SGPR: 6
; COMPUTE_PGM_RSRC2:TRAP_HANDLER: 0
; COMPUTE_PGM_RSRC2:TGID_X_EN: 1
; COMPUTE_PGM_RSRC2:TGID_Y_EN: 0
; COMPUTE_PGM_RSRC2:TGID_Z_EN: 0
; COMPUTE_PGM_RSRC2:TIDIG_COMP_CNT: 0
	.section	.text._ZN9rocsparseL20bsrxmvn_17_32_kernelILj32EfiiaafEEvT2_20rocsparse_direction_NS_24const_host_device_scalarIT0_EES1_PKS1_PKT1_SA_S7_PKT3_PKT4_S5_PT5_21rocsparse_index_base_b,"axG",@progbits,_ZN9rocsparseL20bsrxmvn_17_32_kernelILj32EfiiaafEEvT2_20rocsparse_direction_NS_24const_host_device_scalarIT0_EES1_PKS1_PKT1_SA_S7_PKT3_PKT4_S5_PT5_21rocsparse_index_base_b,comdat
	.globl	_ZN9rocsparseL20bsrxmvn_17_32_kernelILj32EfiiaafEEvT2_20rocsparse_direction_NS_24const_host_device_scalarIT0_EES1_PKS1_PKT1_SA_S7_PKT3_PKT4_S5_PT5_21rocsparse_index_base_b ; -- Begin function _ZN9rocsparseL20bsrxmvn_17_32_kernelILj32EfiiaafEEvT2_20rocsparse_direction_NS_24const_host_device_scalarIT0_EES1_PKS1_PKT1_SA_S7_PKT3_PKT4_S5_PT5_21rocsparse_index_base_b
	.p2align	8
	.type	_ZN9rocsparseL20bsrxmvn_17_32_kernelILj32EfiiaafEEvT2_20rocsparse_direction_NS_24const_host_device_scalarIT0_EES1_PKS1_PKT1_SA_S7_PKT3_PKT4_S5_PT5_21rocsparse_index_base_b,@function
_ZN9rocsparseL20bsrxmvn_17_32_kernelILj32EfiiaafEEvT2_20rocsparse_direction_NS_24const_host_device_scalarIT0_EES1_PKS1_PKT1_SA_S7_PKT3_PKT4_S5_PT5_21rocsparse_index_base_b: ; @_ZN9rocsparseL20bsrxmvn_17_32_kernelILj32EfiiaafEEvT2_20rocsparse_direction_NS_24const_host_device_scalarIT0_EES1_PKS1_PKT1_SA_S7_PKT3_PKT4_S5_PT5_21rocsparse_index_base_b
; %bb.0:
	s_load_dwordx2 s[12:13], s[4:5], 0x58
	s_load_dwordx2 s[10:11], s[4:5], 0x8
	;; [unrolled: 1-line block ×3, first 2 shown]
	s_waitcnt lgkmcnt(0)
	s_bitcmp1_b32 s13, 0
	s_cselect_b64 s[2:3], -1, 0
	s_xor_b64 s[0:1], s[2:3], -1
	s_and_b64 vcc, exec, s[2:3]
	s_cbranch_vccnz .LBB255_2
; %bb.1:
	s_load_dword s10, s[10:11], 0x0
.LBB255_2:
	s_andn2_b64 vcc, exec, s[0:1]
	s_cbranch_vccnz .LBB255_4
; %bb.3:
	s_load_dword s8, s[8:9], 0x0
.LBB255_4:
	s_waitcnt lgkmcnt(0)
	v_cmp_neq_f32_e64 s[0:1], s10, 0
	v_cmp_neq_f32_e64 s[2:3], s8, 1.0
	s_or_b64 s[0:1], s[0:1], s[2:3]
	s_andn2_b64 vcc, exec, s[0:1]
	s_cbranch_vccnz .LBB255_38
; %bb.5:
	s_load_dwordx4 s[0:3], s[4:5], 0x18
	s_load_dwordx2 s[16:17], s[4:5], 0x28
	s_waitcnt lgkmcnt(0)
	s_cmp_eq_u64 s[0:1], 0
	s_cbranch_scc1 .LBB255_7
; %bb.6:
	s_ashr_i32 s7, s6, 31
	s_lshl_b64 s[6:7], s[6:7], 2
	s_add_u32 s0, s0, s6
	s_addc_u32 s1, s1, s7
	s_load_dword s0, s[0:1], 0x0
	s_waitcnt lgkmcnt(0)
	s_sub_i32 s6, s0, s12
.LBB255_7:
	s_load_dword s0, s[4:5], 0x4
	v_and_b32_e32 v4, 31, v0
	v_mov_b32_e32 v3, 0
	s_waitcnt lgkmcnt(0)
	s_cmp_eq_u32 s0, 1
	s_cselect_b64 vcc, -1, 0
	s_cmp_lg_u32 s0, 1
	s_cselect_b64 s[14:15], -1, 0
	s_ashr_i32 s7, s6, 31
	s_lshl_b64 s[0:1], s[6:7], 2
	s_add_u32 s2, s2, s0
	s_addc_u32 s3, s3, s1
	s_load_dword s9, s[2:3], 0x0
	s_add_u32 s2, s2, 4
	s_addc_u32 s3, s3, 0
	s_add_u32 s0, s16, s0
	s_addc_u32 s1, s17, s1
	s_cmp_eq_u64 s[16:17], 0
	s_cselect_b32 s3, s3, s1
	s_cselect_b32 s2, s2, s0
	s_load_dword s7, s[2:3], 0x0
	s_load_dwordx2 s[0:1], s[4:5], 0x50
	s_waitcnt lgkmcnt(0)
	s_cmp_ge_i32 s9, s7
	s_cbranch_scc1 .LBB255_10
; %bb.8:
	s_load_dwordx4 s[16:19], s[4:5], 0x30
	s_load_dwordx2 s[2:3], s[4:5], 0x40
	s_sub_i32 s4, s9, s12
	s_ashr_i32 s5, s4, 31
	s_sub_i32 s7, s7, s12
	s_lshl_b64 s[20:21], s[4:5], 10
	s_waitcnt lgkmcnt(0)
	s_add_u32 s9, s18, s20
	v_lshrrev_b32_e32 v1, 5, v0
	s_addc_u32 s11, s19, s21
	s_lshl_b64 s[18:19], s[4:5], 2
	v_cndmask_b32_e32 v5, v4, v1, vcc
	v_mov_b32_e32 v2, s11
	v_add_co_u32_e32 v1, vcc, s9, v0
	s_add_u32 s16, s16, s18
	v_mov_b32_e32 v3, 0
	v_addc_co_u32_e32 v2, vcc, 0, v2, vcc
	s_addc_u32 s17, s17, s19
	v_mov_b32_e32 v6, s3
.LBB255_9:                              ; =>This Inner Loop Header: Depth=1
	s_load_dword s3, s[16:17], 0x0
	global_load_sbyte v9, v[1:2], off
	s_add_i32 s4, s4, 1
	s_waitcnt lgkmcnt(0)
	s_sub_i32 s3, s3, s12
	v_lshl_or_b32 v7, s3, 5, v5
	v_ashrrev_i32_e32 v8, 31, v7
	v_add_co_u32_e32 v7, vcc, s2, v7
	v_addc_co_u32_e32 v8, vcc, v6, v8, vcc
	global_load_sbyte v7, v[7:8], off
	s_add_u32 s16, s16, 4
	v_add_co_u32_e32 v1, vcc, 0x400, v1
	s_addc_u32 s17, s17, 0
	v_addc_co_u32_e32 v2, vcc, 0, v2, vcc
	s_cmp_lt_i32 s4, s7
	s_waitcnt vmcnt(1)
	v_cvt_f32_i32_e32 v8, v9
	s_waitcnt vmcnt(0)
	v_cvt_f32_i32_e32 v7, v7
	v_fmac_f32_e32 v3, v8, v7
	s_cbranch_scc1 .LBB255_9
.LBB255_10:
	v_lshlrev_b32_e32 v1, 2, v0
	s_and_b64 vcc, exec, s[14:15]
	ds_write_b32 v1, v3
	s_waitcnt lgkmcnt(0)
	s_barrier
	s_cbranch_vccz .LBB255_22
; %bb.11:
	v_cmp_gt_u32_e32 vcc, 16, v4
	s_and_saveexec_b64 s[2:3], vcc
	s_cbranch_execz .LBB255_13
; %bb.12:
	ds_read2_b32 v[5:6], v1 offset1:16
	s_waitcnt lgkmcnt(0)
	v_add_f32_e32 v2, v6, v5
	ds_write_b32 v1, v2
.LBB255_13:
	s_or_b64 exec, exec, s[2:3]
	v_cmp_gt_u32_e32 vcc, 8, v4
	s_waitcnt lgkmcnt(0)
	s_barrier
	s_and_saveexec_b64 s[2:3], vcc
	s_cbranch_execz .LBB255_15
; %bb.14:
	ds_read2_b32 v[5:6], v1 offset1:8
	s_waitcnt lgkmcnt(0)
	v_add_f32_e32 v2, v6, v5
	ds_write_b32 v1, v2
.LBB255_15:
	s_or_b64 exec, exec, s[2:3]
	v_cmp_gt_u32_e32 vcc, 4, v4
	s_waitcnt lgkmcnt(0)
	s_barrier
	;; [unrolled: 12-line block ×3, first 2 shown]
	s_and_saveexec_b64 s[2:3], vcc
	s_cbranch_execz .LBB255_19
; %bb.18:
	ds_read2_b32 v[4:5], v1 offset1:2
	s_waitcnt lgkmcnt(0)
	v_add_f32_e32 v2, v5, v4
	ds_write_b32 v1, v2
.LBB255_19:
	s_or_b64 exec, exec, s[2:3]
	v_cmp_gt_u32_e32 vcc, 32, v0
	v_mov_b32_e32 v2, v3
	s_waitcnt lgkmcnt(0)
	s_barrier
	s_and_saveexec_b64 s[2:3], vcc
	s_cbranch_execz .LBB255_21
; %bb.20:
	s_movk_i32 s4, 0x7c
	v_mad_u32_u24 v2, v0, s4, v1
	ds_read_b64 v[4:5], v2
	s_waitcnt lgkmcnt(0)
	v_add_f32_e32 v2, v4, v5
.LBB255_21:
	s_or_b64 exec, exec, s[2:3]
	s_branch .LBB255_34
.LBB255_22:
                                        ; implicit-def: $vgpr2
	s_cbranch_execz .LBB255_34
; %bb.23:
	s_movk_i32 s2, 0x200
	v_cmp_gt_u32_e32 vcc, s2, v0
	s_and_saveexec_b64 s[2:3], vcc
	s_cbranch_execz .LBB255_25
; %bb.24:
	ds_read2st64_b32 v[4:5], v1 offset1:8
	s_waitcnt lgkmcnt(0)
	v_add_f32_e32 v2, v5, v4
	ds_write_b32 v1, v2
.LBB255_25:
	s_or_b64 exec, exec, s[2:3]
	s_movk_i32 s2, 0x100
	v_cmp_gt_u32_e32 vcc, s2, v0
	s_waitcnt lgkmcnt(0)
	s_barrier
	s_and_saveexec_b64 s[2:3], vcc
	s_cbranch_execz .LBB255_27
; %bb.26:
	ds_read2st64_b32 v[4:5], v1 offset1:4
	s_waitcnt lgkmcnt(0)
	v_add_f32_e32 v2, v5, v4
	ds_write_b32 v1, v2
.LBB255_27:
	s_or_b64 exec, exec, s[2:3]
	s_movk_i32 s2, 0x80
	v_cmp_gt_u32_e32 vcc, s2, v0
	s_waitcnt lgkmcnt(0)
	s_barrier
	s_and_saveexec_b64 s[2:3], vcc
	s_cbranch_execz .LBB255_29
; %bb.28:
	ds_read2st64_b32 v[4:5], v1 offset1:2
	s_waitcnt lgkmcnt(0)
	v_add_f32_e32 v2, v5, v4
	ds_write_b32 v1, v2
.LBB255_29:
	s_or_b64 exec, exec, s[2:3]
	v_cmp_gt_u32_e32 vcc, 64, v0
	s_waitcnt lgkmcnt(0)
	s_barrier
	s_and_saveexec_b64 s[2:3], vcc
	s_cbranch_execz .LBB255_31
; %bb.30:
	ds_read2st64_b32 v[4:5], v1 offset1:1
	s_waitcnt lgkmcnt(0)
	v_add_f32_e32 v2, v5, v4
	ds_write_b32 v1, v2
.LBB255_31:
	s_or_b64 exec, exec, s[2:3]
	v_cmp_gt_u32_e32 vcc, 32, v0
	s_waitcnt lgkmcnt(0)
	s_and_saveexec_b64 s[2:3], vcc
	s_cbranch_execz .LBB255_33
; %bb.32:
	ds_read2_b32 v[1:2], v1 offset1:32
	s_waitcnt lgkmcnt(0)
	v_add_f32_e32 v3, v1, v2
.LBB255_33:
	s_or_b64 exec, exec, s[2:3]
	v_mov_b32_e32 v2, v3
.LBB255_34:
	v_cmp_gt_u32_e32 vcc, 32, v0
	s_and_saveexec_b64 s[2:3], vcc
	s_cbranch_execz .LBB255_38
; %bb.35:
	v_cmp_eq_f32_e64 s[2:3], s8, 0
	s_and_b64 vcc, exec, s[2:3]
	v_mul_f32_e32 v2, s10, v2
	v_lshl_or_b32 v0, s6, 5, v0
	s_cbranch_vccz .LBB255_39
; %bb.36:
	v_mov_b32_e32 v1, 0
	v_lshlrev_b64 v[3:4], 2, v[0:1]
	v_mov_b32_e32 v1, s1
	v_add_co_u32_e32 v3, vcc, s0, v3
	v_addc_co_u32_e32 v4, vcc, v1, v4, vcc
	global_store_dword v[3:4], v2, off
	s_cbranch_execnz .LBB255_38
.LBB255_37:
	v_mov_b32_e32 v1, 0
	v_lshlrev_b64 v[0:1], 2, v[0:1]
	v_mov_b32_e32 v3, s1
	v_add_co_u32_e32 v0, vcc, s0, v0
	v_addc_co_u32_e32 v1, vcc, v3, v1, vcc
	global_load_dword v3, v[0:1], off
	s_waitcnt vmcnt(0)
	v_fmac_f32_e32 v2, s8, v3
	global_store_dword v[0:1], v2, off
.LBB255_38:
	s_endpgm
.LBB255_39:
	s_branch .LBB255_37
	.section	.rodata,"a",@progbits
	.p2align	6, 0x0
	.amdhsa_kernel _ZN9rocsparseL20bsrxmvn_17_32_kernelILj32EfiiaafEEvT2_20rocsparse_direction_NS_24const_host_device_scalarIT0_EES1_PKS1_PKT1_SA_S7_PKT3_PKT4_S5_PT5_21rocsparse_index_base_b
		.amdhsa_group_segment_fixed_size 4096
		.amdhsa_private_segment_fixed_size 0
		.amdhsa_kernarg_size 96
		.amdhsa_user_sgpr_count 6
		.amdhsa_user_sgpr_private_segment_buffer 1
		.amdhsa_user_sgpr_dispatch_ptr 0
		.amdhsa_user_sgpr_queue_ptr 0
		.amdhsa_user_sgpr_kernarg_segment_ptr 1
		.amdhsa_user_sgpr_dispatch_id 0
		.amdhsa_user_sgpr_flat_scratch_init 0
		.amdhsa_user_sgpr_private_segment_size 0
		.amdhsa_uses_dynamic_stack 0
		.amdhsa_system_sgpr_private_segment_wavefront_offset 0
		.amdhsa_system_sgpr_workgroup_id_x 1
		.amdhsa_system_sgpr_workgroup_id_y 0
		.amdhsa_system_sgpr_workgroup_id_z 0
		.amdhsa_system_sgpr_workgroup_info 0
		.amdhsa_system_vgpr_workitem_id 0
		.amdhsa_next_free_vgpr 29
		.amdhsa_next_free_sgpr 61
		.amdhsa_reserve_vcc 1
		.amdhsa_reserve_flat_scratch 0
		.amdhsa_float_round_mode_32 0
		.amdhsa_float_round_mode_16_64 0
		.amdhsa_float_denorm_mode_32 3
		.amdhsa_float_denorm_mode_16_64 3
		.amdhsa_dx10_clamp 1
		.amdhsa_ieee_mode 1
		.amdhsa_fp16_overflow 0
		.amdhsa_exception_fp_ieee_invalid_op 0
		.amdhsa_exception_fp_denorm_src 0
		.amdhsa_exception_fp_ieee_div_zero 0
		.amdhsa_exception_fp_ieee_overflow 0
		.amdhsa_exception_fp_ieee_underflow 0
		.amdhsa_exception_fp_ieee_inexact 0
		.amdhsa_exception_int_div_zero 0
	.end_amdhsa_kernel
	.section	.text._ZN9rocsparseL20bsrxmvn_17_32_kernelILj32EfiiaafEEvT2_20rocsparse_direction_NS_24const_host_device_scalarIT0_EES1_PKS1_PKT1_SA_S7_PKT3_PKT4_S5_PT5_21rocsparse_index_base_b,"axG",@progbits,_ZN9rocsparseL20bsrxmvn_17_32_kernelILj32EfiiaafEEvT2_20rocsparse_direction_NS_24const_host_device_scalarIT0_EES1_PKS1_PKT1_SA_S7_PKT3_PKT4_S5_PT5_21rocsparse_index_base_b,comdat
.Lfunc_end255:
	.size	_ZN9rocsparseL20bsrxmvn_17_32_kernelILj32EfiiaafEEvT2_20rocsparse_direction_NS_24const_host_device_scalarIT0_EES1_PKS1_PKT1_SA_S7_PKT3_PKT4_S5_PT5_21rocsparse_index_base_b, .Lfunc_end255-_ZN9rocsparseL20bsrxmvn_17_32_kernelILj32EfiiaafEEvT2_20rocsparse_direction_NS_24const_host_device_scalarIT0_EES1_PKS1_PKT1_SA_S7_PKT3_PKT4_S5_PT5_21rocsparse_index_base_b
                                        ; -- End function
	.set _ZN9rocsparseL20bsrxmvn_17_32_kernelILj32EfiiaafEEvT2_20rocsparse_direction_NS_24const_host_device_scalarIT0_EES1_PKS1_PKT1_SA_S7_PKT3_PKT4_S5_PT5_21rocsparse_index_base_b.num_vgpr, 10
	.set _ZN9rocsparseL20bsrxmvn_17_32_kernelILj32EfiiaafEEvT2_20rocsparse_direction_NS_24const_host_device_scalarIT0_EES1_PKS1_PKT1_SA_S7_PKT3_PKT4_S5_PT5_21rocsparse_index_base_b.num_agpr, 0
	.set _ZN9rocsparseL20bsrxmvn_17_32_kernelILj32EfiiaafEEvT2_20rocsparse_direction_NS_24const_host_device_scalarIT0_EES1_PKS1_PKT1_SA_S7_PKT3_PKT4_S5_PT5_21rocsparse_index_base_b.numbered_sgpr, 22
	.set _ZN9rocsparseL20bsrxmvn_17_32_kernelILj32EfiiaafEEvT2_20rocsparse_direction_NS_24const_host_device_scalarIT0_EES1_PKS1_PKT1_SA_S7_PKT3_PKT4_S5_PT5_21rocsparse_index_base_b.num_named_barrier, 0
	.set _ZN9rocsparseL20bsrxmvn_17_32_kernelILj32EfiiaafEEvT2_20rocsparse_direction_NS_24const_host_device_scalarIT0_EES1_PKS1_PKT1_SA_S7_PKT3_PKT4_S5_PT5_21rocsparse_index_base_b.private_seg_size, 0
	.set _ZN9rocsparseL20bsrxmvn_17_32_kernelILj32EfiiaafEEvT2_20rocsparse_direction_NS_24const_host_device_scalarIT0_EES1_PKS1_PKT1_SA_S7_PKT3_PKT4_S5_PT5_21rocsparse_index_base_b.uses_vcc, 1
	.set _ZN9rocsparseL20bsrxmvn_17_32_kernelILj32EfiiaafEEvT2_20rocsparse_direction_NS_24const_host_device_scalarIT0_EES1_PKS1_PKT1_SA_S7_PKT3_PKT4_S5_PT5_21rocsparse_index_base_b.uses_flat_scratch, 0
	.set _ZN9rocsparseL20bsrxmvn_17_32_kernelILj32EfiiaafEEvT2_20rocsparse_direction_NS_24const_host_device_scalarIT0_EES1_PKS1_PKT1_SA_S7_PKT3_PKT4_S5_PT5_21rocsparse_index_base_b.has_dyn_sized_stack, 0
	.set _ZN9rocsparseL20bsrxmvn_17_32_kernelILj32EfiiaafEEvT2_20rocsparse_direction_NS_24const_host_device_scalarIT0_EES1_PKS1_PKT1_SA_S7_PKT3_PKT4_S5_PT5_21rocsparse_index_base_b.has_recursion, 0
	.set _ZN9rocsparseL20bsrxmvn_17_32_kernelILj32EfiiaafEEvT2_20rocsparse_direction_NS_24const_host_device_scalarIT0_EES1_PKS1_PKT1_SA_S7_PKT3_PKT4_S5_PT5_21rocsparse_index_base_b.has_indirect_call, 0
	.section	.AMDGPU.csdata,"",@progbits
; Kernel info:
; codeLenInByte = 1112
; TotalNumSgprs: 26
; NumVgprs: 10
; ScratchSize: 0
; MemoryBound: 0
; FloatMode: 240
; IeeeMode: 1
; LDSByteSize: 4096 bytes/workgroup (compile time only)
; SGPRBlocks: 8
; VGPRBlocks: 7
; NumSGPRsForWavesPerEU: 65
; NumVGPRsForWavesPerEU: 29
; Occupancy: 8
; WaveLimiterHint : 1
; COMPUTE_PGM_RSRC2:SCRATCH_EN: 0
; COMPUTE_PGM_RSRC2:USER_SGPR: 6
; COMPUTE_PGM_RSRC2:TRAP_HANDLER: 0
; COMPUTE_PGM_RSRC2:TGID_X_EN: 1
; COMPUTE_PGM_RSRC2:TGID_Y_EN: 0
; COMPUTE_PGM_RSRC2:TGID_Z_EN: 0
; COMPUTE_PGM_RSRC2:TIDIG_COMP_CNT: 0
	.section	.text._ZN9rocsparseL20bsrxmvn_17_32_kernelILj17EfliaafEEvT2_20rocsparse_direction_NS_24const_host_device_scalarIT0_EES1_PKS1_PKT1_SA_S7_PKT3_PKT4_S5_PT5_21rocsparse_index_base_b,"axG",@progbits,_ZN9rocsparseL20bsrxmvn_17_32_kernelILj17EfliaafEEvT2_20rocsparse_direction_NS_24const_host_device_scalarIT0_EES1_PKS1_PKT1_SA_S7_PKT3_PKT4_S5_PT5_21rocsparse_index_base_b,comdat
	.globl	_ZN9rocsparseL20bsrxmvn_17_32_kernelILj17EfliaafEEvT2_20rocsparse_direction_NS_24const_host_device_scalarIT0_EES1_PKS1_PKT1_SA_S7_PKT3_PKT4_S5_PT5_21rocsparse_index_base_b ; -- Begin function _ZN9rocsparseL20bsrxmvn_17_32_kernelILj17EfliaafEEvT2_20rocsparse_direction_NS_24const_host_device_scalarIT0_EES1_PKS1_PKT1_SA_S7_PKT3_PKT4_S5_PT5_21rocsparse_index_base_b
	.p2align	8
	.type	_ZN9rocsparseL20bsrxmvn_17_32_kernelILj17EfliaafEEvT2_20rocsparse_direction_NS_24const_host_device_scalarIT0_EES1_PKS1_PKT1_SA_S7_PKT3_PKT4_S5_PT5_21rocsparse_index_base_b,@function
_ZN9rocsparseL20bsrxmvn_17_32_kernelILj17EfliaafEEvT2_20rocsparse_direction_NS_24const_host_device_scalarIT0_EES1_PKS1_PKT1_SA_S7_PKT3_PKT4_S5_PT5_21rocsparse_index_base_b: ; @_ZN9rocsparseL20bsrxmvn_17_32_kernelILj17EfliaafEEvT2_20rocsparse_direction_NS_24const_host_device_scalarIT0_EES1_PKS1_PKT1_SA_S7_PKT3_PKT4_S5_PT5_21rocsparse_index_base_b
; %bb.0:
	s_load_dwordx2 s[18:19], s[4:5], 0x58
	s_load_dwordx2 s[14:15], s[4:5], 0x8
	;; [unrolled: 1-line block ×3, first 2 shown]
	s_waitcnt lgkmcnt(0)
	s_bitcmp1_b32 s19, 0
	s_cselect_b64 s[2:3], -1, 0
	s_xor_b64 s[0:1], s[2:3], -1
	s_and_b64 vcc, exec, s[2:3]
	s_cbranch_vccnz .LBB256_2
; %bb.1:
	s_load_dword s14, s[14:15], 0x0
.LBB256_2:
	s_andn2_b64 vcc, exec, s[0:1]
	s_cbranch_vccnz .LBB256_4
; %bb.3:
	s_load_dword s12, s[12:13], 0x0
.LBB256_4:
	s_waitcnt lgkmcnt(0)
	v_cmp_neq_f32_e64 s[0:1], s14, 0
	v_cmp_neq_f32_e64 s[2:3], s12, 1.0
	s_or_b64 s[0:1], s[0:1], s[2:3]
	s_andn2_b64 vcc, exec, s[0:1]
	s_cbranch_vccnz .LBB256_40
; %bb.5:
	s_load_dwordx4 s[0:3], s[4:5], 0x18
	s_load_dwordx2 s[8:9], s[4:5], 0x28
	s_waitcnt lgkmcnt(0)
	s_cmp_eq_u64 s[0:1], 0
	s_cbranch_scc1 .LBB256_7
; %bb.6:
	s_ashr_i32 s7, s6, 31
	s_lshl_b64 s[6:7], s[6:7], 2
	s_add_u32 s0, s0, s6
	s_addc_u32 s1, s1, s7
	s_load_dword s0, s[0:1], 0x0
	s_waitcnt lgkmcnt(0)
	s_sub_i32 s6, s0, s18
.LBB256_7:
	s_load_dword s7, s[4:5], 0x4
	s_load_dwordx2 s[16:17], s[4:5], 0x50
	v_mul_u32_u24_e32 v1, 0xf10, v0
	v_mov_b32_e32 v2, 17
	v_mul_lo_u16_sdwa v2, v1, v2 dst_sel:DWORD dst_unused:UNUSED_PAD src0_sel:WORD_1 src1_sel:DWORD
	s_waitcnt lgkmcnt(0)
	s_cmp_eq_u32 s7, 1
	s_cselect_b64 s[0:1], -1, 0
	s_cmp_lg_u32 s7, 1
	s_cselect_b64 s[20:21], -1, 0
	s_ashr_i32 s7, s6, 31
	s_lshl_b64 s[10:11], s[6:7], 3
	s_add_u32 s2, s2, s10
	s_addc_u32 s3, s3, s11
	s_add_u32 s7, s2, 8
	s_addc_u32 s13, s3, 0
	;; [unrolled: 2-line block ×3, first 2 shown]
	s_cmp_eq_u64 s[8:9], 0
	s_cselect_b32 s9, s13, s11
	s_cselect_b32 s8, s7, s10
	s_load_dwordx2 s[22:23], s[8:9], 0x0
	s_load_dwordx2 s[24:25], s[2:3], 0x0
	v_sub_u16_e32 v7, v0, v2
	v_mov_b32_e32 v6, 0
	s_waitcnt lgkmcnt(0)
	v_mov_b32_e32 v2, s22
	v_mov_b32_e32 v3, s23
	v_cmp_ge_i64_e32 vcc, s[24:25], v[2:3]
	s_cbranch_vccnz .LBB256_12
; %bb.8:
	v_mov_b32_e32 v2, 31
	v_mul_lo_u16_sdwa v2, v1, v2 dst_sel:DWORD dst_unused:UNUSED_PAD src0_sel:WORD_1 src1_sel:DWORD
	s_load_dwordx4 s[8:11], s[4:5], 0x30
	s_load_dwordx2 s[2:3], s[4:5], 0x40
	s_sub_u32 s4, s22, s18
	v_lshrrev_b16_e32 v2, 9, v2
	s_subb_u32 s5, s23, 0
	v_mul_lo_u16_e32 v2, 17, v2
	v_sub_u16_sdwa v1, v1, v2 dst_sel:DWORD dst_unused:UNUSED_PAD src0_sel:WORD_1 src1_sel:DWORD
	s_sub_u32 s22, s24, s18
	v_and_b32_e32 v1, 0xff, v1
	s_subb_u32 s23, s25, 0
	v_cndmask_b32_e64 v1, v7, v1, s[0:1]
	s_mul_i32 s0, s23, 0x121
	s_mul_hi_u32 s1, s22, 0x121
	s_add_i32 s1, s1, s0
	s_mul_i32 s0, s22, 0x121
	s_waitcnt lgkmcnt(0)
	s_add_u32 s0, s10, s0
	s_addc_u32 s1, s11, s1
	v_add_co_u32_e32 v2, vcc, s0, v0
	s_movk_i32 s0, 0xe3
	v_mov_b32_e32 v3, s1
	v_mul_u32_u24_sdwa v4, v0, s0 dst_sel:DWORD dst_unused:UNUSED_PAD src0_sel:WORD_0 src1_sel:DWORD
	v_addc_co_u32_e32 v3, vcc, 0, v3, vcc
	v_lshrrev_b32_e32 v8, 16, v4
	v_mov_b32_e32 v4, s25
	v_add_co_u32_e32 v5, vcc, s24, v8
	v_addc_co_u32_e32 v9, vcc, 0, v4, vcc
	v_subrev_co_u32_e32 v4, vcc, s18, v5
	v_subbrev_co_u32_e32 v5, vcc, 0, v9, vcc
	v_lshlrev_b64 v[4:5], 2, v[4:5]
	v_mov_b32_e32 v9, s9
	v_add_co_u32_e32 v4, vcc, s8, v4
	v_mov_b32_e32 v6, 0
	v_addc_co_u32_e32 v5, vcc, v9, v5, vcc
	s_branch .LBB256_10
.LBB256_9:                              ;   in Loop: Header=BB256_10 Depth=1
	s_or_b64 exec, exec, s[0:1]
	s_add_u32 s22, s22, 1
	v_mov_b32_e32 v10, s5
	s_addc_u32 s23, s23, 0
	v_mov_b32_e32 v9, s4
	v_cmp_lt_i64_e32 vcc, s[22:23], v[9:10]
	v_add_co_u32_e64 v4, s[0:1], 4, v4
	v_addc_co_u32_e64 v5, s[0:1], 0, v5, s[0:1]
	s_cbranch_vccz .LBB256_12
.LBB256_10:                             ; =>This Inner Loop Header: Depth=1
	v_mov_b32_e32 v10, s23
	v_add_co_u32_e32 v9, vcc, s22, v8
	v_addc_co_u32_e32 v10, vcc, 0, v10, vcc
	v_cmp_gt_i64_e32 vcc, s[4:5], v[9:10]
	s_and_saveexec_b64 s[0:1], vcc
	s_cbranch_execz .LBB256_9
; %bb.11:                               ;   in Loop: Header=BB256_10 Depth=1
	global_load_dword v9, v[4:5], off
	global_load_sbyte v11, v[2:3], off
	s_waitcnt vmcnt(1)
	v_subrev_u32_e32 v9, s18, v9
	v_mad_u64_u32 v[9:10], s[8:9], v9, 17, v[1:2]
	v_mov_b32_e32 v10, s3
	v_ashrrev_i32_e32 v12, 31, v9
	v_add_co_u32_e32 v9, vcc, s2, v9
	v_addc_co_u32_e32 v10, vcc, v10, v12, vcc
	global_load_sbyte v9, v[9:10], off
	s_waitcnt vmcnt(1)
	v_cvt_f32_i32_e32 v10, v11
	v_add_co_u32_e32 v2, vcc, 0x121, v2
	v_addc_co_u32_e32 v3, vcc, 0, v3, vcc
	s_waitcnt vmcnt(0)
	v_cvt_f32_i32_e32 v9, v9
	v_fmac_f32_e32 v6, v10, v9
	s_branch .LBB256_9
.LBB256_12:
	v_lshlrev_b32_e32 v1, 2, v0
	s_and_b64 vcc, exec, s[20:21]
	ds_write_b32 v1, v6
	s_waitcnt lgkmcnt(0)
	s_barrier
	s_cbranch_vccz .LBB256_24
; %bb.13:
	v_cmp_eq_u16_e32 vcc, 0, v7
	s_and_saveexec_b64 s[0:1], vcc
	s_cbranch_execz .LBB256_15
; %bb.14:
	ds_read2_b32 v[2:3], v1 offset1:16
	s_waitcnt lgkmcnt(0)
	v_add_f32_e32 v2, v3, v2
	ds_write_b32 v1, v2
.LBB256_15:
	s_or_b64 exec, exec, s[0:1]
	v_cmp_gt_u16_e32 vcc, 8, v7
	s_waitcnt lgkmcnt(0)
	s_barrier
	s_and_saveexec_b64 s[0:1], vcc
	s_cbranch_execz .LBB256_17
; %bb.16:
	ds_read2_b32 v[2:3], v1 offset1:8
	s_waitcnt lgkmcnt(0)
	v_add_f32_e32 v2, v3, v2
	ds_write_b32 v1, v2
.LBB256_17:
	s_or_b64 exec, exec, s[0:1]
	v_cmp_gt_u16_e32 vcc, 4, v7
	s_waitcnt lgkmcnt(0)
	s_barrier
	;; [unrolled: 12-line block ×3, first 2 shown]
	s_and_saveexec_b64 s[0:1], vcc
	s_cbranch_execz .LBB256_21
; %bb.20:
	ds_read2_b32 v[2:3], v1 offset1:2
	s_waitcnt lgkmcnt(0)
	v_add_f32_e32 v2, v3, v2
	ds_write_b32 v1, v2
.LBB256_21:
	s_or_b64 exec, exec, s[0:1]
	v_cmp_gt_u32_e32 vcc, 17, v0
	v_mov_b32_e32 v2, v6
	s_waitcnt lgkmcnt(0)
	s_barrier
	s_and_saveexec_b64 s[0:1], vcc
	s_cbranch_execz .LBB256_23
; %bb.22:
	v_lshl_add_u32 v2, v0, 6, v1
	ds_read2_b32 v[2:3], v2 offset1:1
	s_waitcnt lgkmcnt(0)
	v_add_f32_e32 v2, v2, v3
.LBB256_23:
	s_or_b64 exec, exec, s[0:1]
	v_cmp_gt_u32_e64 s[0:1], 17, v0
	s_branch .LBB256_36
.LBB256_24:
                                        ; implicit-def: $vgpr2
	v_cmp_gt_u32_e64 s[0:1], 17, v0
	s_cbranch_execz .LBB256_36
; %bb.25:
	s_and_saveexec_b64 s[2:3], s[0:1]
	s_cbranch_execz .LBB256_27
; %bb.26:
	ds_read_b32 v2, v1 offset:1088
	ds_read_b32 v3, v1
	s_waitcnt lgkmcnt(0)
	v_add_f32_e32 v2, v2, v3
	ds_write_b32 v1, v2
.LBB256_27:
	s_or_b64 exec, exec, s[2:3]
	s_movk_i32 s2, 0x88
	v_cmp_gt_u32_e32 vcc, s2, v0
	s_waitcnt lgkmcnt(0)
	s_barrier
	s_and_saveexec_b64 s[2:3], vcc
	s_cbranch_execz .LBB256_29
; %bb.28:
	ds_read2_b32 v[2:3], v1 offset1:136
	s_waitcnt lgkmcnt(0)
	v_add_f32_e32 v2, v3, v2
	ds_write_b32 v1, v2
.LBB256_29:
	s_or_b64 exec, exec, s[2:3]
	s_movk_i32 s2, 0x44
	v_cmp_gt_u32_e32 vcc, s2, v0
	s_waitcnt lgkmcnt(0)
	s_barrier
	s_and_saveexec_b64 s[2:3], vcc
	s_cbranch_execz .LBB256_31
; %bb.30:
	ds_read2_b32 v[2:3], v1 offset1:68
	s_waitcnt lgkmcnt(0)
	v_add_f32_e32 v2, v3, v2
	ds_write_b32 v1, v2
.LBB256_31:
	s_or_b64 exec, exec, s[2:3]
	v_cmp_gt_u32_e32 vcc, 34, v0
	s_waitcnt lgkmcnt(0)
	s_barrier
	s_and_saveexec_b64 s[2:3], vcc
	s_cbranch_execz .LBB256_33
; %bb.32:
	ds_read2_b32 v[2:3], v1 offset1:34
	s_waitcnt lgkmcnt(0)
	v_add_f32_e32 v2, v3, v2
	ds_write_b32 v1, v2
.LBB256_33:
	s_or_b64 exec, exec, s[2:3]
	s_waitcnt lgkmcnt(0)
	s_and_saveexec_b64 s[2:3], s[0:1]
	s_cbranch_execz .LBB256_35
; %bb.34:
	ds_read2_b32 v[1:2], v1 offset1:17
	s_waitcnt lgkmcnt(0)
	v_add_f32_e32 v6, v1, v2
.LBB256_35:
	s_or_b64 exec, exec, s[2:3]
	v_mov_b32_e32 v2, v6
.LBB256_36:
	v_cmp_gt_u32_e32 vcc, 17, v0
	s_and_saveexec_b64 s[0:1], vcc
	s_cbranch_execz .LBB256_40
; %bb.37:
	v_cmp_eq_f32_e64 s[0:1], s12, 0
	s_and_b64 vcc, exec, s[0:1]
	v_mul_f32_e32 v1, s14, v2
	s_cbranch_vccz .LBB256_41
; %bb.38:
	v_mad_u64_u32 v[2:3], s[0:1], s6, 17, v[0:1]
	v_mov_b32_e32 v3, 0
	v_mov_b32_e32 v4, s17
	v_lshlrev_b64 v[2:3], 2, v[2:3]
	v_add_co_u32_e32 v2, vcc, s16, v2
	v_addc_co_u32_e32 v3, vcc, v4, v3, vcc
	global_store_dword v[2:3], v1, off
	s_cbranch_execnz .LBB256_40
.LBB256_39:
	v_mad_u64_u32 v[2:3], s[0:1], s6, 17, v[0:1]
	v_mov_b32_e32 v3, 0
	v_mov_b32_e32 v0, s17
	v_lshlrev_b64 v[2:3], 2, v[2:3]
	v_add_co_u32_e32 v2, vcc, s16, v2
	v_addc_co_u32_e32 v3, vcc, v0, v3, vcc
	global_load_dword v0, v[2:3], off
	s_waitcnt vmcnt(0)
	v_fmac_f32_e32 v1, s12, v0
	global_store_dword v[2:3], v1, off
.LBB256_40:
	s_endpgm
.LBB256_41:
	s_branch .LBB256_39
	.section	.rodata,"a",@progbits
	.p2align	6, 0x0
	.amdhsa_kernel _ZN9rocsparseL20bsrxmvn_17_32_kernelILj17EfliaafEEvT2_20rocsparse_direction_NS_24const_host_device_scalarIT0_EES1_PKS1_PKT1_SA_S7_PKT3_PKT4_S5_PT5_21rocsparse_index_base_b
		.amdhsa_group_segment_fixed_size 1156
		.amdhsa_private_segment_fixed_size 0
		.amdhsa_kernarg_size 96
		.amdhsa_user_sgpr_count 6
		.amdhsa_user_sgpr_private_segment_buffer 1
		.amdhsa_user_sgpr_dispatch_ptr 0
		.amdhsa_user_sgpr_queue_ptr 0
		.amdhsa_user_sgpr_kernarg_segment_ptr 1
		.amdhsa_user_sgpr_dispatch_id 0
		.amdhsa_user_sgpr_flat_scratch_init 0
		.amdhsa_user_sgpr_private_segment_size 0
		.amdhsa_uses_dynamic_stack 0
		.amdhsa_system_sgpr_private_segment_wavefront_offset 0
		.amdhsa_system_sgpr_workgroup_id_x 1
		.amdhsa_system_sgpr_workgroup_id_y 0
		.amdhsa_system_sgpr_workgroup_id_z 0
		.amdhsa_system_sgpr_workgroup_info 0
		.amdhsa_system_vgpr_workitem_id 0
		.amdhsa_next_free_vgpr 13
		.amdhsa_next_free_sgpr 26
		.amdhsa_reserve_vcc 1
		.amdhsa_reserve_flat_scratch 0
		.amdhsa_float_round_mode_32 0
		.amdhsa_float_round_mode_16_64 0
		.amdhsa_float_denorm_mode_32 3
		.amdhsa_float_denorm_mode_16_64 3
		.amdhsa_dx10_clamp 1
		.amdhsa_ieee_mode 1
		.amdhsa_fp16_overflow 0
		.amdhsa_exception_fp_ieee_invalid_op 0
		.amdhsa_exception_fp_denorm_src 0
		.amdhsa_exception_fp_ieee_div_zero 0
		.amdhsa_exception_fp_ieee_overflow 0
		.amdhsa_exception_fp_ieee_underflow 0
		.amdhsa_exception_fp_ieee_inexact 0
		.amdhsa_exception_int_div_zero 0
	.end_amdhsa_kernel
	.section	.text._ZN9rocsparseL20bsrxmvn_17_32_kernelILj17EfliaafEEvT2_20rocsparse_direction_NS_24const_host_device_scalarIT0_EES1_PKS1_PKT1_SA_S7_PKT3_PKT4_S5_PT5_21rocsparse_index_base_b,"axG",@progbits,_ZN9rocsparseL20bsrxmvn_17_32_kernelILj17EfliaafEEvT2_20rocsparse_direction_NS_24const_host_device_scalarIT0_EES1_PKS1_PKT1_SA_S7_PKT3_PKT4_S5_PT5_21rocsparse_index_base_b,comdat
.Lfunc_end256:
	.size	_ZN9rocsparseL20bsrxmvn_17_32_kernelILj17EfliaafEEvT2_20rocsparse_direction_NS_24const_host_device_scalarIT0_EES1_PKS1_PKT1_SA_S7_PKT3_PKT4_S5_PT5_21rocsparse_index_base_b, .Lfunc_end256-_ZN9rocsparseL20bsrxmvn_17_32_kernelILj17EfliaafEEvT2_20rocsparse_direction_NS_24const_host_device_scalarIT0_EES1_PKS1_PKT1_SA_S7_PKT3_PKT4_S5_PT5_21rocsparse_index_base_b
                                        ; -- End function
	.set _ZN9rocsparseL20bsrxmvn_17_32_kernelILj17EfliaafEEvT2_20rocsparse_direction_NS_24const_host_device_scalarIT0_EES1_PKS1_PKT1_SA_S7_PKT3_PKT4_S5_PT5_21rocsparse_index_base_b.num_vgpr, 13
	.set _ZN9rocsparseL20bsrxmvn_17_32_kernelILj17EfliaafEEvT2_20rocsparse_direction_NS_24const_host_device_scalarIT0_EES1_PKS1_PKT1_SA_S7_PKT3_PKT4_S5_PT5_21rocsparse_index_base_b.num_agpr, 0
	.set _ZN9rocsparseL20bsrxmvn_17_32_kernelILj17EfliaafEEvT2_20rocsparse_direction_NS_24const_host_device_scalarIT0_EES1_PKS1_PKT1_SA_S7_PKT3_PKT4_S5_PT5_21rocsparse_index_base_b.numbered_sgpr, 26
	.set _ZN9rocsparseL20bsrxmvn_17_32_kernelILj17EfliaafEEvT2_20rocsparse_direction_NS_24const_host_device_scalarIT0_EES1_PKS1_PKT1_SA_S7_PKT3_PKT4_S5_PT5_21rocsparse_index_base_b.num_named_barrier, 0
	.set _ZN9rocsparseL20bsrxmvn_17_32_kernelILj17EfliaafEEvT2_20rocsparse_direction_NS_24const_host_device_scalarIT0_EES1_PKS1_PKT1_SA_S7_PKT3_PKT4_S5_PT5_21rocsparse_index_base_b.private_seg_size, 0
	.set _ZN9rocsparseL20bsrxmvn_17_32_kernelILj17EfliaafEEvT2_20rocsparse_direction_NS_24const_host_device_scalarIT0_EES1_PKS1_PKT1_SA_S7_PKT3_PKT4_S5_PT5_21rocsparse_index_base_b.uses_vcc, 1
	.set _ZN9rocsparseL20bsrxmvn_17_32_kernelILj17EfliaafEEvT2_20rocsparse_direction_NS_24const_host_device_scalarIT0_EES1_PKS1_PKT1_SA_S7_PKT3_PKT4_S5_PT5_21rocsparse_index_base_b.uses_flat_scratch, 0
	.set _ZN9rocsparseL20bsrxmvn_17_32_kernelILj17EfliaafEEvT2_20rocsparse_direction_NS_24const_host_device_scalarIT0_EES1_PKS1_PKT1_SA_S7_PKT3_PKT4_S5_PT5_21rocsparse_index_base_b.has_dyn_sized_stack, 0
	.set _ZN9rocsparseL20bsrxmvn_17_32_kernelILj17EfliaafEEvT2_20rocsparse_direction_NS_24const_host_device_scalarIT0_EES1_PKS1_PKT1_SA_S7_PKT3_PKT4_S5_PT5_21rocsparse_index_base_b.has_recursion, 0
	.set _ZN9rocsparseL20bsrxmvn_17_32_kernelILj17EfliaafEEvT2_20rocsparse_direction_NS_24const_host_device_scalarIT0_EES1_PKS1_PKT1_SA_S7_PKT3_PKT4_S5_PT5_21rocsparse_index_base_b.has_indirect_call, 0
	.section	.AMDGPU.csdata,"",@progbits
; Kernel info:
; codeLenInByte = 1320
; TotalNumSgprs: 30
; NumVgprs: 13
; ScratchSize: 0
; MemoryBound: 0
; FloatMode: 240
; IeeeMode: 1
; LDSByteSize: 1156 bytes/workgroup (compile time only)
; SGPRBlocks: 3
; VGPRBlocks: 3
; NumSGPRsForWavesPerEU: 30
; NumVGPRsForWavesPerEU: 13
; Occupancy: 10
; WaveLimiterHint : 1
; COMPUTE_PGM_RSRC2:SCRATCH_EN: 0
; COMPUTE_PGM_RSRC2:USER_SGPR: 6
; COMPUTE_PGM_RSRC2:TRAP_HANDLER: 0
; COMPUTE_PGM_RSRC2:TGID_X_EN: 1
; COMPUTE_PGM_RSRC2:TGID_Y_EN: 0
; COMPUTE_PGM_RSRC2:TGID_Z_EN: 0
; COMPUTE_PGM_RSRC2:TIDIG_COMP_CNT: 0
	.section	.text._ZN9rocsparseL20bsrxmvn_17_32_kernelILj18EfliaafEEvT2_20rocsparse_direction_NS_24const_host_device_scalarIT0_EES1_PKS1_PKT1_SA_S7_PKT3_PKT4_S5_PT5_21rocsparse_index_base_b,"axG",@progbits,_ZN9rocsparseL20bsrxmvn_17_32_kernelILj18EfliaafEEvT2_20rocsparse_direction_NS_24const_host_device_scalarIT0_EES1_PKS1_PKT1_SA_S7_PKT3_PKT4_S5_PT5_21rocsparse_index_base_b,comdat
	.globl	_ZN9rocsparseL20bsrxmvn_17_32_kernelILj18EfliaafEEvT2_20rocsparse_direction_NS_24const_host_device_scalarIT0_EES1_PKS1_PKT1_SA_S7_PKT3_PKT4_S5_PT5_21rocsparse_index_base_b ; -- Begin function _ZN9rocsparseL20bsrxmvn_17_32_kernelILj18EfliaafEEvT2_20rocsparse_direction_NS_24const_host_device_scalarIT0_EES1_PKS1_PKT1_SA_S7_PKT3_PKT4_S5_PT5_21rocsparse_index_base_b
	.p2align	8
	.type	_ZN9rocsparseL20bsrxmvn_17_32_kernelILj18EfliaafEEvT2_20rocsparse_direction_NS_24const_host_device_scalarIT0_EES1_PKS1_PKT1_SA_S7_PKT3_PKT4_S5_PT5_21rocsparse_index_base_b,@function
_ZN9rocsparseL20bsrxmvn_17_32_kernelILj18EfliaafEEvT2_20rocsparse_direction_NS_24const_host_device_scalarIT0_EES1_PKS1_PKT1_SA_S7_PKT3_PKT4_S5_PT5_21rocsparse_index_base_b: ; @_ZN9rocsparseL20bsrxmvn_17_32_kernelILj18EfliaafEEvT2_20rocsparse_direction_NS_24const_host_device_scalarIT0_EES1_PKS1_PKT1_SA_S7_PKT3_PKT4_S5_PT5_21rocsparse_index_base_b
; %bb.0:
	s_load_dwordx2 s[18:19], s[4:5], 0x58
	s_load_dwordx2 s[14:15], s[4:5], 0x8
	;; [unrolled: 1-line block ×3, first 2 shown]
	s_waitcnt lgkmcnt(0)
	s_bitcmp1_b32 s19, 0
	s_cselect_b64 s[2:3], -1, 0
	s_xor_b64 s[0:1], s[2:3], -1
	s_and_b64 vcc, exec, s[2:3]
	s_cbranch_vccnz .LBB257_2
; %bb.1:
	s_load_dword s14, s[14:15], 0x0
.LBB257_2:
	s_andn2_b64 vcc, exec, s[0:1]
	s_cbranch_vccnz .LBB257_4
; %bb.3:
	s_load_dword s12, s[12:13], 0x0
.LBB257_4:
	s_waitcnt lgkmcnt(0)
	v_cmp_neq_f32_e64 s[0:1], s14, 0
	v_cmp_neq_f32_e64 s[2:3], s12, 1.0
	s_or_b64 s[0:1], s[0:1], s[2:3]
	s_andn2_b64 vcc, exec, s[0:1]
	s_cbranch_vccnz .LBB257_40
; %bb.5:
	s_load_dwordx4 s[0:3], s[4:5], 0x18
	s_load_dwordx2 s[8:9], s[4:5], 0x28
	s_waitcnt lgkmcnt(0)
	s_cmp_eq_u64 s[0:1], 0
	s_cbranch_scc1 .LBB257_7
; %bb.6:
	s_ashr_i32 s7, s6, 31
	s_lshl_b64 s[6:7], s[6:7], 2
	s_add_u32 s0, s0, s6
	s_addc_u32 s1, s1, s7
	s_load_dword s0, s[0:1], 0x0
	s_waitcnt lgkmcnt(0)
	s_sub_i32 s6, s0, s18
.LBB257_7:
	s_load_dword s7, s[4:5], 0x4
	s_load_dwordx2 s[16:17], s[4:5], 0x50
	v_mul_u32_u24_e32 v1, 0xe39, v0
	v_mov_b32_e32 v2, 18
	v_mul_lo_u16_sdwa v3, v1, v2 dst_sel:DWORD dst_unused:UNUSED_PAD src0_sel:WORD_1 src1_sel:DWORD
	s_waitcnt lgkmcnt(0)
	s_cmp_eq_u32 s7, 1
	s_cselect_b64 s[0:1], -1, 0
	s_cmp_lg_u32 s7, 1
	s_cselect_b64 s[20:21], -1, 0
	s_ashr_i32 s7, s6, 31
	s_lshl_b64 s[10:11], s[6:7], 3
	s_add_u32 s2, s2, s10
	s_addc_u32 s3, s3, s11
	s_add_u32 s7, s2, 8
	s_addc_u32 s13, s3, 0
	;; [unrolled: 2-line block ×3, first 2 shown]
	s_cmp_eq_u64 s[8:9], 0
	s_cselect_b32 s9, s13, s11
	s_cselect_b32 s8, s7, s10
	s_load_dwordx2 s[22:23], s[8:9], 0x0
	s_load_dwordx2 s[24:25], s[2:3], 0x0
	v_sub_u16_e32 v7, v0, v3
	v_mov_b32_e32 v6, 0
	s_waitcnt lgkmcnt(0)
	v_mov_b32_e32 v3, s22
	v_mov_b32_e32 v4, s23
	v_cmp_ge_i64_e32 vcc, s[24:25], v[3:4]
	s_cbranch_vccnz .LBB257_12
; %bb.8:
	v_mov_b32_e32 v3, 15
	s_load_dwordx4 s[8:11], s[4:5], 0x30
	s_load_dwordx2 s[2:3], s[4:5], 0x40
	s_sub_u32 s4, s22, s18
	v_mul_lo_u16_sdwa v3, v1, v3 dst_sel:DWORD dst_unused:UNUSED_PAD src0_sel:WORD_1 src1_sel:DWORD
	s_subb_u32 s5, s23, 0
	v_mul_lo_u16_sdwa v2, v3, v2 dst_sel:DWORD dst_unused:UNUSED_PAD src0_sel:BYTE_1 src1_sel:DWORD
	v_sub_u16_sdwa v1, v1, v2 dst_sel:DWORD dst_unused:UNUSED_PAD src0_sel:WORD_1 src1_sel:DWORD
	s_sub_u32 s22, s24, s18
	v_and_b32_e32 v1, 0xff, v1
	s_subb_u32 s23, s25, 0
	v_cndmask_b32_e64 v1, v7, v1, s[0:1]
	s_mul_i32 s0, s23, 0x144
	s_mul_hi_u32 s1, s22, 0x144
	s_add_i32 s1, s1, s0
	s_mul_i32 s0, s22, 0x144
	s_waitcnt lgkmcnt(0)
	s_add_u32 s0, s10, s0
	s_addc_u32 s1, s11, s1
	v_add_co_u32_e32 v2, vcc, s0, v0
	s_movk_i32 s0, 0x195
	v_mov_b32_e32 v3, s1
	v_mul_u32_u24_sdwa v4, v0, s0 dst_sel:DWORD dst_unused:UNUSED_PAD src0_sel:WORD_0 src1_sel:DWORD
	v_addc_co_u32_e32 v3, vcc, 0, v3, vcc
	v_lshrrev_b32_e32 v8, 17, v4
	v_mov_b32_e32 v4, s25
	v_add_co_u32_e32 v5, vcc, s24, v8
	v_addc_co_u32_e32 v9, vcc, 0, v4, vcc
	v_subrev_co_u32_e32 v4, vcc, s18, v5
	v_subbrev_co_u32_e32 v5, vcc, 0, v9, vcc
	v_lshlrev_b64 v[4:5], 2, v[4:5]
	v_mov_b32_e32 v9, s9
	v_add_co_u32_e32 v4, vcc, s8, v4
	v_mov_b32_e32 v6, 0
	v_addc_co_u32_e32 v5, vcc, v9, v5, vcc
	s_branch .LBB257_10
.LBB257_9:                              ;   in Loop: Header=BB257_10 Depth=1
	s_or_b64 exec, exec, s[0:1]
	s_add_u32 s22, s22, 1
	v_mov_b32_e32 v10, s5
	s_addc_u32 s23, s23, 0
	v_mov_b32_e32 v9, s4
	v_cmp_lt_i64_e32 vcc, s[22:23], v[9:10]
	v_add_co_u32_e64 v4, s[0:1], 4, v4
	v_addc_co_u32_e64 v5, s[0:1], 0, v5, s[0:1]
	s_cbranch_vccz .LBB257_12
.LBB257_10:                             ; =>This Inner Loop Header: Depth=1
	v_mov_b32_e32 v10, s23
	v_add_co_u32_e32 v9, vcc, s22, v8
	v_addc_co_u32_e32 v10, vcc, 0, v10, vcc
	v_cmp_gt_i64_e32 vcc, s[4:5], v[9:10]
	s_and_saveexec_b64 s[0:1], vcc
	s_cbranch_execz .LBB257_9
; %bb.11:                               ;   in Loop: Header=BB257_10 Depth=1
	global_load_dword v9, v[4:5], off
	global_load_sbyte v11, v[2:3], off
	s_waitcnt vmcnt(1)
	v_subrev_u32_e32 v9, s18, v9
	v_mad_u64_u32 v[9:10], s[8:9], v9, 18, v[1:2]
	v_mov_b32_e32 v10, s3
	v_ashrrev_i32_e32 v12, 31, v9
	v_add_co_u32_e32 v9, vcc, s2, v9
	v_addc_co_u32_e32 v10, vcc, v10, v12, vcc
	global_load_sbyte v9, v[9:10], off
	s_waitcnt vmcnt(1)
	v_cvt_f32_i32_e32 v10, v11
	v_add_co_u32_e32 v2, vcc, 0x144, v2
	v_addc_co_u32_e32 v3, vcc, 0, v3, vcc
	s_waitcnt vmcnt(0)
	v_cvt_f32_i32_e32 v9, v9
	v_fmac_f32_e32 v6, v10, v9
	s_branch .LBB257_9
.LBB257_12:
	v_lshlrev_b32_e32 v1, 2, v0
	s_and_b64 vcc, exec, s[20:21]
	ds_write_b32 v1, v6
	s_waitcnt lgkmcnt(0)
	s_barrier
	s_cbranch_vccz .LBB257_24
; %bb.13:
	v_cmp_gt_u16_e32 vcc, 2, v7
	s_and_saveexec_b64 s[0:1], vcc
	s_cbranch_execz .LBB257_15
; %bb.14:
	ds_read2_b32 v[2:3], v1 offset1:16
	s_waitcnt lgkmcnt(0)
	v_add_f32_e32 v2, v3, v2
	ds_write_b32 v1, v2
.LBB257_15:
	s_or_b64 exec, exec, s[0:1]
	v_cmp_gt_u16_e64 s[0:1], 8, v7
	s_waitcnt lgkmcnt(0)
	s_barrier
	s_and_saveexec_b64 s[2:3], s[0:1]
	s_cbranch_execz .LBB257_17
; %bb.16:
	ds_read2_b32 v[2:3], v1 offset1:8
	s_waitcnt lgkmcnt(0)
	v_add_f32_e32 v2, v3, v2
	ds_write_b32 v1, v2
.LBB257_17:
	s_or_b64 exec, exec, s[2:3]
	v_cmp_gt_u16_e64 s[0:1], 4, v7
	s_waitcnt lgkmcnt(0)
	s_barrier
	s_and_saveexec_b64 s[2:3], s[0:1]
	s_cbranch_execz .LBB257_19
; %bb.18:
	ds_read2_b32 v[2:3], v1 offset1:4
	s_waitcnt lgkmcnt(0)
	v_add_f32_e32 v2, v3, v2
	ds_write_b32 v1, v2
.LBB257_19:
	s_or_b64 exec, exec, s[2:3]
	s_waitcnt lgkmcnt(0)
	s_barrier
	s_and_saveexec_b64 s[0:1], vcc
	s_cbranch_execz .LBB257_21
; %bb.20:
	ds_read2_b32 v[2:3], v1 offset1:2
	s_waitcnt lgkmcnt(0)
	v_add_f32_e32 v2, v3, v2
	ds_write_b32 v1, v2
.LBB257_21:
	s_or_b64 exec, exec, s[0:1]
	v_cmp_gt_u32_e32 vcc, 18, v0
	v_mov_b32_e32 v2, v6
	s_waitcnt lgkmcnt(0)
	s_barrier
	s_and_saveexec_b64 s[0:1], vcc
	s_cbranch_execz .LBB257_23
; %bb.22:
	s_movk_i32 s2, 0x44
	v_mad_u32_u24 v2, v0, s2, v1
	ds_read_b64 v[2:3], v2
	s_waitcnt lgkmcnt(0)
	v_add_f32_e32 v2, v2, v3
.LBB257_23:
	s_or_b64 exec, exec, s[0:1]
	s_branch .LBB257_36
.LBB257_24:
                                        ; implicit-def: $vgpr2
	s_cbranch_execz .LBB257_36
; %bb.25:
	v_cmp_gt_u32_e32 vcc, 36, v0
	s_and_saveexec_b64 s[0:1], vcc
	s_cbranch_execz .LBB257_27
; %bb.26:
	ds_read_b32 v2, v1 offset:1152
	ds_read_b32 v3, v1
	s_waitcnt lgkmcnt(0)
	v_add_f32_e32 v2, v2, v3
	ds_write_b32 v1, v2
.LBB257_27:
	s_or_b64 exec, exec, s[0:1]
	s_movk_i32 s0, 0x90
	v_cmp_gt_u32_e64 s[0:1], s0, v0
	s_waitcnt lgkmcnt(0)
	s_barrier
	s_and_saveexec_b64 s[2:3], s[0:1]
	s_cbranch_execz .LBB257_29
; %bb.28:
	ds_read2_b32 v[2:3], v1 offset1:144
	s_waitcnt lgkmcnt(0)
	v_add_f32_e32 v2, v3, v2
	ds_write_b32 v1, v2
.LBB257_29:
	s_or_b64 exec, exec, s[2:3]
	s_movk_i32 s0, 0x48
	v_cmp_gt_u32_e64 s[0:1], s0, v0
	s_waitcnt lgkmcnt(0)
	s_barrier
	s_and_saveexec_b64 s[2:3], s[0:1]
	s_cbranch_execz .LBB257_31
; %bb.30:
	ds_read2_b32 v[2:3], v1 offset1:72
	s_waitcnt lgkmcnt(0)
	v_add_f32_e32 v2, v3, v2
	ds_write_b32 v1, v2
.LBB257_31:
	s_or_b64 exec, exec, s[2:3]
	s_waitcnt lgkmcnt(0)
	s_barrier
	s_and_saveexec_b64 s[0:1], vcc
	s_cbranch_execz .LBB257_33
; %bb.32:
	ds_read2_b32 v[2:3], v1 offset1:36
	s_waitcnt lgkmcnt(0)
	v_add_f32_e32 v2, v3, v2
	ds_write_b32 v1, v2
.LBB257_33:
	s_or_b64 exec, exec, s[0:1]
	v_cmp_gt_u32_e32 vcc, 18, v0
	s_waitcnt lgkmcnt(0)
	s_and_saveexec_b64 s[0:1], vcc
	s_cbranch_execz .LBB257_35
; %bb.34:
	ds_read2_b32 v[1:2], v1 offset1:18
	s_waitcnt lgkmcnt(0)
	v_add_f32_e32 v6, v1, v2
.LBB257_35:
	s_or_b64 exec, exec, s[0:1]
	v_mov_b32_e32 v2, v6
.LBB257_36:
	v_cmp_gt_u32_e32 vcc, 18, v0
	s_and_saveexec_b64 s[0:1], vcc
	s_cbranch_execz .LBB257_40
; %bb.37:
	v_cmp_eq_f32_e64 s[0:1], s12, 0
	s_and_b64 vcc, exec, s[0:1]
	v_mul_f32_e32 v1, s14, v2
	s_cbranch_vccz .LBB257_41
; %bb.38:
	v_mad_u64_u32 v[2:3], s[0:1], s6, 18, v[0:1]
	v_mov_b32_e32 v3, 0
	v_mov_b32_e32 v4, s17
	v_lshlrev_b64 v[2:3], 2, v[2:3]
	v_add_co_u32_e32 v2, vcc, s16, v2
	v_addc_co_u32_e32 v3, vcc, v4, v3, vcc
	global_store_dword v[2:3], v1, off
	s_cbranch_execnz .LBB257_40
.LBB257_39:
	v_mad_u64_u32 v[2:3], s[0:1], s6, 18, v[0:1]
	v_mov_b32_e32 v3, 0
	v_mov_b32_e32 v0, s17
	v_lshlrev_b64 v[2:3], 2, v[2:3]
	v_add_co_u32_e32 v2, vcc, s16, v2
	v_addc_co_u32_e32 v3, vcc, v0, v3, vcc
	global_load_dword v0, v[2:3], off
	s_waitcnt vmcnt(0)
	v_fmac_f32_e32 v1, s12, v0
	global_store_dword v[2:3], v1, off
.LBB257_40:
	s_endpgm
.LBB257_41:
	s_branch .LBB257_39
	.section	.rodata,"a",@progbits
	.p2align	6, 0x0
	.amdhsa_kernel _ZN9rocsparseL20bsrxmvn_17_32_kernelILj18EfliaafEEvT2_20rocsparse_direction_NS_24const_host_device_scalarIT0_EES1_PKS1_PKT1_SA_S7_PKT3_PKT4_S5_PT5_21rocsparse_index_base_b
		.amdhsa_group_segment_fixed_size 1296
		.amdhsa_private_segment_fixed_size 0
		.amdhsa_kernarg_size 96
		.amdhsa_user_sgpr_count 6
		.amdhsa_user_sgpr_private_segment_buffer 1
		.amdhsa_user_sgpr_dispatch_ptr 0
		.amdhsa_user_sgpr_queue_ptr 0
		.amdhsa_user_sgpr_kernarg_segment_ptr 1
		.amdhsa_user_sgpr_dispatch_id 0
		.amdhsa_user_sgpr_flat_scratch_init 0
		.amdhsa_user_sgpr_private_segment_size 0
		.amdhsa_uses_dynamic_stack 0
		.amdhsa_system_sgpr_private_segment_wavefront_offset 0
		.amdhsa_system_sgpr_workgroup_id_x 1
		.amdhsa_system_sgpr_workgroup_id_y 0
		.amdhsa_system_sgpr_workgroup_id_z 0
		.amdhsa_system_sgpr_workgroup_info 0
		.amdhsa_system_vgpr_workitem_id 0
		.amdhsa_next_free_vgpr 13
		.amdhsa_next_free_sgpr 26
		.amdhsa_reserve_vcc 1
		.amdhsa_reserve_flat_scratch 0
		.amdhsa_float_round_mode_32 0
		.amdhsa_float_round_mode_16_64 0
		.amdhsa_float_denorm_mode_32 3
		.amdhsa_float_denorm_mode_16_64 3
		.amdhsa_dx10_clamp 1
		.amdhsa_ieee_mode 1
		.amdhsa_fp16_overflow 0
		.amdhsa_exception_fp_ieee_invalid_op 0
		.amdhsa_exception_fp_denorm_src 0
		.amdhsa_exception_fp_ieee_div_zero 0
		.amdhsa_exception_fp_ieee_overflow 0
		.amdhsa_exception_fp_ieee_underflow 0
		.amdhsa_exception_fp_ieee_inexact 0
		.amdhsa_exception_int_div_zero 0
	.end_amdhsa_kernel
	.section	.text._ZN9rocsparseL20bsrxmvn_17_32_kernelILj18EfliaafEEvT2_20rocsparse_direction_NS_24const_host_device_scalarIT0_EES1_PKS1_PKT1_SA_S7_PKT3_PKT4_S5_PT5_21rocsparse_index_base_b,"axG",@progbits,_ZN9rocsparseL20bsrxmvn_17_32_kernelILj18EfliaafEEvT2_20rocsparse_direction_NS_24const_host_device_scalarIT0_EES1_PKS1_PKT1_SA_S7_PKT3_PKT4_S5_PT5_21rocsparse_index_base_b,comdat
.Lfunc_end257:
	.size	_ZN9rocsparseL20bsrxmvn_17_32_kernelILj18EfliaafEEvT2_20rocsparse_direction_NS_24const_host_device_scalarIT0_EES1_PKS1_PKT1_SA_S7_PKT3_PKT4_S5_PT5_21rocsparse_index_base_b, .Lfunc_end257-_ZN9rocsparseL20bsrxmvn_17_32_kernelILj18EfliaafEEvT2_20rocsparse_direction_NS_24const_host_device_scalarIT0_EES1_PKS1_PKT1_SA_S7_PKT3_PKT4_S5_PT5_21rocsparse_index_base_b
                                        ; -- End function
	.set _ZN9rocsparseL20bsrxmvn_17_32_kernelILj18EfliaafEEvT2_20rocsparse_direction_NS_24const_host_device_scalarIT0_EES1_PKS1_PKT1_SA_S7_PKT3_PKT4_S5_PT5_21rocsparse_index_base_b.num_vgpr, 13
	.set _ZN9rocsparseL20bsrxmvn_17_32_kernelILj18EfliaafEEvT2_20rocsparse_direction_NS_24const_host_device_scalarIT0_EES1_PKS1_PKT1_SA_S7_PKT3_PKT4_S5_PT5_21rocsparse_index_base_b.num_agpr, 0
	.set _ZN9rocsparseL20bsrxmvn_17_32_kernelILj18EfliaafEEvT2_20rocsparse_direction_NS_24const_host_device_scalarIT0_EES1_PKS1_PKT1_SA_S7_PKT3_PKT4_S5_PT5_21rocsparse_index_base_b.numbered_sgpr, 26
	.set _ZN9rocsparseL20bsrxmvn_17_32_kernelILj18EfliaafEEvT2_20rocsparse_direction_NS_24const_host_device_scalarIT0_EES1_PKS1_PKT1_SA_S7_PKT3_PKT4_S5_PT5_21rocsparse_index_base_b.num_named_barrier, 0
	.set _ZN9rocsparseL20bsrxmvn_17_32_kernelILj18EfliaafEEvT2_20rocsparse_direction_NS_24const_host_device_scalarIT0_EES1_PKS1_PKT1_SA_S7_PKT3_PKT4_S5_PT5_21rocsparse_index_base_b.private_seg_size, 0
	.set _ZN9rocsparseL20bsrxmvn_17_32_kernelILj18EfliaafEEvT2_20rocsparse_direction_NS_24const_host_device_scalarIT0_EES1_PKS1_PKT1_SA_S7_PKT3_PKT4_S5_PT5_21rocsparse_index_base_b.uses_vcc, 1
	.set _ZN9rocsparseL20bsrxmvn_17_32_kernelILj18EfliaafEEvT2_20rocsparse_direction_NS_24const_host_device_scalarIT0_EES1_PKS1_PKT1_SA_S7_PKT3_PKT4_S5_PT5_21rocsparse_index_base_b.uses_flat_scratch, 0
	.set _ZN9rocsparseL20bsrxmvn_17_32_kernelILj18EfliaafEEvT2_20rocsparse_direction_NS_24const_host_device_scalarIT0_EES1_PKS1_PKT1_SA_S7_PKT3_PKT4_S5_PT5_21rocsparse_index_base_b.has_dyn_sized_stack, 0
	.set _ZN9rocsparseL20bsrxmvn_17_32_kernelILj18EfliaafEEvT2_20rocsparse_direction_NS_24const_host_device_scalarIT0_EES1_PKS1_PKT1_SA_S7_PKT3_PKT4_S5_PT5_21rocsparse_index_base_b.has_recursion, 0
	.set _ZN9rocsparseL20bsrxmvn_17_32_kernelILj18EfliaafEEvT2_20rocsparse_direction_NS_24const_host_device_scalarIT0_EES1_PKS1_PKT1_SA_S7_PKT3_PKT4_S5_PT5_21rocsparse_index_base_b.has_indirect_call, 0
	.section	.AMDGPU.csdata,"",@progbits
; Kernel info:
; codeLenInByte = 1324
; TotalNumSgprs: 30
; NumVgprs: 13
; ScratchSize: 0
; MemoryBound: 0
; FloatMode: 240
; IeeeMode: 1
; LDSByteSize: 1296 bytes/workgroup (compile time only)
; SGPRBlocks: 3
; VGPRBlocks: 3
; NumSGPRsForWavesPerEU: 30
; NumVGPRsForWavesPerEU: 13
; Occupancy: 10
; WaveLimiterHint : 1
; COMPUTE_PGM_RSRC2:SCRATCH_EN: 0
; COMPUTE_PGM_RSRC2:USER_SGPR: 6
; COMPUTE_PGM_RSRC2:TRAP_HANDLER: 0
; COMPUTE_PGM_RSRC2:TGID_X_EN: 1
; COMPUTE_PGM_RSRC2:TGID_Y_EN: 0
; COMPUTE_PGM_RSRC2:TGID_Z_EN: 0
; COMPUTE_PGM_RSRC2:TIDIG_COMP_CNT: 0
	.section	.text._ZN9rocsparseL20bsrxmvn_17_32_kernelILj19EfliaafEEvT2_20rocsparse_direction_NS_24const_host_device_scalarIT0_EES1_PKS1_PKT1_SA_S7_PKT3_PKT4_S5_PT5_21rocsparse_index_base_b,"axG",@progbits,_ZN9rocsparseL20bsrxmvn_17_32_kernelILj19EfliaafEEvT2_20rocsparse_direction_NS_24const_host_device_scalarIT0_EES1_PKS1_PKT1_SA_S7_PKT3_PKT4_S5_PT5_21rocsparse_index_base_b,comdat
	.globl	_ZN9rocsparseL20bsrxmvn_17_32_kernelILj19EfliaafEEvT2_20rocsparse_direction_NS_24const_host_device_scalarIT0_EES1_PKS1_PKT1_SA_S7_PKT3_PKT4_S5_PT5_21rocsparse_index_base_b ; -- Begin function _ZN9rocsparseL20bsrxmvn_17_32_kernelILj19EfliaafEEvT2_20rocsparse_direction_NS_24const_host_device_scalarIT0_EES1_PKS1_PKT1_SA_S7_PKT3_PKT4_S5_PT5_21rocsparse_index_base_b
	.p2align	8
	.type	_ZN9rocsparseL20bsrxmvn_17_32_kernelILj19EfliaafEEvT2_20rocsparse_direction_NS_24const_host_device_scalarIT0_EES1_PKS1_PKT1_SA_S7_PKT3_PKT4_S5_PT5_21rocsparse_index_base_b,@function
_ZN9rocsparseL20bsrxmvn_17_32_kernelILj19EfliaafEEvT2_20rocsparse_direction_NS_24const_host_device_scalarIT0_EES1_PKS1_PKT1_SA_S7_PKT3_PKT4_S5_PT5_21rocsparse_index_base_b: ; @_ZN9rocsparseL20bsrxmvn_17_32_kernelILj19EfliaafEEvT2_20rocsparse_direction_NS_24const_host_device_scalarIT0_EES1_PKS1_PKT1_SA_S7_PKT3_PKT4_S5_PT5_21rocsparse_index_base_b
; %bb.0:
	s_load_dwordx2 s[18:19], s[4:5], 0x58
	s_load_dwordx2 s[14:15], s[4:5], 0x8
	;; [unrolled: 1-line block ×3, first 2 shown]
	s_waitcnt lgkmcnt(0)
	s_bitcmp1_b32 s19, 0
	s_cselect_b64 s[2:3], -1, 0
	s_xor_b64 s[0:1], s[2:3], -1
	s_and_b64 vcc, exec, s[2:3]
	s_cbranch_vccnz .LBB258_2
; %bb.1:
	s_load_dword s14, s[14:15], 0x0
.LBB258_2:
	s_andn2_b64 vcc, exec, s[0:1]
	s_cbranch_vccnz .LBB258_4
; %bb.3:
	s_load_dword s12, s[12:13], 0x0
.LBB258_4:
	s_waitcnt lgkmcnt(0)
	v_cmp_neq_f32_e64 s[0:1], s14, 0
	v_cmp_neq_f32_e64 s[2:3], s12, 1.0
	s_or_b64 s[0:1], s[0:1], s[2:3]
	s_andn2_b64 vcc, exec, s[0:1]
	s_cbranch_vccnz .LBB258_40
; %bb.5:
	s_load_dwordx4 s[0:3], s[4:5], 0x18
	s_load_dwordx2 s[8:9], s[4:5], 0x28
	s_waitcnt lgkmcnt(0)
	s_cmp_eq_u64 s[0:1], 0
	s_cbranch_scc1 .LBB258_7
; %bb.6:
	s_ashr_i32 s7, s6, 31
	s_lshl_b64 s[6:7], s[6:7], 2
	s_add_u32 s0, s0, s6
	s_addc_u32 s1, s1, s7
	s_load_dword s0, s[0:1], 0x0
	s_waitcnt lgkmcnt(0)
	s_sub_i32 s6, s0, s18
.LBB258_7:
	s_load_dword s7, s[4:5], 0x4
	s_load_dwordx2 s[16:17], s[4:5], 0x50
	v_mul_u32_u24_e32 v1, 0xd7a, v0
	v_mov_b32_e32 v2, 19
	v_mul_lo_u16_sdwa v3, v1, v2 dst_sel:DWORD dst_unused:UNUSED_PAD src0_sel:WORD_1 src1_sel:DWORD
	s_waitcnt lgkmcnt(0)
	s_cmp_eq_u32 s7, 1
	s_cselect_b64 s[0:1], -1, 0
	s_cmp_lg_u32 s7, 1
	s_cselect_b64 s[20:21], -1, 0
	s_ashr_i32 s7, s6, 31
	s_lshl_b64 s[10:11], s[6:7], 3
	s_add_u32 s2, s2, s10
	s_addc_u32 s3, s3, s11
	s_add_u32 s7, s2, 8
	s_addc_u32 s13, s3, 0
	;; [unrolled: 2-line block ×3, first 2 shown]
	s_cmp_eq_u64 s[8:9], 0
	s_cselect_b32 s9, s13, s11
	s_cselect_b32 s8, s7, s10
	s_load_dwordx2 s[22:23], s[8:9], 0x0
	s_load_dwordx2 s[24:25], s[2:3], 0x0
	v_sub_u16_e32 v7, v0, v3
	v_mov_b32_e32 v6, 0
	s_waitcnt lgkmcnt(0)
	v_mov_b32_e32 v3, s22
	v_mov_b32_e32 v4, s23
	v_cmp_ge_i64_e32 vcc, s[24:25], v[3:4]
	s_cbranch_vccnz .LBB258_12
; %bb.8:
	v_mov_b32_e32 v3, 14
	s_load_dwordx4 s[8:11], s[4:5], 0x30
	s_load_dwordx2 s[2:3], s[4:5], 0x40
	s_sub_u32 s4, s22, s18
	v_mul_lo_u16_sdwa v3, v1, v3 dst_sel:DWORD dst_unused:UNUSED_PAD src0_sel:WORD_1 src1_sel:DWORD
	s_subb_u32 s5, s23, 0
	v_mul_lo_u16_sdwa v2, v3, v2 dst_sel:DWORD dst_unused:UNUSED_PAD src0_sel:BYTE_1 src1_sel:DWORD
	v_sub_u16_sdwa v1, v1, v2 dst_sel:DWORD dst_unused:UNUSED_PAD src0_sel:WORD_1 src1_sel:DWORD
	s_sub_u32 s22, s24, s18
	v_and_b32_e32 v1, 0xff, v1
	s_subb_u32 s23, s25, 0
	v_cndmask_b32_e64 v1, v7, v1, s[0:1]
	s_mul_i32 s0, s23, 0x169
	s_mul_hi_u32 s1, s22, 0x169
	s_add_i32 s1, s1, s0
	s_mul_i32 s0, s22, 0x169
	s_waitcnt lgkmcnt(0)
	s_add_u32 s0, s10, s0
	s_addc_u32 s1, s11, s1
	v_add_co_u32_e32 v2, vcc, s0, v0
	s_movk_i32 s0, 0xb6
	v_mov_b32_e32 v3, s1
	v_mul_u32_u24_sdwa v4, v0, s0 dst_sel:DWORD dst_unused:UNUSED_PAD src0_sel:WORD_0 src1_sel:DWORD
	v_addc_co_u32_e32 v3, vcc, 0, v3, vcc
	v_lshrrev_b32_e32 v8, 16, v4
	v_mov_b32_e32 v4, s25
	v_add_co_u32_e32 v5, vcc, s24, v8
	v_addc_co_u32_e32 v9, vcc, 0, v4, vcc
	v_subrev_co_u32_e32 v4, vcc, s18, v5
	v_subbrev_co_u32_e32 v5, vcc, 0, v9, vcc
	v_lshlrev_b64 v[4:5], 2, v[4:5]
	v_mov_b32_e32 v9, s9
	v_add_co_u32_e32 v4, vcc, s8, v4
	v_mov_b32_e32 v6, 0
	v_addc_co_u32_e32 v5, vcc, v9, v5, vcc
	s_branch .LBB258_10
.LBB258_9:                              ;   in Loop: Header=BB258_10 Depth=1
	s_or_b64 exec, exec, s[0:1]
	s_add_u32 s22, s22, 1
	v_mov_b32_e32 v10, s5
	s_addc_u32 s23, s23, 0
	v_mov_b32_e32 v9, s4
	v_cmp_lt_i64_e32 vcc, s[22:23], v[9:10]
	v_add_co_u32_e64 v4, s[0:1], 4, v4
	v_addc_co_u32_e64 v5, s[0:1], 0, v5, s[0:1]
	s_cbranch_vccz .LBB258_12
.LBB258_10:                             ; =>This Inner Loop Header: Depth=1
	v_mov_b32_e32 v10, s23
	v_add_co_u32_e32 v9, vcc, s22, v8
	v_addc_co_u32_e32 v10, vcc, 0, v10, vcc
	v_cmp_gt_i64_e32 vcc, s[4:5], v[9:10]
	s_and_saveexec_b64 s[0:1], vcc
	s_cbranch_execz .LBB258_9
; %bb.11:                               ;   in Loop: Header=BB258_10 Depth=1
	global_load_dword v9, v[4:5], off
	global_load_sbyte v11, v[2:3], off
	s_waitcnt vmcnt(1)
	v_subrev_u32_e32 v9, s18, v9
	v_mad_u64_u32 v[9:10], s[8:9], v9, 19, v[1:2]
	v_mov_b32_e32 v10, s3
	v_ashrrev_i32_e32 v12, 31, v9
	v_add_co_u32_e32 v9, vcc, s2, v9
	v_addc_co_u32_e32 v10, vcc, v10, v12, vcc
	global_load_sbyte v9, v[9:10], off
	s_waitcnt vmcnt(1)
	v_cvt_f32_i32_e32 v10, v11
	v_add_co_u32_e32 v2, vcc, 0x169, v2
	v_addc_co_u32_e32 v3, vcc, 0, v3, vcc
	s_waitcnt vmcnt(0)
	v_cvt_f32_i32_e32 v9, v9
	v_fmac_f32_e32 v6, v10, v9
	s_branch .LBB258_9
.LBB258_12:
	v_lshlrev_b32_e32 v1, 2, v0
	s_and_b64 vcc, exec, s[20:21]
	ds_write_b32 v1, v6
	s_waitcnt lgkmcnt(0)
	s_barrier
	s_cbranch_vccz .LBB258_24
; %bb.13:
	v_cmp_gt_u16_e32 vcc, 3, v7
	s_and_saveexec_b64 s[0:1], vcc
	s_cbranch_execz .LBB258_15
; %bb.14:
	ds_read2_b32 v[2:3], v1 offset1:16
	s_waitcnt lgkmcnt(0)
	v_add_f32_e32 v2, v3, v2
	ds_write_b32 v1, v2
.LBB258_15:
	s_or_b64 exec, exec, s[0:1]
	v_cmp_gt_u16_e32 vcc, 8, v7
	s_waitcnt lgkmcnt(0)
	s_barrier
	s_and_saveexec_b64 s[0:1], vcc
	s_cbranch_execz .LBB258_17
; %bb.16:
	ds_read2_b32 v[2:3], v1 offset1:8
	s_waitcnt lgkmcnt(0)
	v_add_f32_e32 v2, v3, v2
	ds_write_b32 v1, v2
.LBB258_17:
	s_or_b64 exec, exec, s[0:1]
	v_cmp_gt_u16_e32 vcc, 4, v7
	s_waitcnt lgkmcnt(0)
	s_barrier
	;; [unrolled: 12-line block ×3, first 2 shown]
	s_and_saveexec_b64 s[0:1], vcc
	s_cbranch_execz .LBB258_21
; %bb.20:
	ds_read2_b32 v[2:3], v1 offset1:2
	s_waitcnt lgkmcnt(0)
	v_add_f32_e32 v2, v3, v2
	ds_write_b32 v1, v2
.LBB258_21:
	s_or_b64 exec, exec, s[0:1]
	v_cmp_gt_u32_e32 vcc, 19, v0
	v_mov_b32_e32 v2, v6
	s_waitcnt lgkmcnt(0)
	s_barrier
	s_and_saveexec_b64 s[0:1], vcc
	s_cbranch_execz .LBB258_23
; %bb.22:
	s_movk_i32 s2, 0x48
	v_mad_u32_u24 v2, v0, s2, v1
	ds_read2_b32 v[2:3], v2 offset1:1
	s_waitcnt lgkmcnt(0)
	v_add_f32_e32 v2, v2, v3
.LBB258_23:
	s_or_b64 exec, exec, s[0:1]
	s_branch .LBB258_36
.LBB258_24:
                                        ; implicit-def: $vgpr2
	s_cbranch_execz .LBB258_36
; %bb.25:
	v_cmp_gt_u32_e32 vcc, 57, v0
	s_and_saveexec_b64 s[0:1], vcc
	s_cbranch_execz .LBB258_27
; %bb.26:
	ds_read_b32 v2, v1 offset:1216
	ds_read_b32 v3, v1
	s_waitcnt lgkmcnt(0)
	v_add_f32_e32 v2, v2, v3
	ds_write_b32 v1, v2
.LBB258_27:
	s_or_b64 exec, exec, s[0:1]
	s_movk_i32 s0, 0x98
	v_cmp_gt_u32_e32 vcc, s0, v0
	s_waitcnt lgkmcnt(0)
	s_barrier
	s_and_saveexec_b64 s[0:1], vcc
	s_cbranch_execz .LBB258_29
; %bb.28:
	ds_read2_b32 v[2:3], v1 offset1:152
	s_waitcnt lgkmcnt(0)
	v_add_f32_e32 v2, v3, v2
	ds_write_b32 v1, v2
.LBB258_29:
	s_or_b64 exec, exec, s[0:1]
	s_movk_i32 s0, 0x4c
	v_cmp_gt_u32_e32 vcc, s0, v0
	s_waitcnt lgkmcnt(0)
	s_barrier
	s_and_saveexec_b64 s[0:1], vcc
	s_cbranch_execz .LBB258_31
; %bb.30:
	ds_read2_b32 v[2:3], v1 offset1:76
	s_waitcnt lgkmcnt(0)
	v_add_f32_e32 v2, v3, v2
	ds_write_b32 v1, v2
.LBB258_31:
	s_or_b64 exec, exec, s[0:1]
	v_cmp_gt_u32_e32 vcc, 38, v0
	s_waitcnt lgkmcnt(0)
	s_barrier
	s_and_saveexec_b64 s[0:1], vcc
	s_cbranch_execz .LBB258_33
; %bb.32:
	ds_read2_b32 v[2:3], v1 offset1:38
	s_waitcnt lgkmcnt(0)
	v_add_f32_e32 v2, v3, v2
	ds_write_b32 v1, v2
.LBB258_33:
	s_or_b64 exec, exec, s[0:1]
	v_cmp_gt_u32_e32 vcc, 19, v0
	s_waitcnt lgkmcnt(0)
	s_and_saveexec_b64 s[0:1], vcc
	s_cbranch_execz .LBB258_35
; %bb.34:
	ds_read2_b32 v[1:2], v1 offset1:19
	s_waitcnt lgkmcnt(0)
	v_add_f32_e32 v6, v1, v2
.LBB258_35:
	s_or_b64 exec, exec, s[0:1]
	v_mov_b32_e32 v2, v6
.LBB258_36:
	v_cmp_gt_u32_e32 vcc, 19, v0
	s_and_saveexec_b64 s[0:1], vcc
	s_cbranch_execz .LBB258_40
; %bb.37:
	v_cmp_eq_f32_e64 s[0:1], s12, 0
	s_and_b64 vcc, exec, s[0:1]
	v_mul_f32_e32 v1, s14, v2
	s_cbranch_vccz .LBB258_41
; %bb.38:
	v_mad_u64_u32 v[2:3], s[0:1], s6, 19, v[0:1]
	v_mov_b32_e32 v3, 0
	v_mov_b32_e32 v4, s17
	v_lshlrev_b64 v[2:3], 2, v[2:3]
	v_add_co_u32_e32 v2, vcc, s16, v2
	v_addc_co_u32_e32 v3, vcc, v4, v3, vcc
	global_store_dword v[2:3], v1, off
	s_cbranch_execnz .LBB258_40
.LBB258_39:
	v_mad_u64_u32 v[2:3], s[0:1], s6, 19, v[0:1]
	v_mov_b32_e32 v3, 0
	v_mov_b32_e32 v0, s17
	v_lshlrev_b64 v[2:3], 2, v[2:3]
	v_add_co_u32_e32 v2, vcc, s16, v2
	v_addc_co_u32_e32 v3, vcc, v0, v3, vcc
	global_load_dword v0, v[2:3], off
	s_waitcnt vmcnt(0)
	v_fmac_f32_e32 v1, s12, v0
	global_store_dword v[2:3], v1, off
.LBB258_40:
	s_endpgm
.LBB258_41:
	s_branch .LBB258_39
	.section	.rodata,"a",@progbits
	.p2align	6, 0x0
	.amdhsa_kernel _ZN9rocsparseL20bsrxmvn_17_32_kernelILj19EfliaafEEvT2_20rocsparse_direction_NS_24const_host_device_scalarIT0_EES1_PKS1_PKT1_SA_S7_PKT3_PKT4_S5_PT5_21rocsparse_index_base_b
		.amdhsa_group_segment_fixed_size 1444
		.amdhsa_private_segment_fixed_size 0
		.amdhsa_kernarg_size 96
		.amdhsa_user_sgpr_count 6
		.amdhsa_user_sgpr_private_segment_buffer 1
		.amdhsa_user_sgpr_dispatch_ptr 0
		.amdhsa_user_sgpr_queue_ptr 0
		.amdhsa_user_sgpr_kernarg_segment_ptr 1
		.amdhsa_user_sgpr_dispatch_id 0
		.amdhsa_user_sgpr_flat_scratch_init 0
		.amdhsa_user_sgpr_private_segment_size 0
		.amdhsa_uses_dynamic_stack 0
		.amdhsa_system_sgpr_private_segment_wavefront_offset 0
		.amdhsa_system_sgpr_workgroup_id_x 1
		.amdhsa_system_sgpr_workgroup_id_y 0
		.amdhsa_system_sgpr_workgroup_id_z 0
		.amdhsa_system_sgpr_workgroup_info 0
		.amdhsa_system_vgpr_workitem_id 0
		.amdhsa_next_free_vgpr 13
		.amdhsa_next_free_sgpr 26
		.amdhsa_reserve_vcc 1
		.amdhsa_reserve_flat_scratch 0
		.amdhsa_float_round_mode_32 0
		.amdhsa_float_round_mode_16_64 0
		.amdhsa_float_denorm_mode_32 3
		.amdhsa_float_denorm_mode_16_64 3
		.amdhsa_dx10_clamp 1
		.amdhsa_ieee_mode 1
		.amdhsa_fp16_overflow 0
		.amdhsa_exception_fp_ieee_invalid_op 0
		.amdhsa_exception_fp_denorm_src 0
		.amdhsa_exception_fp_ieee_div_zero 0
		.amdhsa_exception_fp_ieee_overflow 0
		.amdhsa_exception_fp_ieee_underflow 0
		.amdhsa_exception_fp_ieee_inexact 0
		.amdhsa_exception_int_div_zero 0
	.end_amdhsa_kernel
	.section	.text._ZN9rocsparseL20bsrxmvn_17_32_kernelILj19EfliaafEEvT2_20rocsparse_direction_NS_24const_host_device_scalarIT0_EES1_PKS1_PKT1_SA_S7_PKT3_PKT4_S5_PT5_21rocsparse_index_base_b,"axG",@progbits,_ZN9rocsparseL20bsrxmvn_17_32_kernelILj19EfliaafEEvT2_20rocsparse_direction_NS_24const_host_device_scalarIT0_EES1_PKS1_PKT1_SA_S7_PKT3_PKT4_S5_PT5_21rocsparse_index_base_b,comdat
.Lfunc_end258:
	.size	_ZN9rocsparseL20bsrxmvn_17_32_kernelILj19EfliaafEEvT2_20rocsparse_direction_NS_24const_host_device_scalarIT0_EES1_PKS1_PKT1_SA_S7_PKT3_PKT4_S5_PT5_21rocsparse_index_base_b, .Lfunc_end258-_ZN9rocsparseL20bsrxmvn_17_32_kernelILj19EfliaafEEvT2_20rocsparse_direction_NS_24const_host_device_scalarIT0_EES1_PKS1_PKT1_SA_S7_PKT3_PKT4_S5_PT5_21rocsparse_index_base_b
                                        ; -- End function
	.set _ZN9rocsparseL20bsrxmvn_17_32_kernelILj19EfliaafEEvT2_20rocsparse_direction_NS_24const_host_device_scalarIT0_EES1_PKS1_PKT1_SA_S7_PKT3_PKT4_S5_PT5_21rocsparse_index_base_b.num_vgpr, 13
	.set _ZN9rocsparseL20bsrxmvn_17_32_kernelILj19EfliaafEEvT2_20rocsparse_direction_NS_24const_host_device_scalarIT0_EES1_PKS1_PKT1_SA_S7_PKT3_PKT4_S5_PT5_21rocsparse_index_base_b.num_agpr, 0
	.set _ZN9rocsparseL20bsrxmvn_17_32_kernelILj19EfliaafEEvT2_20rocsparse_direction_NS_24const_host_device_scalarIT0_EES1_PKS1_PKT1_SA_S7_PKT3_PKT4_S5_PT5_21rocsparse_index_base_b.numbered_sgpr, 26
	.set _ZN9rocsparseL20bsrxmvn_17_32_kernelILj19EfliaafEEvT2_20rocsparse_direction_NS_24const_host_device_scalarIT0_EES1_PKS1_PKT1_SA_S7_PKT3_PKT4_S5_PT5_21rocsparse_index_base_b.num_named_barrier, 0
	.set _ZN9rocsparseL20bsrxmvn_17_32_kernelILj19EfliaafEEvT2_20rocsparse_direction_NS_24const_host_device_scalarIT0_EES1_PKS1_PKT1_SA_S7_PKT3_PKT4_S5_PT5_21rocsparse_index_base_b.private_seg_size, 0
	.set _ZN9rocsparseL20bsrxmvn_17_32_kernelILj19EfliaafEEvT2_20rocsparse_direction_NS_24const_host_device_scalarIT0_EES1_PKS1_PKT1_SA_S7_PKT3_PKT4_S5_PT5_21rocsparse_index_base_b.uses_vcc, 1
	.set _ZN9rocsparseL20bsrxmvn_17_32_kernelILj19EfliaafEEvT2_20rocsparse_direction_NS_24const_host_device_scalarIT0_EES1_PKS1_PKT1_SA_S7_PKT3_PKT4_S5_PT5_21rocsparse_index_base_b.uses_flat_scratch, 0
	.set _ZN9rocsparseL20bsrxmvn_17_32_kernelILj19EfliaafEEvT2_20rocsparse_direction_NS_24const_host_device_scalarIT0_EES1_PKS1_PKT1_SA_S7_PKT3_PKT4_S5_PT5_21rocsparse_index_base_b.has_dyn_sized_stack, 0
	.set _ZN9rocsparseL20bsrxmvn_17_32_kernelILj19EfliaafEEvT2_20rocsparse_direction_NS_24const_host_device_scalarIT0_EES1_PKS1_PKT1_SA_S7_PKT3_PKT4_S5_PT5_21rocsparse_index_base_b.has_recursion, 0
	.set _ZN9rocsparseL20bsrxmvn_17_32_kernelILj19EfliaafEEvT2_20rocsparse_direction_NS_24const_host_device_scalarIT0_EES1_PKS1_PKT1_SA_S7_PKT3_PKT4_S5_PT5_21rocsparse_index_base_b.has_indirect_call, 0
	.section	.AMDGPU.csdata,"",@progbits
; Kernel info:
; codeLenInByte = 1316
; TotalNumSgprs: 30
; NumVgprs: 13
; ScratchSize: 0
; MemoryBound: 0
; FloatMode: 240
; IeeeMode: 1
; LDSByteSize: 1444 bytes/workgroup (compile time only)
; SGPRBlocks: 3
; VGPRBlocks: 3
; NumSGPRsForWavesPerEU: 30
; NumVGPRsForWavesPerEU: 13
; Occupancy: 10
; WaveLimiterHint : 1
; COMPUTE_PGM_RSRC2:SCRATCH_EN: 0
; COMPUTE_PGM_RSRC2:USER_SGPR: 6
; COMPUTE_PGM_RSRC2:TRAP_HANDLER: 0
; COMPUTE_PGM_RSRC2:TGID_X_EN: 1
; COMPUTE_PGM_RSRC2:TGID_Y_EN: 0
; COMPUTE_PGM_RSRC2:TGID_Z_EN: 0
; COMPUTE_PGM_RSRC2:TIDIG_COMP_CNT: 0
	.section	.text._ZN9rocsparseL20bsrxmvn_17_32_kernelILj20EfliaafEEvT2_20rocsparse_direction_NS_24const_host_device_scalarIT0_EES1_PKS1_PKT1_SA_S7_PKT3_PKT4_S5_PT5_21rocsparse_index_base_b,"axG",@progbits,_ZN9rocsparseL20bsrxmvn_17_32_kernelILj20EfliaafEEvT2_20rocsparse_direction_NS_24const_host_device_scalarIT0_EES1_PKS1_PKT1_SA_S7_PKT3_PKT4_S5_PT5_21rocsparse_index_base_b,comdat
	.globl	_ZN9rocsparseL20bsrxmvn_17_32_kernelILj20EfliaafEEvT2_20rocsparse_direction_NS_24const_host_device_scalarIT0_EES1_PKS1_PKT1_SA_S7_PKT3_PKT4_S5_PT5_21rocsparse_index_base_b ; -- Begin function _ZN9rocsparseL20bsrxmvn_17_32_kernelILj20EfliaafEEvT2_20rocsparse_direction_NS_24const_host_device_scalarIT0_EES1_PKS1_PKT1_SA_S7_PKT3_PKT4_S5_PT5_21rocsparse_index_base_b
	.p2align	8
	.type	_ZN9rocsparseL20bsrxmvn_17_32_kernelILj20EfliaafEEvT2_20rocsparse_direction_NS_24const_host_device_scalarIT0_EES1_PKS1_PKT1_SA_S7_PKT3_PKT4_S5_PT5_21rocsparse_index_base_b,@function
_ZN9rocsparseL20bsrxmvn_17_32_kernelILj20EfliaafEEvT2_20rocsparse_direction_NS_24const_host_device_scalarIT0_EES1_PKS1_PKT1_SA_S7_PKT3_PKT4_S5_PT5_21rocsparse_index_base_b: ; @_ZN9rocsparseL20bsrxmvn_17_32_kernelILj20EfliaafEEvT2_20rocsparse_direction_NS_24const_host_device_scalarIT0_EES1_PKS1_PKT1_SA_S7_PKT3_PKT4_S5_PT5_21rocsparse_index_base_b
; %bb.0:
	s_load_dwordx2 s[18:19], s[4:5], 0x58
	s_load_dwordx2 s[14:15], s[4:5], 0x8
	;; [unrolled: 1-line block ×3, first 2 shown]
	s_waitcnt lgkmcnt(0)
	s_bitcmp1_b32 s19, 0
	s_cselect_b64 s[2:3], -1, 0
	s_xor_b64 s[0:1], s[2:3], -1
	s_and_b64 vcc, exec, s[2:3]
	s_cbranch_vccnz .LBB259_2
; %bb.1:
	s_load_dword s14, s[14:15], 0x0
.LBB259_2:
	s_andn2_b64 vcc, exec, s[0:1]
	s_cbranch_vccnz .LBB259_4
; %bb.3:
	s_load_dword s12, s[12:13], 0x0
.LBB259_4:
	s_waitcnt lgkmcnt(0)
	v_cmp_neq_f32_e64 s[0:1], s14, 0
	v_cmp_neq_f32_e64 s[2:3], s12, 1.0
	s_or_b64 s[0:1], s[0:1], s[2:3]
	s_andn2_b64 vcc, exec, s[0:1]
	s_cbranch_vccnz .LBB259_40
; %bb.5:
	s_load_dwordx4 s[0:3], s[4:5], 0x18
	s_load_dwordx2 s[8:9], s[4:5], 0x28
	s_waitcnt lgkmcnt(0)
	s_cmp_eq_u64 s[0:1], 0
	s_cbranch_scc1 .LBB259_7
; %bb.6:
	s_ashr_i32 s7, s6, 31
	s_lshl_b64 s[6:7], s[6:7], 2
	s_add_u32 s0, s0, s6
	s_addc_u32 s1, s1, s7
	s_load_dword s0, s[0:1], 0x0
	s_waitcnt lgkmcnt(0)
	s_sub_i32 s6, s0, s18
.LBB259_7:
	s_load_dword s7, s[4:5], 0x4
	s_load_dwordx2 s[16:17], s[4:5], 0x50
	v_mul_u32_u24_e32 v1, 0xccd, v0
	v_mov_b32_e32 v2, 20
	v_mul_lo_u16_sdwa v3, v1, v2 dst_sel:DWORD dst_unused:UNUSED_PAD src0_sel:WORD_1 src1_sel:DWORD
	s_waitcnt lgkmcnt(0)
	s_cmp_eq_u32 s7, 1
	s_cselect_b64 s[0:1], -1, 0
	s_cmp_lg_u32 s7, 1
	s_cselect_b64 s[20:21], -1, 0
	s_ashr_i32 s7, s6, 31
	s_lshl_b64 s[10:11], s[6:7], 3
	s_add_u32 s2, s2, s10
	s_addc_u32 s3, s3, s11
	s_add_u32 s7, s2, 8
	s_addc_u32 s13, s3, 0
	s_add_u32 s10, s8, s10
	s_addc_u32 s11, s9, s11
	s_cmp_eq_u64 s[8:9], 0
	s_cselect_b32 s9, s13, s11
	s_cselect_b32 s8, s7, s10
	s_load_dwordx2 s[22:23], s[8:9], 0x0
	s_load_dwordx2 s[24:25], s[2:3], 0x0
	v_sub_u16_e32 v7, v0, v3
	v_mov_b32_e32 v6, 0
	s_waitcnt lgkmcnt(0)
	v_mov_b32_e32 v3, s22
	v_mov_b32_e32 v4, s23
	v_cmp_ge_i64_e32 vcc, s[24:25], v[3:4]
	s_cbranch_vccnz .LBB259_12
; %bb.8:
	v_mov_b32_e32 v3, 13
	s_load_dwordx4 s[8:11], s[4:5], 0x30
	s_load_dwordx2 s[2:3], s[4:5], 0x40
	s_sub_u32 s4, s22, s18
	v_mul_lo_u16_sdwa v3, v1, v3 dst_sel:DWORD dst_unused:UNUSED_PAD src0_sel:WORD_1 src1_sel:DWORD
	s_subb_u32 s5, s23, 0
	v_mul_lo_u16_sdwa v2, v3, v2 dst_sel:DWORD dst_unused:UNUSED_PAD src0_sel:BYTE_1 src1_sel:DWORD
	v_sub_u16_sdwa v1, v1, v2 dst_sel:DWORD dst_unused:UNUSED_PAD src0_sel:WORD_1 src1_sel:DWORD
	s_sub_u32 s22, s24, s18
	v_and_b32_e32 v1, 0xff, v1
	s_subb_u32 s23, s25, 0
	v_cndmask_b32_e64 v1, v7, v1, s[0:1]
	s_mul_i32 s0, s23, 0x190
	s_mul_hi_u32 s1, s22, 0x190
	s_add_i32 s1, s1, s0
	s_mul_i32 s0, s22, 0x190
	s_waitcnt lgkmcnt(0)
	s_add_u32 s0, s10, s0
	s_addc_u32 s1, s11, s1
	v_add_co_u32_e32 v2, vcc, s0, v0
	s_movk_i32 s0, 0xa4
	v_mov_b32_e32 v3, s1
	v_mul_u32_u24_sdwa v4, v0, s0 dst_sel:DWORD dst_unused:UNUSED_PAD src0_sel:WORD_0 src1_sel:DWORD
	v_addc_co_u32_e32 v3, vcc, 0, v3, vcc
	v_lshrrev_b32_e32 v8, 16, v4
	v_mov_b32_e32 v4, s25
	v_add_co_u32_e32 v5, vcc, s24, v8
	v_addc_co_u32_e32 v9, vcc, 0, v4, vcc
	v_subrev_co_u32_e32 v4, vcc, s18, v5
	v_subbrev_co_u32_e32 v5, vcc, 0, v9, vcc
	v_lshlrev_b64 v[4:5], 2, v[4:5]
	v_mov_b32_e32 v9, s9
	v_add_co_u32_e32 v4, vcc, s8, v4
	v_mov_b32_e32 v6, 0
	v_addc_co_u32_e32 v5, vcc, v9, v5, vcc
	s_branch .LBB259_10
.LBB259_9:                              ;   in Loop: Header=BB259_10 Depth=1
	s_or_b64 exec, exec, s[0:1]
	s_add_u32 s22, s22, 1
	v_mov_b32_e32 v10, s5
	s_addc_u32 s23, s23, 0
	v_mov_b32_e32 v9, s4
	v_cmp_lt_i64_e32 vcc, s[22:23], v[9:10]
	v_add_co_u32_e64 v4, s[0:1], 4, v4
	v_addc_co_u32_e64 v5, s[0:1], 0, v5, s[0:1]
	s_cbranch_vccz .LBB259_12
.LBB259_10:                             ; =>This Inner Loop Header: Depth=1
	v_mov_b32_e32 v10, s23
	v_add_co_u32_e32 v9, vcc, s22, v8
	v_addc_co_u32_e32 v10, vcc, 0, v10, vcc
	v_cmp_gt_i64_e32 vcc, s[4:5], v[9:10]
	s_and_saveexec_b64 s[0:1], vcc
	s_cbranch_execz .LBB259_9
; %bb.11:                               ;   in Loop: Header=BB259_10 Depth=1
	global_load_dword v9, v[4:5], off
	global_load_sbyte v11, v[2:3], off
	s_waitcnt vmcnt(1)
	v_subrev_u32_e32 v9, s18, v9
	v_mad_u64_u32 v[9:10], s[8:9], v9, 20, v[1:2]
	v_mov_b32_e32 v10, s3
	v_ashrrev_i32_e32 v12, 31, v9
	v_add_co_u32_e32 v9, vcc, s2, v9
	v_addc_co_u32_e32 v10, vcc, v10, v12, vcc
	global_load_sbyte v9, v[9:10], off
	s_waitcnt vmcnt(1)
	v_cvt_f32_i32_e32 v10, v11
	v_add_co_u32_e32 v2, vcc, 0x190, v2
	v_addc_co_u32_e32 v3, vcc, 0, v3, vcc
	s_waitcnt vmcnt(0)
	v_cvt_f32_i32_e32 v9, v9
	v_fmac_f32_e32 v6, v10, v9
	s_branch .LBB259_9
.LBB259_12:
	v_lshlrev_b32_e32 v1, 2, v0
	s_and_b64 vcc, exec, s[20:21]
	ds_write_b32 v1, v6
	s_waitcnt lgkmcnt(0)
	s_barrier
	s_cbranch_vccz .LBB259_24
; %bb.13:
	v_cmp_gt_u16_e32 vcc, 4, v7
	s_and_saveexec_b64 s[0:1], vcc
	s_cbranch_execz .LBB259_15
; %bb.14:
	ds_read2_b32 v[2:3], v1 offset1:16
	s_waitcnt lgkmcnt(0)
	v_add_f32_e32 v2, v3, v2
	ds_write_b32 v1, v2
.LBB259_15:
	s_or_b64 exec, exec, s[0:1]
	v_cmp_gt_u16_e64 s[0:1], 8, v7
	s_waitcnt lgkmcnt(0)
	s_barrier
	s_and_saveexec_b64 s[2:3], s[0:1]
	s_cbranch_execz .LBB259_17
; %bb.16:
	ds_read2_b32 v[2:3], v1 offset1:8
	s_waitcnt lgkmcnt(0)
	v_add_f32_e32 v2, v3, v2
	ds_write_b32 v1, v2
.LBB259_17:
	s_or_b64 exec, exec, s[2:3]
	s_waitcnt lgkmcnt(0)
	s_barrier
	s_and_saveexec_b64 s[0:1], vcc
	s_cbranch_execz .LBB259_19
; %bb.18:
	ds_read2_b32 v[2:3], v1 offset1:4
	s_waitcnt lgkmcnt(0)
	v_add_f32_e32 v2, v3, v2
	ds_write_b32 v1, v2
.LBB259_19:
	s_or_b64 exec, exec, s[0:1]
	v_cmp_gt_u16_e32 vcc, 2, v7
	s_waitcnt lgkmcnt(0)
	s_barrier
	s_and_saveexec_b64 s[0:1], vcc
	s_cbranch_execz .LBB259_21
; %bb.20:
	ds_read2_b32 v[2:3], v1 offset1:2
	s_waitcnt lgkmcnt(0)
	v_add_f32_e32 v2, v3, v2
	ds_write_b32 v1, v2
.LBB259_21:
	s_or_b64 exec, exec, s[0:1]
	v_cmp_gt_u32_e32 vcc, 20, v0
	v_mov_b32_e32 v2, v6
	s_waitcnt lgkmcnt(0)
	s_barrier
	s_and_saveexec_b64 s[0:1], vcc
	s_cbranch_execz .LBB259_23
; %bb.22:
	s_movk_i32 s2, 0x4c
	v_mad_u32_u24 v2, v0, s2, v1
	ds_read_b64 v[2:3], v2
	s_waitcnt lgkmcnt(0)
	v_add_f32_e32 v2, v2, v3
.LBB259_23:
	s_or_b64 exec, exec, s[0:1]
	s_branch .LBB259_36
.LBB259_24:
                                        ; implicit-def: $vgpr2
	s_cbranch_execz .LBB259_36
; %bb.25:
	s_movk_i32 s0, 0x50
	v_cmp_gt_u32_e32 vcc, s0, v0
	s_and_saveexec_b64 s[0:1], vcc
	s_cbranch_execz .LBB259_27
; %bb.26:
	ds_read2st64_b32 v[2:3], v1 offset1:5
	s_waitcnt lgkmcnt(0)
	v_add_f32_e32 v2, v3, v2
	ds_write_b32 v1, v2
.LBB259_27:
	s_or_b64 exec, exec, s[0:1]
	s_movk_i32 s0, 0xa0
	v_cmp_gt_u32_e64 s[0:1], s0, v0
	s_waitcnt lgkmcnt(0)
	s_barrier
	s_and_saveexec_b64 s[2:3], s[0:1]
	s_cbranch_execz .LBB259_29
; %bb.28:
	ds_read2_b32 v[2:3], v1 offset1:160
	s_waitcnt lgkmcnt(0)
	v_add_f32_e32 v2, v3, v2
	ds_write_b32 v1, v2
.LBB259_29:
	s_or_b64 exec, exec, s[2:3]
	s_waitcnt lgkmcnt(0)
	s_barrier
	s_and_saveexec_b64 s[0:1], vcc
	s_cbranch_execz .LBB259_31
; %bb.30:
	ds_read2_b32 v[2:3], v1 offset1:80
	s_waitcnt lgkmcnt(0)
	v_add_f32_e32 v2, v3, v2
	ds_write_b32 v1, v2
.LBB259_31:
	s_or_b64 exec, exec, s[0:1]
	v_cmp_gt_u32_e32 vcc, 40, v0
	s_waitcnt lgkmcnt(0)
	s_barrier
	s_and_saveexec_b64 s[0:1], vcc
	s_cbranch_execz .LBB259_33
; %bb.32:
	ds_read2_b32 v[2:3], v1 offset1:40
	s_waitcnt lgkmcnt(0)
	v_add_f32_e32 v2, v3, v2
	ds_write_b32 v1, v2
.LBB259_33:
	s_or_b64 exec, exec, s[0:1]
	v_cmp_gt_u32_e32 vcc, 20, v0
	s_waitcnt lgkmcnt(0)
	s_and_saveexec_b64 s[0:1], vcc
	s_cbranch_execz .LBB259_35
; %bb.34:
	ds_read2_b32 v[1:2], v1 offset1:20
	s_waitcnt lgkmcnt(0)
	v_add_f32_e32 v6, v1, v2
.LBB259_35:
	s_or_b64 exec, exec, s[0:1]
	v_mov_b32_e32 v2, v6
.LBB259_36:
	v_cmp_gt_u32_e32 vcc, 20, v0
	s_and_saveexec_b64 s[0:1], vcc
	s_cbranch_execz .LBB259_40
; %bb.37:
	v_cmp_eq_f32_e64 s[0:1], s12, 0
	s_and_b64 vcc, exec, s[0:1]
	v_mul_f32_e32 v1, s14, v2
	s_cbranch_vccz .LBB259_41
; %bb.38:
	v_mad_u64_u32 v[2:3], s[0:1], s6, 20, v[0:1]
	v_mov_b32_e32 v3, 0
	v_mov_b32_e32 v4, s17
	v_lshlrev_b64 v[2:3], 2, v[2:3]
	v_add_co_u32_e32 v2, vcc, s16, v2
	v_addc_co_u32_e32 v3, vcc, v4, v3, vcc
	global_store_dword v[2:3], v1, off
	s_cbranch_execnz .LBB259_40
.LBB259_39:
	v_mad_u64_u32 v[2:3], s[0:1], s6, 20, v[0:1]
	v_mov_b32_e32 v3, 0
	v_mov_b32_e32 v0, s17
	v_lshlrev_b64 v[2:3], 2, v[2:3]
	v_add_co_u32_e32 v2, vcc, s16, v2
	v_addc_co_u32_e32 v3, vcc, v0, v3, vcc
	global_load_dword v0, v[2:3], off
	s_waitcnt vmcnt(0)
	v_fmac_f32_e32 v1, s12, v0
	global_store_dword v[2:3], v1, off
.LBB259_40:
	s_endpgm
.LBB259_41:
	s_branch .LBB259_39
	.section	.rodata,"a",@progbits
	.p2align	6, 0x0
	.amdhsa_kernel _ZN9rocsparseL20bsrxmvn_17_32_kernelILj20EfliaafEEvT2_20rocsparse_direction_NS_24const_host_device_scalarIT0_EES1_PKS1_PKT1_SA_S7_PKT3_PKT4_S5_PT5_21rocsparse_index_base_b
		.amdhsa_group_segment_fixed_size 1600
		.amdhsa_private_segment_fixed_size 0
		.amdhsa_kernarg_size 96
		.amdhsa_user_sgpr_count 6
		.amdhsa_user_sgpr_private_segment_buffer 1
		.amdhsa_user_sgpr_dispatch_ptr 0
		.amdhsa_user_sgpr_queue_ptr 0
		.amdhsa_user_sgpr_kernarg_segment_ptr 1
		.amdhsa_user_sgpr_dispatch_id 0
		.amdhsa_user_sgpr_flat_scratch_init 0
		.amdhsa_user_sgpr_private_segment_size 0
		.amdhsa_uses_dynamic_stack 0
		.amdhsa_system_sgpr_private_segment_wavefront_offset 0
		.amdhsa_system_sgpr_workgroup_id_x 1
		.amdhsa_system_sgpr_workgroup_id_y 0
		.amdhsa_system_sgpr_workgroup_id_z 0
		.amdhsa_system_sgpr_workgroup_info 0
		.amdhsa_system_vgpr_workitem_id 0
		.amdhsa_next_free_vgpr 13
		.amdhsa_next_free_sgpr 26
		.amdhsa_reserve_vcc 1
		.amdhsa_reserve_flat_scratch 0
		.amdhsa_float_round_mode_32 0
		.amdhsa_float_round_mode_16_64 0
		.amdhsa_float_denorm_mode_32 3
		.amdhsa_float_denorm_mode_16_64 3
		.amdhsa_dx10_clamp 1
		.amdhsa_ieee_mode 1
		.amdhsa_fp16_overflow 0
		.amdhsa_exception_fp_ieee_invalid_op 0
		.amdhsa_exception_fp_denorm_src 0
		.amdhsa_exception_fp_ieee_div_zero 0
		.amdhsa_exception_fp_ieee_overflow 0
		.amdhsa_exception_fp_ieee_underflow 0
		.amdhsa_exception_fp_ieee_inexact 0
		.amdhsa_exception_int_div_zero 0
	.end_amdhsa_kernel
	.section	.text._ZN9rocsparseL20bsrxmvn_17_32_kernelILj20EfliaafEEvT2_20rocsparse_direction_NS_24const_host_device_scalarIT0_EES1_PKS1_PKT1_SA_S7_PKT3_PKT4_S5_PT5_21rocsparse_index_base_b,"axG",@progbits,_ZN9rocsparseL20bsrxmvn_17_32_kernelILj20EfliaafEEvT2_20rocsparse_direction_NS_24const_host_device_scalarIT0_EES1_PKS1_PKT1_SA_S7_PKT3_PKT4_S5_PT5_21rocsparse_index_base_b,comdat
.Lfunc_end259:
	.size	_ZN9rocsparseL20bsrxmvn_17_32_kernelILj20EfliaafEEvT2_20rocsparse_direction_NS_24const_host_device_scalarIT0_EES1_PKS1_PKT1_SA_S7_PKT3_PKT4_S5_PT5_21rocsparse_index_base_b, .Lfunc_end259-_ZN9rocsparseL20bsrxmvn_17_32_kernelILj20EfliaafEEvT2_20rocsparse_direction_NS_24const_host_device_scalarIT0_EES1_PKS1_PKT1_SA_S7_PKT3_PKT4_S5_PT5_21rocsparse_index_base_b
                                        ; -- End function
	.set _ZN9rocsparseL20bsrxmvn_17_32_kernelILj20EfliaafEEvT2_20rocsparse_direction_NS_24const_host_device_scalarIT0_EES1_PKS1_PKT1_SA_S7_PKT3_PKT4_S5_PT5_21rocsparse_index_base_b.num_vgpr, 13
	.set _ZN9rocsparseL20bsrxmvn_17_32_kernelILj20EfliaafEEvT2_20rocsparse_direction_NS_24const_host_device_scalarIT0_EES1_PKS1_PKT1_SA_S7_PKT3_PKT4_S5_PT5_21rocsparse_index_base_b.num_agpr, 0
	.set _ZN9rocsparseL20bsrxmvn_17_32_kernelILj20EfliaafEEvT2_20rocsparse_direction_NS_24const_host_device_scalarIT0_EES1_PKS1_PKT1_SA_S7_PKT3_PKT4_S5_PT5_21rocsparse_index_base_b.numbered_sgpr, 26
	.set _ZN9rocsparseL20bsrxmvn_17_32_kernelILj20EfliaafEEvT2_20rocsparse_direction_NS_24const_host_device_scalarIT0_EES1_PKS1_PKT1_SA_S7_PKT3_PKT4_S5_PT5_21rocsparse_index_base_b.num_named_barrier, 0
	.set _ZN9rocsparseL20bsrxmvn_17_32_kernelILj20EfliaafEEvT2_20rocsparse_direction_NS_24const_host_device_scalarIT0_EES1_PKS1_PKT1_SA_S7_PKT3_PKT4_S5_PT5_21rocsparse_index_base_b.private_seg_size, 0
	.set _ZN9rocsparseL20bsrxmvn_17_32_kernelILj20EfliaafEEvT2_20rocsparse_direction_NS_24const_host_device_scalarIT0_EES1_PKS1_PKT1_SA_S7_PKT3_PKT4_S5_PT5_21rocsparse_index_base_b.uses_vcc, 1
	.set _ZN9rocsparseL20bsrxmvn_17_32_kernelILj20EfliaafEEvT2_20rocsparse_direction_NS_24const_host_device_scalarIT0_EES1_PKS1_PKT1_SA_S7_PKT3_PKT4_S5_PT5_21rocsparse_index_base_b.uses_flat_scratch, 0
	.set _ZN9rocsparseL20bsrxmvn_17_32_kernelILj20EfliaafEEvT2_20rocsparse_direction_NS_24const_host_device_scalarIT0_EES1_PKS1_PKT1_SA_S7_PKT3_PKT4_S5_PT5_21rocsparse_index_base_b.has_dyn_sized_stack, 0
	.set _ZN9rocsparseL20bsrxmvn_17_32_kernelILj20EfliaafEEvT2_20rocsparse_direction_NS_24const_host_device_scalarIT0_EES1_PKS1_PKT1_SA_S7_PKT3_PKT4_S5_PT5_21rocsparse_index_base_b.has_recursion, 0
	.set _ZN9rocsparseL20bsrxmvn_17_32_kernelILj20EfliaafEEvT2_20rocsparse_direction_NS_24const_host_device_scalarIT0_EES1_PKS1_PKT1_SA_S7_PKT3_PKT4_S5_PT5_21rocsparse_index_base_b.has_indirect_call, 0
	.section	.AMDGPU.csdata,"",@progbits
; Kernel info:
; codeLenInByte = 1308
; TotalNumSgprs: 30
; NumVgprs: 13
; ScratchSize: 0
; MemoryBound: 0
; FloatMode: 240
; IeeeMode: 1
; LDSByteSize: 1600 bytes/workgroup (compile time only)
; SGPRBlocks: 3
; VGPRBlocks: 3
; NumSGPRsForWavesPerEU: 30
; NumVGPRsForWavesPerEU: 13
; Occupancy: 10
; WaveLimiterHint : 1
; COMPUTE_PGM_RSRC2:SCRATCH_EN: 0
; COMPUTE_PGM_RSRC2:USER_SGPR: 6
; COMPUTE_PGM_RSRC2:TRAP_HANDLER: 0
; COMPUTE_PGM_RSRC2:TGID_X_EN: 1
; COMPUTE_PGM_RSRC2:TGID_Y_EN: 0
; COMPUTE_PGM_RSRC2:TGID_Z_EN: 0
; COMPUTE_PGM_RSRC2:TIDIG_COMP_CNT: 0
	.section	.text._ZN9rocsparseL20bsrxmvn_17_32_kernelILj21EfliaafEEvT2_20rocsparse_direction_NS_24const_host_device_scalarIT0_EES1_PKS1_PKT1_SA_S7_PKT3_PKT4_S5_PT5_21rocsparse_index_base_b,"axG",@progbits,_ZN9rocsparseL20bsrxmvn_17_32_kernelILj21EfliaafEEvT2_20rocsparse_direction_NS_24const_host_device_scalarIT0_EES1_PKS1_PKT1_SA_S7_PKT3_PKT4_S5_PT5_21rocsparse_index_base_b,comdat
	.globl	_ZN9rocsparseL20bsrxmvn_17_32_kernelILj21EfliaafEEvT2_20rocsparse_direction_NS_24const_host_device_scalarIT0_EES1_PKS1_PKT1_SA_S7_PKT3_PKT4_S5_PT5_21rocsparse_index_base_b ; -- Begin function _ZN9rocsparseL20bsrxmvn_17_32_kernelILj21EfliaafEEvT2_20rocsparse_direction_NS_24const_host_device_scalarIT0_EES1_PKS1_PKT1_SA_S7_PKT3_PKT4_S5_PT5_21rocsparse_index_base_b
	.p2align	8
	.type	_ZN9rocsparseL20bsrxmvn_17_32_kernelILj21EfliaafEEvT2_20rocsparse_direction_NS_24const_host_device_scalarIT0_EES1_PKS1_PKT1_SA_S7_PKT3_PKT4_S5_PT5_21rocsparse_index_base_b,@function
_ZN9rocsparseL20bsrxmvn_17_32_kernelILj21EfliaafEEvT2_20rocsparse_direction_NS_24const_host_device_scalarIT0_EES1_PKS1_PKT1_SA_S7_PKT3_PKT4_S5_PT5_21rocsparse_index_base_b: ; @_ZN9rocsparseL20bsrxmvn_17_32_kernelILj21EfliaafEEvT2_20rocsparse_direction_NS_24const_host_device_scalarIT0_EES1_PKS1_PKT1_SA_S7_PKT3_PKT4_S5_PT5_21rocsparse_index_base_b
; %bb.0:
	s_load_dwordx2 s[18:19], s[4:5], 0x58
	s_load_dwordx2 s[14:15], s[4:5], 0x8
	;; [unrolled: 1-line block ×3, first 2 shown]
	s_waitcnt lgkmcnt(0)
	s_bitcmp1_b32 s19, 0
	s_cselect_b64 s[2:3], -1, 0
	s_xor_b64 s[0:1], s[2:3], -1
	s_and_b64 vcc, exec, s[2:3]
	s_cbranch_vccnz .LBB260_2
; %bb.1:
	s_load_dword s14, s[14:15], 0x0
.LBB260_2:
	s_andn2_b64 vcc, exec, s[0:1]
	s_cbranch_vccnz .LBB260_4
; %bb.3:
	s_load_dword s12, s[12:13], 0x0
.LBB260_4:
	s_waitcnt lgkmcnt(0)
	v_cmp_neq_f32_e64 s[0:1], s14, 0
	v_cmp_neq_f32_e64 s[2:3], s12, 1.0
	s_or_b64 s[0:1], s[0:1], s[2:3]
	s_andn2_b64 vcc, exec, s[0:1]
	s_cbranch_vccnz .LBB260_40
; %bb.5:
	s_load_dwordx4 s[0:3], s[4:5], 0x18
	s_load_dwordx2 s[8:9], s[4:5], 0x28
	s_waitcnt lgkmcnt(0)
	s_cmp_eq_u64 s[0:1], 0
	s_cbranch_scc1 .LBB260_7
; %bb.6:
	s_ashr_i32 s7, s6, 31
	s_lshl_b64 s[6:7], s[6:7], 2
	s_add_u32 s0, s0, s6
	s_addc_u32 s1, s1, s7
	s_load_dword s0, s[0:1], 0x0
	s_waitcnt lgkmcnt(0)
	s_sub_i32 s6, s0, s18
.LBB260_7:
	s_load_dword s7, s[4:5], 0x4
	s_load_dwordx2 s[16:17], s[4:5], 0x50
	v_mul_u32_u24_e32 v1, 0xc31, v0
	v_mov_b32_e32 v2, 21
	v_mul_lo_u16_sdwa v2, v1, v2 dst_sel:DWORD dst_unused:UNUSED_PAD src0_sel:WORD_1 src1_sel:DWORD
	s_waitcnt lgkmcnt(0)
	s_cmp_eq_u32 s7, 1
	s_cselect_b64 s[0:1], -1, 0
	s_cmp_lg_u32 s7, 1
	s_cselect_b64 s[20:21], -1, 0
	s_ashr_i32 s7, s6, 31
	s_lshl_b64 s[10:11], s[6:7], 3
	s_add_u32 s2, s2, s10
	s_addc_u32 s3, s3, s11
	s_add_u32 s7, s2, 8
	s_addc_u32 s13, s3, 0
	;; [unrolled: 2-line block ×3, first 2 shown]
	s_cmp_eq_u64 s[8:9], 0
	s_cselect_b32 s9, s13, s11
	s_cselect_b32 s8, s7, s10
	s_load_dwordx2 s[22:23], s[8:9], 0x0
	s_load_dwordx2 s[24:25], s[2:3], 0x0
	v_sub_u16_e32 v7, v0, v2
	v_mov_b32_e32 v6, 0
	s_waitcnt lgkmcnt(0)
	v_mov_b32_e32 v2, s22
	v_mov_b32_e32 v3, s23
	v_cmp_ge_i64_e32 vcc, s[24:25], v[2:3]
	s_cbranch_vccnz .LBB260_12
; %bb.8:
	v_mov_b32_e32 v2, 25
	v_mul_lo_u16_sdwa v2, v1, v2 dst_sel:DWORD dst_unused:UNUSED_PAD src0_sel:WORD_1 src1_sel:DWORD
	s_load_dwordx4 s[8:11], s[4:5], 0x30
	s_load_dwordx2 s[2:3], s[4:5], 0x40
	s_sub_u32 s4, s22, s18
	v_lshrrev_b16_e32 v2, 9, v2
	s_subb_u32 s5, s23, 0
	v_mul_lo_u16_e32 v2, 21, v2
	v_sub_u16_sdwa v1, v1, v2 dst_sel:DWORD dst_unused:UNUSED_PAD src0_sel:WORD_1 src1_sel:DWORD
	s_sub_u32 s22, s24, s18
	v_and_b32_e32 v1, 0xff, v1
	s_subb_u32 s23, s25, 0
	v_cndmask_b32_e64 v1, v7, v1, s[0:1]
	s_mul_i32 s0, s23, 0x1b9
	s_mul_hi_u32 s1, s22, 0x1b9
	s_add_i32 s1, s1, s0
	s_mul_i32 s0, s22, 0x1b9
	s_waitcnt lgkmcnt(0)
	s_add_u32 s0, s10, s0
	s_addc_u32 s1, s11, s1
	v_add_co_u32_e32 v2, vcc, s0, v0
	s_movk_i32 s0, 0x253
	v_mov_b32_e32 v3, s1
	v_mul_u32_u24_sdwa v4, v0, s0 dst_sel:DWORD dst_unused:UNUSED_PAD src0_sel:WORD_0 src1_sel:DWORD
	v_addc_co_u32_e32 v3, vcc, 0, v3, vcc
	v_lshrrev_b32_e32 v8, 18, v4
	v_mov_b32_e32 v4, s25
	v_add_co_u32_e32 v5, vcc, s24, v8
	v_addc_co_u32_e32 v9, vcc, 0, v4, vcc
	v_subrev_co_u32_e32 v4, vcc, s18, v5
	v_subbrev_co_u32_e32 v5, vcc, 0, v9, vcc
	v_lshlrev_b64 v[4:5], 2, v[4:5]
	v_mov_b32_e32 v9, s9
	v_add_co_u32_e32 v4, vcc, s8, v4
	v_mov_b32_e32 v6, 0
	v_addc_co_u32_e32 v5, vcc, v9, v5, vcc
	s_branch .LBB260_10
.LBB260_9:                              ;   in Loop: Header=BB260_10 Depth=1
	s_or_b64 exec, exec, s[0:1]
	s_add_u32 s22, s22, 1
	v_mov_b32_e32 v10, s5
	s_addc_u32 s23, s23, 0
	v_mov_b32_e32 v9, s4
	v_cmp_lt_i64_e32 vcc, s[22:23], v[9:10]
	v_add_co_u32_e64 v4, s[0:1], 4, v4
	v_addc_co_u32_e64 v5, s[0:1], 0, v5, s[0:1]
	s_cbranch_vccz .LBB260_12
.LBB260_10:                             ; =>This Inner Loop Header: Depth=1
	v_mov_b32_e32 v10, s23
	v_add_co_u32_e32 v9, vcc, s22, v8
	v_addc_co_u32_e32 v10, vcc, 0, v10, vcc
	v_cmp_gt_i64_e32 vcc, s[4:5], v[9:10]
	s_and_saveexec_b64 s[0:1], vcc
	s_cbranch_execz .LBB260_9
; %bb.11:                               ;   in Loop: Header=BB260_10 Depth=1
	global_load_dword v9, v[4:5], off
	global_load_sbyte v11, v[2:3], off
	s_waitcnt vmcnt(1)
	v_subrev_u32_e32 v9, s18, v9
	v_mad_u64_u32 v[9:10], s[8:9], v9, 21, v[1:2]
	v_mov_b32_e32 v10, s3
	v_ashrrev_i32_e32 v12, 31, v9
	v_add_co_u32_e32 v9, vcc, s2, v9
	v_addc_co_u32_e32 v10, vcc, v10, v12, vcc
	global_load_sbyte v9, v[9:10], off
	s_waitcnt vmcnt(1)
	v_cvt_f32_i32_e32 v10, v11
	v_add_co_u32_e32 v2, vcc, 0x1b9, v2
	v_addc_co_u32_e32 v3, vcc, 0, v3, vcc
	s_waitcnt vmcnt(0)
	v_cvt_f32_i32_e32 v9, v9
	v_fmac_f32_e32 v6, v10, v9
	s_branch .LBB260_9
.LBB260_12:
	v_lshlrev_b32_e32 v1, 2, v0
	s_and_b64 vcc, exec, s[20:21]
	ds_write_b32 v1, v6
	s_waitcnt lgkmcnt(0)
	s_barrier
	s_cbranch_vccz .LBB260_24
; %bb.13:
	v_cmp_gt_u16_e32 vcc, 5, v7
	s_and_saveexec_b64 s[0:1], vcc
	s_cbranch_execz .LBB260_15
; %bb.14:
	ds_read2_b32 v[2:3], v1 offset1:16
	s_waitcnt lgkmcnt(0)
	v_add_f32_e32 v2, v3, v2
	ds_write_b32 v1, v2
.LBB260_15:
	s_or_b64 exec, exec, s[0:1]
	v_cmp_gt_u16_e32 vcc, 8, v7
	s_waitcnt lgkmcnt(0)
	s_barrier
	s_and_saveexec_b64 s[0:1], vcc
	s_cbranch_execz .LBB260_17
; %bb.16:
	ds_read2_b32 v[2:3], v1 offset1:8
	s_waitcnt lgkmcnt(0)
	v_add_f32_e32 v2, v3, v2
	ds_write_b32 v1, v2
.LBB260_17:
	s_or_b64 exec, exec, s[0:1]
	v_cmp_gt_u16_e32 vcc, 4, v7
	s_waitcnt lgkmcnt(0)
	s_barrier
	;; [unrolled: 12-line block ×3, first 2 shown]
	s_and_saveexec_b64 s[0:1], vcc
	s_cbranch_execz .LBB260_21
; %bb.20:
	ds_read2_b32 v[2:3], v1 offset1:2
	s_waitcnt lgkmcnt(0)
	v_add_f32_e32 v2, v3, v2
	ds_write_b32 v1, v2
.LBB260_21:
	s_or_b64 exec, exec, s[0:1]
	v_cmp_gt_u32_e32 vcc, 21, v0
	v_mov_b32_e32 v2, v6
	s_waitcnt lgkmcnt(0)
	s_barrier
	s_and_saveexec_b64 s[0:1], vcc
	s_cbranch_execz .LBB260_23
; %bb.22:
	s_movk_i32 s2, 0x50
	v_mad_u32_u24 v2, v0, s2, v1
	ds_read2_b32 v[2:3], v2 offset1:1
	s_waitcnt lgkmcnt(0)
	v_add_f32_e32 v2, v2, v3
.LBB260_23:
	s_or_b64 exec, exec, s[0:1]
	s_branch .LBB260_36
.LBB260_24:
                                        ; implicit-def: $vgpr2
	s_cbranch_execz .LBB260_36
; %bb.25:
	s_movk_i32 s0, 0x69
	v_cmp_gt_u32_e32 vcc, s0, v0
	s_and_saveexec_b64 s[0:1], vcc
	s_cbranch_execz .LBB260_27
; %bb.26:
	ds_read_b32 v2, v1 offset:1344
	ds_read_b32 v3, v1
	s_waitcnt lgkmcnt(0)
	v_add_f32_e32 v2, v2, v3
	ds_write_b32 v1, v2
.LBB260_27:
	s_or_b64 exec, exec, s[0:1]
	s_movk_i32 s0, 0xa8
	v_cmp_gt_u32_e32 vcc, s0, v0
	s_waitcnt lgkmcnt(0)
	s_barrier
	s_and_saveexec_b64 s[0:1], vcc
	s_cbranch_execz .LBB260_29
; %bb.28:
	ds_read2_b32 v[2:3], v1 offset1:168
	s_waitcnt lgkmcnt(0)
	v_add_f32_e32 v2, v3, v2
	ds_write_b32 v1, v2
.LBB260_29:
	s_or_b64 exec, exec, s[0:1]
	s_movk_i32 s0, 0x54
	v_cmp_gt_u32_e32 vcc, s0, v0
	s_waitcnt lgkmcnt(0)
	s_barrier
	s_and_saveexec_b64 s[0:1], vcc
	s_cbranch_execz .LBB260_31
; %bb.30:
	ds_read2_b32 v[2:3], v1 offset1:84
	s_waitcnt lgkmcnt(0)
	v_add_f32_e32 v2, v3, v2
	ds_write_b32 v1, v2
.LBB260_31:
	s_or_b64 exec, exec, s[0:1]
	v_cmp_gt_u32_e32 vcc, 42, v0
	s_waitcnt lgkmcnt(0)
	s_barrier
	s_and_saveexec_b64 s[0:1], vcc
	s_cbranch_execz .LBB260_33
; %bb.32:
	ds_read2_b32 v[2:3], v1 offset1:42
	s_waitcnt lgkmcnt(0)
	v_add_f32_e32 v2, v3, v2
	ds_write_b32 v1, v2
.LBB260_33:
	s_or_b64 exec, exec, s[0:1]
	v_cmp_gt_u32_e32 vcc, 21, v0
	s_waitcnt lgkmcnt(0)
	s_and_saveexec_b64 s[0:1], vcc
	s_cbranch_execz .LBB260_35
; %bb.34:
	ds_read2_b32 v[1:2], v1 offset1:21
	s_waitcnt lgkmcnt(0)
	v_add_f32_e32 v6, v1, v2
.LBB260_35:
	s_or_b64 exec, exec, s[0:1]
	v_mov_b32_e32 v2, v6
.LBB260_36:
	v_cmp_gt_u32_e32 vcc, 21, v0
	s_and_saveexec_b64 s[0:1], vcc
	s_cbranch_execz .LBB260_40
; %bb.37:
	v_cmp_eq_f32_e64 s[0:1], s12, 0
	s_and_b64 vcc, exec, s[0:1]
	v_mul_f32_e32 v1, s14, v2
	s_cbranch_vccz .LBB260_41
; %bb.38:
	v_mad_u64_u32 v[2:3], s[0:1], s6, 21, v[0:1]
	v_mov_b32_e32 v3, 0
	v_mov_b32_e32 v4, s17
	v_lshlrev_b64 v[2:3], 2, v[2:3]
	v_add_co_u32_e32 v2, vcc, s16, v2
	v_addc_co_u32_e32 v3, vcc, v4, v3, vcc
	global_store_dword v[2:3], v1, off
	s_cbranch_execnz .LBB260_40
.LBB260_39:
	v_mad_u64_u32 v[2:3], s[0:1], s6, 21, v[0:1]
	v_mov_b32_e32 v3, 0
	v_mov_b32_e32 v0, s17
	v_lshlrev_b64 v[2:3], 2, v[2:3]
	v_add_co_u32_e32 v2, vcc, s16, v2
	v_addc_co_u32_e32 v3, vcc, v0, v3, vcc
	global_load_dword v0, v[2:3], off
	s_waitcnt vmcnt(0)
	v_fmac_f32_e32 v1, s12, v0
	global_store_dword v[2:3], v1, off
.LBB260_40:
	s_endpgm
.LBB260_41:
	s_branch .LBB260_39
	.section	.rodata,"a",@progbits
	.p2align	6, 0x0
	.amdhsa_kernel _ZN9rocsparseL20bsrxmvn_17_32_kernelILj21EfliaafEEvT2_20rocsparse_direction_NS_24const_host_device_scalarIT0_EES1_PKS1_PKT1_SA_S7_PKT3_PKT4_S5_PT5_21rocsparse_index_base_b
		.amdhsa_group_segment_fixed_size 1764
		.amdhsa_private_segment_fixed_size 0
		.amdhsa_kernarg_size 96
		.amdhsa_user_sgpr_count 6
		.amdhsa_user_sgpr_private_segment_buffer 1
		.amdhsa_user_sgpr_dispatch_ptr 0
		.amdhsa_user_sgpr_queue_ptr 0
		.amdhsa_user_sgpr_kernarg_segment_ptr 1
		.amdhsa_user_sgpr_dispatch_id 0
		.amdhsa_user_sgpr_flat_scratch_init 0
		.amdhsa_user_sgpr_private_segment_size 0
		.amdhsa_uses_dynamic_stack 0
		.amdhsa_system_sgpr_private_segment_wavefront_offset 0
		.amdhsa_system_sgpr_workgroup_id_x 1
		.amdhsa_system_sgpr_workgroup_id_y 0
		.amdhsa_system_sgpr_workgroup_id_z 0
		.amdhsa_system_sgpr_workgroup_info 0
		.amdhsa_system_vgpr_workitem_id 0
		.amdhsa_next_free_vgpr 13
		.amdhsa_next_free_sgpr 26
		.amdhsa_reserve_vcc 1
		.amdhsa_reserve_flat_scratch 0
		.amdhsa_float_round_mode_32 0
		.amdhsa_float_round_mode_16_64 0
		.amdhsa_float_denorm_mode_32 3
		.amdhsa_float_denorm_mode_16_64 3
		.amdhsa_dx10_clamp 1
		.amdhsa_ieee_mode 1
		.amdhsa_fp16_overflow 0
		.amdhsa_exception_fp_ieee_invalid_op 0
		.amdhsa_exception_fp_denorm_src 0
		.amdhsa_exception_fp_ieee_div_zero 0
		.amdhsa_exception_fp_ieee_overflow 0
		.amdhsa_exception_fp_ieee_underflow 0
		.amdhsa_exception_fp_ieee_inexact 0
		.amdhsa_exception_int_div_zero 0
	.end_amdhsa_kernel
	.section	.text._ZN9rocsparseL20bsrxmvn_17_32_kernelILj21EfliaafEEvT2_20rocsparse_direction_NS_24const_host_device_scalarIT0_EES1_PKS1_PKT1_SA_S7_PKT3_PKT4_S5_PT5_21rocsparse_index_base_b,"axG",@progbits,_ZN9rocsparseL20bsrxmvn_17_32_kernelILj21EfliaafEEvT2_20rocsparse_direction_NS_24const_host_device_scalarIT0_EES1_PKS1_PKT1_SA_S7_PKT3_PKT4_S5_PT5_21rocsparse_index_base_b,comdat
.Lfunc_end260:
	.size	_ZN9rocsparseL20bsrxmvn_17_32_kernelILj21EfliaafEEvT2_20rocsparse_direction_NS_24const_host_device_scalarIT0_EES1_PKS1_PKT1_SA_S7_PKT3_PKT4_S5_PT5_21rocsparse_index_base_b, .Lfunc_end260-_ZN9rocsparseL20bsrxmvn_17_32_kernelILj21EfliaafEEvT2_20rocsparse_direction_NS_24const_host_device_scalarIT0_EES1_PKS1_PKT1_SA_S7_PKT3_PKT4_S5_PT5_21rocsparse_index_base_b
                                        ; -- End function
	.set _ZN9rocsparseL20bsrxmvn_17_32_kernelILj21EfliaafEEvT2_20rocsparse_direction_NS_24const_host_device_scalarIT0_EES1_PKS1_PKT1_SA_S7_PKT3_PKT4_S5_PT5_21rocsparse_index_base_b.num_vgpr, 13
	.set _ZN9rocsparseL20bsrxmvn_17_32_kernelILj21EfliaafEEvT2_20rocsparse_direction_NS_24const_host_device_scalarIT0_EES1_PKS1_PKT1_SA_S7_PKT3_PKT4_S5_PT5_21rocsparse_index_base_b.num_agpr, 0
	.set _ZN9rocsparseL20bsrxmvn_17_32_kernelILj21EfliaafEEvT2_20rocsparse_direction_NS_24const_host_device_scalarIT0_EES1_PKS1_PKT1_SA_S7_PKT3_PKT4_S5_PT5_21rocsparse_index_base_b.numbered_sgpr, 26
	.set _ZN9rocsparseL20bsrxmvn_17_32_kernelILj21EfliaafEEvT2_20rocsparse_direction_NS_24const_host_device_scalarIT0_EES1_PKS1_PKT1_SA_S7_PKT3_PKT4_S5_PT5_21rocsparse_index_base_b.num_named_barrier, 0
	.set _ZN9rocsparseL20bsrxmvn_17_32_kernelILj21EfliaafEEvT2_20rocsparse_direction_NS_24const_host_device_scalarIT0_EES1_PKS1_PKT1_SA_S7_PKT3_PKT4_S5_PT5_21rocsparse_index_base_b.private_seg_size, 0
	.set _ZN9rocsparseL20bsrxmvn_17_32_kernelILj21EfliaafEEvT2_20rocsparse_direction_NS_24const_host_device_scalarIT0_EES1_PKS1_PKT1_SA_S7_PKT3_PKT4_S5_PT5_21rocsparse_index_base_b.uses_vcc, 1
	.set _ZN9rocsparseL20bsrxmvn_17_32_kernelILj21EfliaafEEvT2_20rocsparse_direction_NS_24const_host_device_scalarIT0_EES1_PKS1_PKT1_SA_S7_PKT3_PKT4_S5_PT5_21rocsparse_index_base_b.uses_flat_scratch, 0
	.set _ZN9rocsparseL20bsrxmvn_17_32_kernelILj21EfliaafEEvT2_20rocsparse_direction_NS_24const_host_device_scalarIT0_EES1_PKS1_PKT1_SA_S7_PKT3_PKT4_S5_PT5_21rocsparse_index_base_b.has_dyn_sized_stack, 0
	.set _ZN9rocsparseL20bsrxmvn_17_32_kernelILj21EfliaafEEvT2_20rocsparse_direction_NS_24const_host_device_scalarIT0_EES1_PKS1_PKT1_SA_S7_PKT3_PKT4_S5_PT5_21rocsparse_index_base_b.has_recursion, 0
	.set _ZN9rocsparseL20bsrxmvn_17_32_kernelILj21EfliaafEEvT2_20rocsparse_direction_NS_24const_host_device_scalarIT0_EES1_PKS1_PKT1_SA_S7_PKT3_PKT4_S5_PT5_21rocsparse_index_base_b.has_indirect_call, 0
	.section	.AMDGPU.csdata,"",@progbits
; Kernel info:
; codeLenInByte = 1320
; TotalNumSgprs: 30
; NumVgprs: 13
; ScratchSize: 0
; MemoryBound: 0
; FloatMode: 240
; IeeeMode: 1
; LDSByteSize: 1764 bytes/workgroup (compile time only)
; SGPRBlocks: 3
; VGPRBlocks: 3
; NumSGPRsForWavesPerEU: 30
; NumVGPRsForWavesPerEU: 13
; Occupancy: 10
; WaveLimiterHint : 1
; COMPUTE_PGM_RSRC2:SCRATCH_EN: 0
; COMPUTE_PGM_RSRC2:USER_SGPR: 6
; COMPUTE_PGM_RSRC2:TRAP_HANDLER: 0
; COMPUTE_PGM_RSRC2:TGID_X_EN: 1
; COMPUTE_PGM_RSRC2:TGID_Y_EN: 0
; COMPUTE_PGM_RSRC2:TGID_Z_EN: 0
; COMPUTE_PGM_RSRC2:TIDIG_COMP_CNT: 0
	.section	.text._ZN9rocsparseL20bsrxmvn_17_32_kernelILj22EfliaafEEvT2_20rocsparse_direction_NS_24const_host_device_scalarIT0_EES1_PKS1_PKT1_SA_S7_PKT3_PKT4_S5_PT5_21rocsparse_index_base_b,"axG",@progbits,_ZN9rocsparseL20bsrxmvn_17_32_kernelILj22EfliaafEEvT2_20rocsparse_direction_NS_24const_host_device_scalarIT0_EES1_PKS1_PKT1_SA_S7_PKT3_PKT4_S5_PT5_21rocsparse_index_base_b,comdat
	.globl	_ZN9rocsparseL20bsrxmvn_17_32_kernelILj22EfliaafEEvT2_20rocsparse_direction_NS_24const_host_device_scalarIT0_EES1_PKS1_PKT1_SA_S7_PKT3_PKT4_S5_PT5_21rocsparse_index_base_b ; -- Begin function _ZN9rocsparseL20bsrxmvn_17_32_kernelILj22EfliaafEEvT2_20rocsparse_direction_NS_24const_host_device_scalarIT0_EES1_PKS1_PKT1_SA_S7_PKT3_PKT4_S5_PT5_21rocsparse_index_base_b
	.p2align	8
	.type	_ZN9rocsparseL20bsrxmvn_17_32_kernelILj22EfliaafEEvT2_20rocsparse_direction_NS_24const_host_device_scalarIT0_EES1_PKS1_PKT1_SA_S7_PKT3_PKT4_S5_PT5_21rocsparse_index_base_b,@function
_ZN9rocsparseL20bsrxmvn_17_32_kernelILj22EfliaafEEvT2_20rocsparse_direction_NS_24const_host_device_scalarIT0_EES1_PKS1_PKT1_SA_S7_PKT3_PKT4_S5_PT5_21rocsparse_index_base_b: ; @_ZN9rocsparseL20bsrxmvn_17_32_kernelILj22EfliaafEEvT2_20rocsparse_direction_NS_24const_host_device_scalarIT0_EES1_PKS1_PKT1_SA_S7_PKT3_PKT4_S5_PT5_21rocsparse_index_base_b
; %bb.0:
	s_load_dwordx2 s[18:19], s[4:5], 0x58
	s_load_dwordx2 s[14:15], s[4:5], 0x8
	;; [unrolled: 1-line block ×3, first 2 shown]
	s_waitcnt lgkmcnt(0)
	s_bitcmp1_b32 s19, 0
	s_cselect_b64 s[2:3], -1, 0
	s_xor_b64 s[0:1], s[2:3], -1
	s_and_b64 vcc, exec, s[2:3]
	s_cbranch_vccnz .LBB261_2
; %bb.1:
	s_load_dword s14, s[14:15], 0x0
.LBB261_2:
	s_andn2_b64 vcc, exec, s[0:1]
	s_cbranch_vccnz .LBB261_4
; %bb.3:
	s_load_dword s12, s[12:13], 0x0
.LBB261_4:
	s_waitcnt lgkmcnt(0)
	v_cmp_neq_f32_e64 s[0:1], s14, 0
	v_cmp_neq_f32_e64 s[2:3], s12, 1.0
	s_or_b64 s[0:1], s[0:1], s[2:3]
	s_andn2_b64 vcc, exec, s[0:1]
	s_cbranch_vccnz .LBB261_40
; %bb.5:
	s_load_dwordx4 s[0:3], s[4:5], 0x18
	s_load_dwordx2 s[8:9], s[4:5], 0x28
	s_waitcnt lgkmcnt(0)
	s_cmp_eq_u64 s[0:1], 0
	s_cbranch_scc1 .LBB261_7
; %bb.6:
	s_ashr_i32 s7, s6, 31
	s_lshl_b64 s[6:7], s[6:7], 2
	s_add_u32 s0, s0, s6
	s_addc_u32 s1, s1, s7
	s_load_dword s0, s[0:1], 0x0
	s_waitcnt lgkmcnt(0)
	s_sub_i32 s6, s0, s18
.LBB261_7:
	s_load_dword s7, s[4:5], 0x4
	s_load_dwordx2 s[16:17], s[4:5], 0x50
	v_mul_u32_u24_e32 v1, 0xba3, v0
	v_mov_b32_e32 v2, 22
	v_mul_lo_u16_sdwa v3, v1, v2 dst_sel:DWORD dst_unused:UNUSED_PAD src0_sel:WORD_1 src1_sel:DWORD
	s_waitcnt lgkmcnt(0)
	s_cmp_eq_u32 s7, 1
	s_cselect_b64 s[0:1], -1, 0
	s_cmp_lg_u32 s7, 1
	s_cselect_b64 s[20:21], -1, 0
	s_ashr_i32 s7, s6, 31
	s_lshl_b64 s[10:11], s[6:7], 3
	s_add_u32 s2, s2, s10
	s_addc_u32 s3, s3, s11
	s_add_u32 s7, s2, 8
	s_addc_u32 s13, s3, 0
	;; [unrolled: 2-line block ×3, first 2 shown]
	s_cmp_eq_u64 s[8:9], 0
	s_cselect_b32 s9, s13, s11
	s_cselect_b32 s8, s7, s10
	s_load_dwordx2 s[22:23], s[8:9], 0x0
	s_load_dwordx2 s[24:25], s[2:3], 0x0
	v_sub_u16_e32 v7, v0, v3
	v_mov_b32_e32 v6, 0
	s_waitcnt lgkmcnt(0)
	v_mov_b32_e32 v3, s22
	v_mov_b32_e32 v4, s23
	v_cmp_ge_i64_e32 vcc, s[24:25], v[3:4]
	s_cbranch_vccnz .LBB261_12
; %bb.8:
	v_mov_b32_e32 v3, 12
	s_load_dwordx4 s[8:11], s[4:5], 0x30
	s_load_dwordx2 s[2:3], s[4:5], 0x40
	s_sub_u32 s4, s22, s18
	v_mul_lo_u16_sdwa v3, v1, v3 dst_sel:DWORD dst_unused:UNUSED_PAD src0_sel:WORD_1 src1_sel:DWORD
	s_subb_u32 s5, s23, 0
	v_mul_lo_u16_sdwa v2, v3, v2 dst_sel:DWORD dst_unused:UNUSED_PAD src0_sel:BYTE_1 src1_sel:DWORD
	v_sub_u16_sdwa v1, v1, v2 dst_sel:DWORD dst_unused:UNUSED_PAD src0_sel:WORD_1 src1_sel:DWORD
	s_sub_u32 s22, s24, s18
	v_and_b32_e32 v1, 0xff, v1
	s_subb_u32 s23, s25, 0
	v_cndmask_b32_e64 v1, v7, v1, s[0:1]
	s_mul_i32 s0, s23, 0x1e4
	s_mul_hi_u32 s1, s22, 0x1e4
	s_add_i32 s1, s1, s0
	s_mul_i32 s0, s22, 0x1e4
	s_waitcnt lgkmcnt(0)
	s_add_u32 s0, s10, s0
	s_addc_u32 s1, s11, s1
	v_add_co_u32_e32 v2, vcc, s0, v0
	s_movk_i32 s0, 0x10f
	v_mov_b32_e32 v3, s1
	v_mul_u32_u24_sdwa v4, v0, s0 dst_sel:DWORD dst_unused:UNUSED_PAD src0_sel:WORD_0 src1_sel:DWORD
	v_addc_co_u32_e32 v3, vcc, 0, v3, vcc
	v_lshrrev_b32_e32 v8, 17, v4
	v_mov_b32_e32 v4, s25
	v_add_co_u32_e32 v5, vcc, s24, v8
	v_addc_co_u32_e32 v9, vcc, 0, v4, vcc
	v_subrev_co_u32_e32 v4, vcc, s18, v5
	v_subbrev_co_u32_e32 v5, vcc, 0, v9, vcc
	v_lshlrev_b64 v[4:5], 2, v[4:5]
	v_mov_b32_e32 v9, s9
	v_add_co_u32_e32 v4, vcc, s8, v4
	v_mov_b32_e32 v6, 0
	v_addc_co_u32_e32 v5, vcc, v9, v5, vcc
	s_branch .LBB261_10
.LBB261_9:                              ;   in Loop: Header=BB261_10 Depth=1
	s_or_b64 exec, exec, s[0:1]
	s_add_u32 s22, s22, 1
	v_mov_b32_e32 v10, s5
	s_addc_u32 s23, s23, 0
	v_mov_b32_e32 v9, s4
	v_cmp_lt_i64_e32 vcc, s[22:23], v[9:10]
	v_add_co_u32_e64 v4, s[0:1], 4, v4
	v_addc_co_u32_e64 v5, s[0:1], 0, v5, s[0:1]
	s_cbranch_vccz .LBB261_12
.LBB261_10:                             ; =>This Inner Loop Header: Depth=1
	v_mov_b32_e32 v10, s23
	v_add_co_u32_e32 v9, vcc, s22, v8
	v_addc_co_u32_e32 v10, vcc, 0, v10, vcc
	v_cmp_gt_i64_e32 vcc, s[4:5], v[9:10]
	s_and_saveexec_b64 s[0:1], vcc
	s_cbranch_execz .LBB261_9
; %bb.11:                               ;   in Loop: Header=BB261_10 Depth=1
	global_load_dword v9, v[4:5], off
	global_load_sbyte v11, v[2:3], off
	s_waitcnt vmcnt(1)
	v_subrev_u32_e32 v9, s18, v9
	v_mad_u64_u32 v[9:10], s[8:9], v9, 22, v[1:2]
	v_mov_b32_e32 v10, s3
	v_ashrrev_i32_e32 v12, 31, v9
	v_add_co_u32_e32 v9, vcc, s2, v9
	v_addc_co_u32_e32 v10, vcc, v10, v12, vcc
	global_load_sbyte v9, v[9:10], off
	s_waitcnt vmcnt(1)
	v_cvt_f32_i32_e32 v10, v11
	v_add_co_u32_e32 v2, vcc, 0x1e4, v2
	v_addc_co_u32_e32 v3, vcc, 0, v3, vcc
	s_waitcnt vmcnt(0)
	v_cvt_f32_i32_e32 v9, v9
	v_fmac_f32_e32 v6, v10, v9
	s_branch .LBB261_9
.LBB261_12:
	v_lshlrev_b32_e32 v1, 2, v0
	s_and_b64 vcc, exec, s[20:21]
	ds_write_b32 v1, v6
	s_waitcnt lgkmcnt(0)
	s_barrier
	s_cbranch_vccz .LBB261_24
; %bb.13:
	v_cmp_gt_u16_e32 vcc, 6, v7
	s_and_saveexec_b64 s[0:1], vcc
	s_cbranch_execz .LBB261_15
; %bb.14:
	ds_read2_b32 v[2:3], v1 offset1:16
	s_waitcnt lgkmcnt(0)
	v_add_f32_e32 v2, v3, v2
	ds_write_b32 v1, v2
.LBB261_15:
	s_or_b64 exec, exec, s[0:1]
	v_cmp_gt_u16_e32 vcc, 8, v7
	s_waitcnt lgkmcnt(0)
	s_barrier
	s_and_saveexec_b64 s[0:1], vcc
	s_cbranch_execz .LBB261_17
; %bb.16:
	ds_read2_b32 v[2:3], v1 offset1:8
	s_waitcnt lgkmcnt(0)
	v_add_f32_e32 v2, v3, v2
	ds_write_b32 v1, v2
.LBB261_17:
	s_or_b64 exec, exec, s[0:1]
	v_cmp_gt_u16_e32 vcc, 4, v7
	s_waitcnt lgkmcnt(0)
	s_barrier
	s_and_saveexec_b64 s[0:1], vcc
	s_cbranch_execz .LBB261_19
; %bb.18:
	ds_read2_b32 v[2:3], v1 offset1:4
	s_waitcnt lgkmcnt(0)
	v_add_f32_e32 v2, v3, v2
	ds_write_b32 v1, v2
.LBB261_19:
	s_or_b64 exec, exec, s[0:1]
	v_cmp_gt_u16_e32 vcc, 2, v7
	s_waitcnt lgkmcnt(0)
	s_barrier
	s_and_saveexec_b64 s[0:1], vcc
	s_cbranch_execz .LBB261_21
; %bb.20:
	ds_read2_b32 v[2:3], v1 offset1:2
	s_waitcnt lgkmcnt(0)
	v_add_f32_e32 v2, v3, v2
	ds_write_b32 v1, v2
.LBB261_21:
	s_or_b64 exec, exec, s[0:1]
	v_cmp_gt_u32_e32 vcc, 22, v0
	v_mov_b32_e32 v2, v6
	s_waitcnt lgkmcnt(0)
	s_barrier
	s_and_saveexec_b64 s[0:1], vcc
	s_cbranch_execz .LBB261_23
; %bb.22:
	s_movk_i32 s2, 0x54
	v_mad_u32_u24 v2, v0, s2, v1
	ds_read_b64 v[2:3], v2
	s_waitcnt lgkmcnt(0)
	v_add_f32_e32 v2, v2, v3
.LBB261_23:
	s_or_b64 exec, exec, s[0:1]
	s_branch .LBB261_36
.LBB261_24:
                                        ; implicit-def: $vgpr2
	s_cbranch_execz .LBB261_36
; %bb.25:
	s_movk_i32 s0, 0x84
	v_cmp_gt_u32_e32 vcc, s0, v0
	s_and_saveexec_b64 s[0:1], vcc
	s_cbranch_execz .LBB261_27
; %bb.26:
	ds_read_b32 v2, v1 offset:1408
	ds_read_b32 v3, v1
	s_waitcnt lgkmcnt(0)
	v_add_f32_e32 v2, v2, v3
	ds_write_b32 v1, v2
.LBB261_27:
	s_or_b64 exec, exec, s[0:1]
	s_movk_i32 s0, 0xb0
	v_cmp_gt_u32_e32 vcc, s0, v0
	s_waitcnt lgkmcnt(0)
	s_barrier
	s_and_saveexec_b64 s[0:1], vcc
	s_cbranch_execz .LBB261_29
; %bb.28:
	ds_read2_b32 v[2:3], v1 offset1:176
	s_waitcnt lgkmcnt(0)
	v_add_f32_e32 v2, v3, v2
	ds_write_b32 v1, v2
.LBB261_29:
	s_or_b64 exec, exec, s[0:1]
	s_movk_i32 s0, 0x58
	v_cmp_gt_u32_e32 vcc, s0, v0
	s_waitcnt lgkmcnt(0)
	s_barrier
	s_and_saveexec_b64 s[0:1], vcc
	s_cbranch_execz .LBB261_31
; %bb.30:
	ds_read2_b32 v[2:3], v1 offset1:88
	s_waitcnt lgkmcnt(0)
	v_add_f32_e32 v2, v3, v2
	ds_write_b32 v1, v2
.LBB261_31:
	s_or_b64 exec, exec, s[0:1]
	v_cmp_gt_u32_e32 vcc, 44, v0
	s_waitcnt lgkmcnt(0)
	s_barrier
	s_and_saveexec_b64 s[0:1], vcc
	s_cbranch_execz .LBB261_33
; %bb.32:
	ds_read2_b32 v[2:3], v1 offset1:44
	s_waitcnt lgkmcnt(0)
	v_add_f32_e32 v2, v3, v2
	ds_write_b32 v1, v2
.LBB261_33:
	s_or_b64 exec, exec, s[0:1]
	v_cmp_gt_u32_e32 vcc, 22, v0
	s_waitcnt lgkmcnt(0)
	s_and_saveexec_b64 s[0:1], vcc
	s_cbranch_execz .LBB261_35
; %bb.34:
	ds_read2_b32 v[1:2], v1 offset1:22
	s_waitcnt lgkmcnt(0)
	v_add_f32_e32 v6, v1, v2
.LBB261_35:
	s_or_b64 exec, exec, s[0:1]
	v_mov_b32_e32 v2, v6
.LBB261_36:
	v_cmp_gt_u32_e32 vcc, 22, v0
	s_and_saveexec_b64 s[0:1], vcc
	s_cbranch_execz .LBB261_40
; %bb.37:
	v_cmp_eq_f32_e64 s[0:1], s12, 0
	s_and_b64 vcc, exec, s[0:1]
	v_mul_f32_e32 v1, s14, v2
	s_cbranch_vccz .LBB261_41
; %bb.38:
	v_mad_u64_u32 v[2:3], s[0:1], s6, 22, v[0:1]
	v_mov_b32_e32 v3, 0
	v_mov_b32_e32 v4, s17
	v_lshlrev_b64 v[2:3], 2, v[2:3]
	v_add_co_u32_e32 v2, vcc, s16, v2
	v_addc_co_u32_e32 v3, vcc, v4, v3, vcc
	global_store_dword v[2:3], v1, off
	s_cbranch_execnz .LBB261_40
.LBB261_39:
	v_mad_u64_u32 v[2:3], s[0:1], s6, 22, v[0:1]
	v_mov_b32_e32 v3, 0
	v_mov_b32_e32 v0, s17
	v_lshlrev_b64 v[2:3], 2, v[2:3]
	v_add_co_u32_e32 v2, vcc, s16, v2
	v_addc_co_u32_e32 v3, vcc, v0, v3, vcc
	global_load_dword v0, v[2:3], off
	s_waitcnt vmcnt(0)
	v_fmac_f32_e32 v1, s12, v0
	global_store_dword v[2:3], v1, off
.LBB261_40:
	s_endpgm
.LBB261_41:
	s_branch .LBB261_39
	.section	.rodata,"a",@progbits
	.p2align	6, 0x0
	.amdhsa_kernel _ZN9rocsparseL20bsrxmvn_17_32_kernelILj22EfliaafEEvT2_20rocsparse_direction_NS_24const_host_device_scalarIT0_EES1_PKS1_PKT1_SA_S7_PKT3_PKT4_S5_PT5_21rocsparse_index_base_b
		.amdhsa_group_segment_fixed_size 1936
		.amdhsa_private_segment_fixed_size 0
		.amdhsa_kernarg_size 96
		.amdhsa_user_sgpr_count 6
		.amdhsa_user_sgpr_private_segment_buffer 1
		.amdhsa_user_sgpr_dispatch_ptr 0
		.amdhsa_user_sgpr_queue_ptr 0
		.amdhsa_user_sgpr_kernarg_segment_ptr 1
		.amdhsa_user_sgpr_dispatch_id 0
		.amdhsa_user_sgpr_flat_scratch_init 0
		.amdhsa_user_sgpr_private_segment_size 0
		.amdhsa_uses_dynamic_stack 0
		.amdhsa_system_sgpr_private_segment_wavefront_offset 0
		.amdhsa_system_sgpr_workgroup_id_x 1
		.amdhsa_system_sgpr_workgroup_id_y 0
		.amdhsa_system_sgpr_workgroup_id_z 0
		.amdhsa_system_sgpr_workgroup_info 0
		.amdhsa_system_vgpr_workitem_id 0
		.amdhsa_next_free_vgpr 13
		.amdhsa_next_free_sgpr 26
		.amdhsa_reserve_vcc 1
		.amdhsa_reserve_flat_scratch 0
		.amdhsa_float_round_mode_32 0
		.amdhsa_float_round_mode_16_64 0
		.amdhsa_float_denorm_mode_32 3
		.amdhsa_float_denorm_mode_16_64 3
		.amdhsa_dx10_clamp 1
		.amdhsa_ieee_mode 1
		.amdhsa_fp16_overflow 0
		.amdhsa_exception_fp_ieee_invalid_op 0
		.amdhsa_exception_fp_denorm_src 0
		.amdhsa_exception_fp_ieee_div_zero 0
		.amdhsa_exception_fp_ieee_overflow 0
		.amdhsa_exception_fp_ieee_underflow 0
		.amdhsa_exception_fp_ieee_inexact 0
		.amdhsa_exception_int_div_zero 0
	.end_amdhsa_kernel
	.section	.text._ZN9rocsparseL20bsrxmvn_17_32_kernelILj22EfliaafEEvT2_20rocsparse_direction_NS_24const_host_device_scalarIT0_EES1_PKS1_PKT1_SA_S7_PKT3_PKT4_S5_PT5_21rocsparse_index_base_b,"axG",@progbits,_ZN9rocsparseL20bsrxmvn_17_32_kernelILj22EfliaafEEvT2_20rocsparse_direction_NS_24const_host_device_scalarIT0_EES1_PKS1_PKT1_SA_S7_PKT3_PKT4_S5_PT5_21rocsparse_index_base_b,comdat
.Lfunc_end261:
	.size	_ZN9rocsparseL20bsrxmvn_17_32_kernelILj22EfliaafEEvT2_20rocsparse_direction_NS_24const_host_device_scalarIT0_EES1_PKS1_PKT1_SA_S7_PKT3_PKT4_S5_PT5_21rocsparse_index_base_b, .Lfunc_end261-_ZN9rocsparseL20bsrxmvn_17_32_kernelILj22EfliaafEEvT2_20rocsparse_direction_NS_24const_host_device_scalarIT0_EES1_PKS1_PKT1_SA_S7_PKT3_PKT4_S5_PT5_21rocsparse_index_base_b
                                        ; -- End function
	.set _ZN9rocsparseL20bsrxmvn_17_32_kernelILj22EfliaafEEvT2_20rocsparse_direction_NS_24const_host_device_scalarIT0_EES1_PKS1_PKT1_SA_S7_PKT3_PKT4_S5_PT5_21rocsparse_index_base_b.num_vgpr, 13
	.set _ZN9rocsparseL20bsrxmvn_17_32_kernelILj22EfliaafEEvT2_20rocsparse_direction_NS_24const_host_device_scalarIT0_EES1_PKS1_PKT1_SA_S7_PKT3_PKT4_S5_PT5_21rocsparse_index_base_b.num_agpr, 0
	.set _ZN9rocsparseL20bsrxmvn_17_32_kernelILj22EfliaafEEvT2_20rocsparse_direction_NS_24const_host_device_scalarIT0_EES1_PKS1_PKT1_SA_S7_PKT3_PKT4_S5_PT5_21rocsparse_index_base_b.numbered_sgpr, 26
	.set _ZN9rocsparseL20bsrxmvn_17_32_kernelILj22EfliaafEEvT2_20rocsparse_direction_NS_24const_host_device_scalarIT0_EES1_PKS1_PKT1_SA_S7_PKT3_PKT4_S5_PT5_21rocsparse_index_base_b.num_named_barrier, 0
	.set _ZN9rocsparseL20bsrxmvn_17_32_kernelILj22EfliaafEEvT2_20rocsparse_direction_NS_24const_host_device_scalarIT0_EES1_PKS1_PKT1_SA_S7_PKT3_PKT4_S5_PT5_21rocsparse_index_base_b.private_seg_size, 0
	.set _ZN9rocsparseL20bsrxmvn_17_32_kernelILj22EfliaafEEvT2_20rocsparse_direction_NS_24const_host_device_scalarIT0_EES1_PKS1_PKT1_SA_S7_PKT3_PKT4_S5_PT5_21rocsparse_index_base_b.uses_vcc, 1
	.set _ZN9rocsparseL20bsrxmvn_17_32_kernelILj22EfliaafEEvT2_20rocsparse_direction_NS_24const_host_device_scalarIT0_EES1_PKS1_PKT1_SA_S7_PKT3_PKT4_S5_PT5_21rocsparse_index_base_b.uses_flat_scratch, 0
	.set _ZN9rocsparseL20bsrxmvn_17_32_kernelILj22EfliaafEEvT2_20rocsparse_direction_NS_24const_host_device_scalarIT0_EES1_PKS1_PKT1_SA_S7_PKT3_PKT4_S5_PT5_21rocsparse_index_base_b.has_dyn_sized_stack, 0
	.set _ZN9rocsparseL20bsrxmvn_17_32_kernelILj22EfliaafEEvT2_20rocsparse_direction_NS_24const_host_device_scalarIT0_EES1_PKS1_PKT1_SA_S7_PKT3_PKT4_S5_PT5_21rocsparse_index_base_b.has_recursion, 0
	.set _ZN9rocsparseL20bsrxmvn_17_32_kernelILj22EfliaafEEvT2_20rocsparse_direction_NS_24const_host_device_scalarIT0_EES1_PKS1_PKT1_SA_S7_PKT3_PKT4_S5_PT5_21rocsparse_index_base_b.has_indirect_call, 0
	.section	.AMDGPU.csdata,"",@progbits
; Kernel info:
; codeLenInByte = 1320
; TotalNumSgprs: 30
; NumVgprs: 13
; ScratchSize: 0
; MemoryBound: 0
; FloatMode: 240
; IeeeMode: 1
; LDSByteSize: 1936 bytes/workgroup (compile time only)
; SGPRBlocks: 3
; VGPRBlocks: 3
; NumSGPRsForWavesPerEU: 30
; NumVGPRsForWavesPerEU: 13
; Occupancy: 10
; WaveLimiterHint : 1
; COMPUTE_PGM_RSRC2:SCRATCH_EN: 0
; COMPUTE_PGM_RSRC2:USER_SGPR: 6
; COMPUTE_PGM_RSRC2:TRAP_HANDLER: 0
; COMPUTE_PGM_RSRC2:TGID_X_EN: 1
; COMPUTE_PGM_RSRC2:TGID_Y_EN: 0
; COMPUTE_PGM_RSRC2:TGID_Z_EN: 0
; COMPUTE_PGM_RSRC2:TIDIG_COMP_CNT: 0
	.section	.text._ZN9rocsparseL20bsrxmvn_17_32_kernelILj23EfliaafEEvT2_20rocsparse_direction_NS_24const_host_device_scalarIT0_EES1_PKS1_PKT1_SA_S7_PKT3_PKT4_S5_PT5_21rocsparse_index_base_b,"axG",@progbits,_ZN9rocsparseL20bsrxmvn_17_32_kernelILj23EfliaafEEvT2_20rocsparse_direction_NS_24const_host_device_scalarIT0_EES1_PKS1_PKT1_SA_S7_PKT3_PKT4_S5_PT5_21rocsparse_index_base_b,comdat
	.globl	_ZN9rocsparseL20bsrxmvn_17_32_kernelILj23EfliaafEEvT2_20rocsparse_direction_NS_24const_host_device_scalarIT0_EES1_PKS1_PKT1_SA_S7_PKT3_PKT4_S5_PT5_21rocsparse_index_base_b ; -- Begin function _ZN9rocsparseL20bsrxmvn_17_32_kernelILj23EfliaafEEvT2_20rocsparse_direction_NS_24const_host_device_scalarIT0_EES1_PKS1_PKT1_SA_S7_PKT3_PKT4_S5_PT5_21rocsparse_index_base_b
	.p2align	8
	.type	_ZN9rocsparseL20bsrxmvn_17_32_kernelILj23EfliaafEEvT2_20rocsparse_direction_NS_24const_host_device_scalarIT0_EES1_PKS1_PKT1_SA_S7_PKT3_PKT4_S5_PT5_21rocsparse_index_base_b,@function
_ZN9rocsparseL20bsrxmvn_17_32_kernelILj23EfliaafEEvT2_20rocsparse_direction_NS_24const_host_device_scalarIT0_EES1_PKS1_PKT1_SA_S7_PKT3_PKT4_S5_PT5_21rocsparse_index_base_b: ; @_ZN9rocsparseL20bsrxmvn_17_32_kernelILj23EfliaafEEvT2_20rocsparse_direction_NS_24const_host_device_scalarIT0_EES1_PKS1_PKT1_SA_S7_PKT3_PKT4_S5_PT5_21rocsparse_index_base_b
; %bb.0:
	s_load_dwordx2 s[18:19], s[4:5], 0x58
	s_load_dwordx2 s[14:15], s[4:5], 0x8
	;; [unrolled: 1-line block ×3, first 2 shown]
	s_waitcnt lgkmcnt(0)
	s_bitcmp1_b32 s19, 0
	s_cselect_b64 s[2:3], -1, 0
	s_xor_b64 s[0:1], s[2:3], -1
	s_and_b64 vcc, exec, s[2:3]
	s_cbranch_vccnz .LBB262_2
; %bb.1:
	s_load_dword s14, s[14:15], 0x0
.LBB262_2:
	s_andn2_b64 vcc, exec, s[0:1]
	s_cbranch_vccnz .LBB262_4
; %bb.3:
	s_load_dword s12, s[12:13], 0x0
.LBB262_4:
	s_waitcnt lgkmcnt(0)
	v_cmp_neq_f32_e64 s[0:1], s14, 0
	v_cmp_neq_f32_e64 s[2:3], s12, 1.0
	s_or_b64 s[0:1], s[0:1], s[2:3]
	s_andn2_b64 vcc, exec, s[0:1]
	s_cbranch_vccnz .LBB262_40
; %bb.5:
	s_load_dwordx4 s[0:3], s[4:5], 0x18
	s_load_dwordx2 s[8:9], s[4:5], 0x28
	s_waitcnt lgkmcnt(0)
	s_cmp_eq_u64 s[0:1], 0
	s_cbranch_scc1 .LBB262_7
; %bb.6:
	s_ashr_i32 s7, s6, 31
	s_lshl_b64 s[6:7], s[6:7], 2
	s_add_u32 s0, s0, s6
	s_addc_u32 s1, s1, s7
	s_load_dword s0, s[0:1], 0x0
	s_waitcnt lgkmcnt(0)
	s_sub_i32 s6, s0, s18
.LBB262_7:
	s_load_dword s7, s[4:5], 0x4
	s_load_dwordx2 s[16:17], s[4:5], 0x50
	v_mul_u32_u24_e32 v1, 0xb22, v0
	v_mov_b32_e32 v2, 23
	v_mul_lo_u16_sdwa v2, v1, v2 dst_sel:DWORD dst_unused:UNUSED_PAD src0_sel:WORD_1 src1_sel:DWORD
	s_waitcnt lgkmcnt(0)
	s_cmp_eq_u32 s7, 1
	s_cselect_b64 s[0:1], -1, 0
	s_cmp_lg_u32 s7, 1
	s_cselect_b64 s[20:21], -1, 0
	s_ashr_i32 s7, s6, 31
	s_lshl_b64 s[10:11], s[6:7], 3
	s_add_u32 s2, s2, s10
	s_addc_u32 s3, s3, s11
	s_add_u32 s7, s2, 8
	s_addc_u32 s13, s3, 0
	;; [unrolled: 2-line block ×3, first 2 shown]
	s_cmp_eq_u64 s[8:9], 0
	s_cselect_b32 s9, s13, s11
	s_cselect_b32 s8, s7, s10
	s_load_dwordx2 s[22:23], s[8:9], 0x0
	s_load_dwordx2 s[24:25], s[2:3], 0x0
	v_sub_u16_e32 v9, v0, v2
	v_mov_b32_e32 v8, 0
	s_waitcnt lgkmcnt(0)
	v_mov_b32_e32 v2, s22
	v_mov_b32_e32 v3, s23
	v_cmp_ge_i64_e32 vcc, s[24:25], v[2:3]
	s_cbranch_vccnz .LBB262_12
; %bb.8:
	s_load_dwordx4 s[8:11], s[4:5], 0x30
	s_load_dwordx2 s[2:3], s[4:5], 0x40
	s_sub_u32 s4, s22, s18
	s_mov_b32 s7, 0xffff
	s_subb_u32 s5, s23, 0
	s_movk_i32 s13, 0x211
	v_and_b32_sdwa v1, s7, v1 dst_sel:DWORD dst_unused:UNUSED_PAD src0_sel:DWORD src1_sel:WORD_1
	v_subrev_u32_e32 v2, 23, v1
	v_cmp_gt_u32_e32 vcc, s13, v0
	s_sub_u32 s22, s24, s18
	v_cndmask_b32_e32 v1, v2, v1, vcc
	s_subb_u32 s23, s25, 0
	v_cndmask_b32_e64 v1, v9, v1, s[0:1]
	s_mul_i32 s0, s23, 0x211
	s_mul_hi_u32 s1, s22, 0x211
	s_add_i32 s1, s1, s0
	s_mul_i32 s0, s22, 0x211
	s_waitcnt lgkmcnt(0)
	s_add_u32 s0, s10, s0
	s_addc_u32 s1, s11, s1
	v_mov_b32_e32 v3, s1
	v_add_co_u32_e32 v2, vcc, s0, v0
	v_addc_co_u32_e32 v3, vcc, 0, v3, vcc
	s_movk_i32 s0, 0x210
	v_cmp_lt_u32_e32 vcc, s0, v0
	v_cndmask_b32_e64 v10, 0, 1, vcc
	v_mov_b32_e32 v4, s25
	v_add_co_u32_e32 v5, vcc, s24, v10
	v_addc_co_u32_e32 v6, vcc, 0, v4, vcc
	v_subrev_co_u32_e32 v4, vcc, s18, v5
	v_subbrev_co_u32_e32 v5, vcc, 0, v6, vcc
	v_lshlrev_b64 v[4:5], 2, v[4:5]
	v_mov_b32_e32 v6, s9
	v_add_co_u32_e32 v4, vcc, s8, v4
	v_addc_co_u32_e32 v5, vcc, v6, v5, vcc
	v_mov_b32_e32 v7, s5
	v_mov_b32_e32 v8, 0
	;; [unrolled: 1-line block ×3, first 2 shown]
	s_branch .LBB262_10
.LBB262_9:                              ;   in Loop: Header=BB262_10 Depth=1
	s_or_b64 exec, exec, s[0:1]
	s_add_u32 s22, s22, 1
	s_addc_u32 s23, s23, 0
	v_cmp_lt_i64_e32 vcc, s[22:23], v[6:7]
	v_add_co_u32_e64 v4, s[0:1], 4, v4
	v_addc_co_u32_e64 v5, s[0:1], 0, v5, s[0:1]
	s_cbranch_vccz .LBB262_12
.LBB262_10:                             ; =>This Inner Loop Header: Depth=1
	v_mov_b32_e32 v12, s23
	v_add_co_u32_e32 v11, vcc, s22, v10
	v_addc_co_u32_e32 v12, vcc, 0, v12, vcc
	v_cmp_gt_i64_e32 vcc, s[4:5], v[11:12]
	s_and_saveexec_b64 s[0:1], vcc
	s_cbranch_execz .LBB262_9
; %bb.11:                               ;   in Loop: Header=BB262_10 Depth=1
	global_load_dword v11, v[4:5], off
	global_load_sbyte v13, v[2:3], off
	s_waitcnt vmcnt(1)
	v_subrev_u32_e32 v11, s18, v11
	v_mad_u64_u32 v[11:12], s[8:9], v11, 23, v[1:2]
	v_mov_b32_e32 v12, s3
	v_ashrrev_i32_e32 v14, 31, v11
	v_add_co_u32_e32 v11, vcc, s2, v11
	v_addc_co_u32_e32 v12, vcc, v12, v14, vcc
	global_load_sbyte v11, v[11:12], off
	s_waitcnt vmcnt(1)
	v_cvt_f32_i32_e32 v12, v13
	v_add_co_u32_e32 v2, vcc, 0x211, v2
	v_addc_co_u32_e32 v3, vcc, 0, v3, vcc
	s_waitcnt vmcnt(0)
	v_cvt_f32_i32_e32 v11, v11
	v_fmac_f32_e32 v8, v12, v11
	s_branch .LBB262_9
.LBB262_12:
	v_lshlrev_b32_e32 v1, 2, v0
	s_and_b64 vcc, exec, s[20:21]
	ds_write_b32 v1, v8
	s_waitcnt lgkmcnt(0)
	s_barrier
	s_cbranch_vccz .LBB262_24
; %bb.13:
	v_cmp_gt_u16_e32 vcc, 7, v9
	s_and_saveexec_b64 s[0:1], vcc
	s_cbranch_execz .LBB262_15
; %bb.14:
	ds_read2_b32 v[2:3], v1 offset1:16
	s_waitcnt lgkmcnt(0)
	v_add_f32_e32 v2, v3, v2
	ds_write_b32 v1, v2
.LBB262_15:
	s_or_b64 exec, exec, s[0:1]
	v_cmp_gt_u16_e32 vcc, 8, v9
	s_waitcnt lgkmcnt(0)
	s_barrier
	s_and_saveexec_b64 s[0:1], vcc
	s_cbranch_execz .LBB262_17
; %bb.16:
	ds_read2_b32 v[2:3], v1 offset1:8
	s_waitcnt lgkmcnt(0)
	v_add_f32_e32 v2, v3, v2
	ds_write_b32 v1, v2
.LBB262_17:
	s_or_b64 exec, exec, s[0:1]
	v_cmp_gt_u16_e32 vcc, 4, v9
	s_waitcnt lgkmcnt(0)
	s_barrier
	s_and_saveexec_b64 s[0:1], vcc
	s_cbranch_execz .LBB262_19
; %bb.18:
	ds_read2_b32 v[2:3], v1 offset1:4
	s_waitcnt lgkmcnt(0)
	v_add_f32_e32 v2, v3, v2
	ds_write_b32 v1, v2
.LBB262_19:
	s_or_b64 exec, exec, s[0:1]
	v_cmp_gt_u16_e32 vcc, 2, v9
	s_waitcnt lgkmcnt(0)
	s_barrier
	s_and_saveexec_b64 s[0:1], vcc
	s_cbranch_execz .LBB262_21
; %bb.20:
	ds_read2_b32 v[2:3], v1 offset1:2
	s_waitcnt lgkmcnt(0)
	v_add_f32_e32 v2, v3, v2
	ds_write_b32 v1, v2
.LBB262_21:
	s_or_b64 exec, exec, s[0:1]
	v_cmp_gt_u32_e32 vcc, 23, v0
	v_mov_b32_e32 v2, v8
	s_waitcnt lgkmcnt(0)
	s_barrier
	s_and_saveexec_b64 s[0:1], vcc
	s_cbranch_execz .LBB262_23
; %bb.22:
	s_movk_i32 s2, 0x58
	v_mad_u32_u24 v2, v0, s2, v1
	ds_read2_b32 v[2:3], v2 offset1:1
	s_waitcnt lgkmcnt(0)
	v_add_f32_e32 v2, v2, v3
.LBB262_23:
	s_or_b64 exec, exec, s[0:1]
	s_branch .LBB262_36
.LBB262_24:
                                        ; implicit-def: $vgpr2
	s_cbranch_execz .LBB262_36
; %bb.25:
	s_movk_i32 s0, 0xa1
	v_cmp_gt_u32_e32 vcc, s0, v0
	s_and_saveexec_b64 s[0:1], vcc
	s_cbranch_execz .LBB262_27
; %bb.26:
	ds_read_b32 v2, v1 offset:1472
	ds_read_b32 v3, v1
	s_waitcnt lgkmcnt(0)
	v_add_f32_e32 v2, v2, v3
	ds_write_b32 v1, v2
.LBB262_27:
	s_or_b64 exec, exec, s[0:1]
	s_movk_i32 s0, 0xb8
	v_cmp_gt_u32_e32 vcc, s0, v0
	s_waitcnt lgkmcnt(0)
	s_barrier
	s_and_saveexec_b64 s[0:1], vcc
	s_cbranch_execz .LBB262_29
; %bb.28:
	ds_read2_b32 v[2:3], v1 offset1:184
	s_waitcnt lgkmcnt(0)
	v_add_f32_e32 v2, v3, v2
	ds_write_b32 v1, v2
.LBB262_29:
	s_or_b64 exec, exec, s[0:1]
	s_movk_i32 s0, 0x5c
	v_cmp_gt_u32_e32 vcc, s0, v0
	s_waitcnt lgkmcnt(0)
	s_barrier
	s_and_saveexec_b64 s[0:1], vcc
	s_cbranch_execz .LBB262_31
; %bb.30:
	ds_read2_b32 v[2:3], v1 offset1:92
	s_waitcnt lgkmcnt(0)
	v_add_f32_e32 v2, v3, v2
	ds_write_b32 v1, v2
.LBB262_31:
	s_or_b64 exec, exec, s[0:1]
	v_cmp_gt_u32_e32 vcc, 46, v0
	s_waitcnt lgkmcnt(0)
	s_barrier
	s_and_saveexec_b64 s[0:1], vcc
	s_cbranch_execz .LBB262_33
; %bb.32:
	ds_read2_b32 v[2:3], v1 offset1:46
	s_waitcnt lgkmcnt(0)
	v_add_f32_e32 v2, v3, v2
	ds_write_b32 v1, v2
.LBB262_33:
	s_or_b64 exec, exec, s[0:1]
	v_cmp_gt_u32_e32 vcc, 23, v0
	s_waitcnt lgkmcnt(0)
	s_and_saveexec_b64 s[0:1], vcc
	s_cbranch_execz .LBB262_35
; %bb.34:
	ds_read2_b32 v[1:2], v1 offset1:23
	s_waitcnt lgkmcnt(0)
	v_add_f32_e32 v8, v1, v2
.LBB262_35:
	s_or_b64 exec, exec, s[0:1]
	v_mov_b32_e32 v2, v8
.LBB262_36:
	v_cmp_gt_u32_e32 vcc, 23, v0
	s_and_saveexec_b64 s[0:1], vcc
	s_cbranch_execz .LBB262_40
; %bb.37:
	v_cmp_eq_f32_e64 s[0:1], s12, 0
	s_and_b64 vcc, exec, s[0:1]
	v_mul_f32_e32 v1, s14, v2
	s_cbranch_vccz .LBB262_41
; %bb.38:
	v_mad_u64_u32 v[2:3], s[0:1], s6, 23, v[0:1]
	v_mov_b32_e32 v3, 0
	v_mov_b32_e32 v4, s17
	v_lshlrev_b64 v[2:3], 2, v[2:3]
	v_add_co_u32_e32 v2, vcc, s16, v2
	v_addc_co_u32_e32 v3, vcc, v4, v3, vcc
	global_store_dword v[2:3], v1, off
	s_cbranch_execnz .LBB262_40
.LBB262_39:
	v_mad_u64_u32 v[2:3], s[0:1], s6, 23, v[0:1]
	v_mov_b32_e32 v3, 0
	v_mov_b32_e32 v0, s17
	v_lshlrev_b64 v[2:3], 2, v[2:3]
	v_add_co_u32_e32 v2, vcc, s16, v2
	v_addc_co_u32_e32 v3, vcc, v0, v3, vcc
	global_load_dword v0, v[2:3], off
	s_waitcnt vmcnt(0)
	v_fmac_f32_e32 v1, s12, v0
	global_store_dword v[2:3], v1, off
.LBB262_40:
	s_endpgm
.LBB262_41:
	s_branch .LBB262_39
	.section	.rodata,"a",@progbits
	.p2align	6, 0x0
	.amdhsa_kernel _ZN9rocsparseL20bsrxmvn_17_32_kernelILj23EfliaafEEvT2_20rocsparse_direction_NS_24const_host_device_scalarIT0_EES1_PKS1_PKT1_SA_S7_PKT3_PKT4_S5_PT5_21rocsparse_index_base_b
		.amdhsa_group_segment_fixed_size 2116
		.amdhsa_private_segment_fixed_size 0
		.amdhsa_kernarg_size 96
		.amdhsa_user_sgpr_count 6
		.amdhsa_user_sgpr_private_segment_buffer 1
		.amdhsa_user_sgpr_dispatch_ptr 0
		.amdhsa_user_sgpr_queue_ptr 0
		.amdhsa_user_sgpr_kernarg_segment_ptr 1
		.amdhsa_user_sgpr_dispatch_id 0
		.amdhsa_user_sgpr_flat_scratch_init 0
		.amdhsa_user_sgpr_private_segment_size 0
		.amdhsa_uses_dynamic_stack 0
		.amdhsa_system_sgpr_private_segment_wavefront_offset 0
		.amdhsa_system_sgpr_workgroup_id_x 1
		.amdhsa_system_sgpr_workgroup_id_y 0
		.amdhsa_system_sgpr_workgroup_id_z 0
		.amdhsa_system_sgpr_workgroup_info 0
		.amdhsa_system_vgpr_workitem_id 0
		.amdhsa_next_free_vgpr 25
		.amdhsa_next_free_sgpr 61
		.amdhsa_reserve_vcc 1
		.amdhsa_reserve_flat_scratch 0
		.amdhsa_float_round_mode_32 0
		.amdhsa_float_round_mode_16_64 0
		.amdhsa_float_denorm_mode_32 3
		.amdhsa_float_denorm_mode_16_64 3
		.amdhsa_dx10_clamp 1
		.amdhsa_ieee_mode 1
		.amdhsa_fp16_overflow 0
		.amdhsa_exception_fp_ieee_invalid_op 0
		.amdhsa_exception_fp_denorm_src 0
		.amdhsa_exception_fp_ieee_div_zero 0
		.amdhsa_exception_fp_ieee_overflow 0
		.amdhsa_exception_fp_ieee_underflow 0
		.amdhsa_exception_fp_ieee_inexact 0
		.amdhsa_exception_int_div_zero 0
	.end_amdhsa_kernel
	.section	.text._ZN9rocsparseL20bsrxmvn_17_32_kernelILj23EfliaafEEvT2_20rocsparse_direction_NS_24const_host_device_scalarIT0_EES1_PKS1_PKT1_SA_S7_PKT3_PKT4_S5_PT5_21rocsparse_index_base_b,"axG",@progbits,_ZN9rocsparseL20bsrxmvn_17_32_kernelILj23EfliaafEEvT2_20rocsparse_direction_NS_24const_host_device_scalarIT0_EES1_PKS1_PKT1_SA_S7_PKT3_PKT4_S5_PT5_21rocsparse_index_base_b,comdat
.Lfunc_end262:
	.size	_ZN9rocsparseL20bsrxmvn_17_32_kernelILj23EfliaafEEvT2_20rocsparse_direction_NS_24const_host_device_scalarIT0_EES1_PKS1_PKT1_SA_S7_PKT3_PKT4_S5_PT5_21rocsparse_index_base_b, .Lfunc_end262-_ZN9rocsparseL20bsrxmvn_17_32_kernelILj23EfliaafEEvT2_20rocsparse_direction_NS_24const_host_device_scalarIT0_EES1_PKS1_PKT1_SA_S7_PKT3_PKT4_S5_PT5_21rocsparse_index_base_b
                                        ; -- End function
	.set _ZN9rocsparseL20bsrxmvn_17_32_kernelILj23EfliaafEEvT2_20rocsparse_direction_NS_24const_host_device_scalarIT0_EES1_PKS1_PKT1_SA_S7_PKT3_PKT4_S5_PT5_21rocsparse_index_base_b.num_vgpr, 15
	.set _ZN9rocsparseL20bsrxmvn_17_32_kernelILj23EfliaafEEvT2_20rocsparse_direction_NS_24const_host_device_scalarIT0_EES1_PKS1_PKT1_SA_S7_PKT3_PKT4_S5_PT5_21rocsparse_index_base_b.num_agpr, 0
	.set _ZN9rocsparseL20bsrxmvn_17_32_kernelILj23EfliaafEEvT2_20rocsparse_direction_NS_24const_host_device_scalarIT0_EES1_PKS1_PKT1_SA_S7_PKT3_PKT4_S5_PT5_21rocsparse_index_base_b.numbered_sgpr, 26
	.set _ZN9rocsparseL20bsrxmvn_17_32_kernelILj23EfliaafEEvT2_20rocsparse_direction_NS_24const_host_device_scalarIT0_EES1_PKS1_PKT1_SA_S7_PKT3_PKT4_S5_PT5_21rocsparse_index_base_b.num_named_barrier, 0
	.set _ZN9rocsparseL20bsrxmvn_17_32_kernelILj23EfliaafEEvT2_20rocsparse_direction_NS_24const_host_device_scalarIT0_EES1_PKS1_PKT1_SA_S7_PKT3_PKT4_S5_PT5_21rocsparse_index_base_b.private_seg_size, 0
	.set _ZN9rocsparseL20bsrxmvn_17_32_kernelILj23EfliaafEEvT2_20rocsparse_direction_NS_24const_host_device_scalarIT0_EES1_PKS1_PKT1_SA_S7_PKT3_PKT4_S5_PT5_21rocsparse_index_base_b.uses_vcc, 1
	.set _ZN9rocsparseL20bsrxmvn_17_32_kernelILj23EfliaafEEvT2_20rocsparse_direction_NS_24const_host_device_scalarIT0_EES1_PKS1_PKT1_SA_S7_PKT3_PKT4_S5_PT5_21rocsparse_index_base_b.uses_flat_scratch, 0
	.set _ZN9rocsparseL20bsrxmvn_17_32_kernelILj23EfliaafEEvT2_20rocsparse_direction_NS_24const_host_device_scalarIT0_EES1_PKS1_PKT1_SA_S7_PKT3_PKT4_S5_PT5_21rocsparse_index_base_b.has_dyn_sized_stack, 0
	.set _ZN9rocsparseL20bsrxmvn_17_32_kernelILj23EfliaafEEvT2_20rocsparse_direction_NS_24const_host_device_scalarIT0_EES1_PKS1_PKT1_SA_S7_PKT3_PKT4_S5_PT5_21rocsparse_index_base_b.has_recursion, 0
	.set _ZN9rocsparseL20bsrxmvn_17_32_kernelILj23EfliaafEEvT2_20rocsparse_direction_NS_24const_host_device_scalarIT0_EES1_PKS1_PKT1_SA_S7_PKT3_PKT4_S5_PT5_21rocsparse_index_base_b.has_indirect_call, 0
	.section	.AMDGPU.csdata,"",@progbits
; Kernel info:
; codeLenInByte = 1316
; TotalNumSgprs: 30
; NumVgprs: 15
; ScratchSize: 0
; MemoryBound: 0
; FloatMode: 240
; IeeeMode: 1
; LDSByteSize: 2116 bytes/workgroup (compile time only)
; SGPRBlocks: 8
; VGPRBlocks: 6
; NumSGPRsForWavesPerEU: 65
; NumVGPRsForWavesPerEU: 25
; Occupancy: 9
; WaveLimiterHint : 1
; COMPUTE_PGM_RSRC2:SCRATCH_EN: 0
; COMPUTE_PGM_RSRC2:USER_SGPR: 6
; COMPUTE_PGM_RSRC2:TRAP_HANDLER: 0
; COMPUTE_PGM_RSRC2:TGID_X_EN: 1
; COMPUTE_PGM_RSRC2:TGID_Y_EN: 0
; COMPUTE_PGM_RSRC2:TGID_Z_EN: 0
; COMPUTE_PGM_RSRC2:TIDIG_COMP_CNT: 0
	.section	.text._ZN9rocsparseL20bsrxmvn_17_32_kernelILj24EfliaafEEvT2_20rocsparse_direction_NS_24const_host_device_scalarIT0_EES1_PKS1_PKT1_SA_S7_PKT3_PKT4_S5_PT5_21rocsparse_index_base_b,"axG",@progbits,_ZN9rocsparseL20bsrxmvn_17_32_kernelILj24EfliaafEEvT2_20rocsparse_direction_NS_24const_host_device_scalarIT0_EES1_PKS1_PKT1_SA_S7_PKT3_PKT4_S5_PT5_21rocsparse_index_base_b,comdat
	.globl	_ZN9rocsparseL20bsrxmvn_17_32_kernelILj24EfliaafEEvT2_20rocsparse_direction_NS_24const_host_device_scalarIT0_EES1_PKS1_PKT1_SA_S7_PKT3_PKT4_S5_PT5_21rocsparse_index_base_b ; -- Begin function _ZN9rocsparseL20bsrxmvn_17_32_kernelILj24EfliaafEEvT2_20rocsparse_direction_NS_24const_host_device_scalarIT0_EES1_PKS1_PKT1_SA_S7_PKT3_PKT4_S5_PT5_21rocsparse_index_base_b
	.p2align	8
	.type	_ZN9rocsparseL20bsrxmvn_17_32_kernelILj24EfliaafEEvT2_20rocsparse_direction_NS_24const_host_device_scalarIT0_EES1_PKS1_PKT1_SA_S7_PKT3_PKT4_S5_PT5_21rocsparse_index_base_b,@function
_ZN9rocsparseL20bsrxmvn_17_32_kernelILj24EfliaafEEvT2_20rocsparse_direction_NS_24const_host_device_scalarIT0_EES1_PKS1_PKT1_SA_S7_PKT3_PKT4_S5_PT5_21rocsparse_index_base_b: ; @_ZN9rocsparseL20bsrxmvn_17_32_kernelILj24EfliaafEEvT2_20rocsparse_direction_NS_24const_host_device_scalarIT0_EES1_PKS1_PKT1_SA_S7_PKT3_PKT4_S5_PT5_21rocsparse_index_base_b
; %bb.0:
	s_load_dwordx2 s[18:19], s[4:5], 0x58
	s_load_dwordx2 s[14:15], s[4:5], 0x8
	;; [unrolled: 1-line block ×3, first 2 shown]
	s_waitcnt lgkmcnt(0)
	s_bitcmp1_b32 s19, 0
	s_cselect_b64 s[2:3], -1, 0
	s_xor_b64 s[0:1], s[2:3], -1
	s_and_b64 vcc, exec, s[2:3]
	s_cbranch_vccnz .LBB263_2
; %bb.1:
	s_load_dword s14, s[14:15], 0x0
.LBB263_2:
	s_andn2_b64 vcc, exec, s[0:1]
	s_cbranch_vccnz .LBB263_4
; %bb.3:
	s_load_dword s12, s[12:13], 0x0
.LBB263_4:
	s_waitcnt lgkmcnt(0)
	v_cmp_neq_f32_e64 s[0:1], s14, 0
	v_cmp_neq_f32_e64 s[2:3], s12, 1.0
	s_or_b64 s[0:1], s[0:1], s[2:3]
	s_andn2_b64 vcc, exec, s[0:1]
	s_cbranch_vccnz .LBB263_40
; %bb.5:
	s_load_dwordx4 s[0:3], s[4:5], 0x18
	s_load_dwordx2 s[8:9], s[4:5], 0x28
	s_waitcnt lgkmcnt(0)
	s_cmp_eq_u64 s[0:1], 0
	s_cbranch_scc1 .LBB263_7
; %bb.6:
	s_ashr_i32 s7, s6, 31
	s_lshl_b64 s[6:7], s[6:7], 2
	s_add_u32 s0, s0, s6
	s_addc_u32 s1, s1, s7
	s_load_dword s0, s[0:1], 0x0
	s_waitcnt lgkmcnt(0)
	s_sub_i32 s6, s0, s18
.LBB263_7:
	s_load_dword s7, s[4:5], 0x4
	s_load_dwordx2 s[16:17], s[4:5], 0x50
	v_mul_u32_u24_e32 v1, 0xaab, v0
	v_mov_b32_e32 v2, 24
	v_mul_lo_u16_sdwa v2, v1, v2 dst_sel:DWORD dst_unused:UNUSED_PAD src0_sel:WORD_1 src1_sel:DWORD
	s_waitcnt lgkmcnt(0)
	s_cmp_eq_u32 s7, 1
	s_cselect_b64 s[0:1], -1, 0
	s_cmp_lg_u32 s7, 1
	s_cselect_b64 s[20:21], -1, 0
	s_ashr_i32 s7, s6, 31
	s_lshl_b64 s[10:11], s[6:7], 3
	s_add_u32 s2, s2, s10
	s_addc_u32 s3, s3, s11
	s_add_u32 s7, s2, 8
	s_addc_u32 s13, s3, 0
	;; [unrolled: 2-line block ×3, first 2 shown]
	s_cmp_eq_u64 s[8:9], 0
	s_cselect_b32 s9, s13, s11
	s_cselect_b32 s8, s7, s10
	s_load_dwordx2 s[22:23], s[8:9], 0x0
	s_load_dwordx2 s[24:25], s[2:3], 0x0
	v_sub_u16_e32 v9, v0, v2
	v_mov_b32_e32 v8, 0
	s_waitcnt lgkmcnt(0)
	v_mov_b32_e32 v2, s22
	v_mov_b32_e32 v3, s23
	v_cmp_ge_i64_e32 vcc, s[24:25], v[2:3]
	s_cbranch_vccnz .LBB263_12
; %bb.8:
	s_load_dwordx4 s[8:11], s[4:5], 0x30
	s_load_dwordx2 s[2:3], s[4:5], 0x40
	s_sub_u32 s4, s22, s18
	s_mov_b32 s7, 0xffff
	s_subb_u32 s5, s23, 0
	s_movk_i32 s13, 0x240
	v_and_b32_sdwa v1, s7, v1 dst_sel:DWORD dst_unused:UNUSED_PAD src0_sel:DWORD src1_sel:WORD_1
	v_subrev_u32_e32 v2, 24, v1
	v_cmp_gt_u32_e32 vcc, s13, v0
	s_sub_u32 s22, s24, s18
	v_cndmask_b32_e32 v1, v2, v1, vcc
	s_subb_u32 s23, s25, 0
	v_cndmask_b32_e64 v1, v9, v1, s[0:1]
	s_mul_i32 s0, s23, 0x240
	s_mul_hi_u32 s1, s22, 0x240
	s_add_i32 s1, s1, s0
	s_mul_i32 s0, s22, 0x240
	s_waitcnt lgkmcnt(0)
	s_add_u32 s0, s10, s0
	s_addc_u32 s1, s11, s1
	v_mov_b32_e32 v3, s1
	v_add_co_u32_e32 v2, vcc, s0, v0
	v_addc_co_u32_e32 v3, vcc, 0, v3, vcc
	s_movk_i32 s0, 0x23f
	v_cmp_lt_u32_e32 vcc, s0, v0
	v_cndmask_b32_e64 v10, 0, 1, vcc
	v_mov_b32_e32 v4, s25
	v_add_co_u32_e32 v5, vcc, s24, v10
	v_addc_co_u32_e32 v6, vcc, 0, v4, vcc
	v_subrev_co_u32_e32 v4, vcc, s18, v5
	v_subbrev_co_u32_e32 v5, vcc, 0, v6, vcc
	v_lshlrev_b64 v[4:5], 2, v[4:5]
	v_mov_b32_e32 v6, s9
	v_add_co_u32_e32 v4, vcc, s8, v4
	v_addc_co_u32_e32 v5, vcc, v6, v5, vcc
	v_mov_b32_e32 v7, s5
	v_mov_b32_e32 v8, 0
	;; [unrolled: 1-line block ×3, first 2 shown]
	s_branch .LBB263_10
.LBB263_9:                              ;   in Loop: Header=BB263_10 Depth=1
	s_or_b64 exec, exec, s[0:1]
	s_add_u32 s22, s22, 1
	s_addc_u32 s23, s23, 0
	v_cmp_lt_i64_e32 vcc, s[22:23], v[6:7]
	v_add_co_u32_e64 v4, s[0:1], 4, v4
	v_addc_co_u32_e64 v5, s[0:1], 0, v5, s[0:1]
	s_cbranch_vccz .LBB263_12
.LBB263_10:                             ; =>This Inner Loop Header: Depth=1
	v_mov_b32_e32 v12, s23
	v_add_co_u32_e32 v11, vcc, s22, v10
	v_addc_co_u32_e32 v12, vcc, 0, v12, vcc
	v_cmp_gt_i64_e32 vcc, s[4:5], v[11:12]
	s_and_saveexec_b64 s[0:1], vcc
	s_cbranch_execz .LBB263_9
; %bb.11:                               ;   in Loop: Header=BB263_10 Depth=1
	global_load_dword v11, v[4:5], off
	global_load_sbyte v13, v[2:3], off
	s_waitcnt vmcnt(1)
	v_subrev_u32_e32 v11, s18, v11
	v_mad_u64_u32 v[11:12], s[8:9], v11, 24, v[1:2]
	v_mov_b32_e32 v12, s3
	v_ashrrev_i32_e32 v14, 31, v11
	v_add_co_u32_e32 v11, vcc, s2, v11
	v_addc_co_u32_e32 v12, vcc, v12, v14, vcc
	global_load_sbyte v11, v[11:12], off
	s_waitcnt vmcnt(1)
	v_cvt_f32_i32_e32 v12, v13
	v_add_co_u32_e32 v2, vcc, 0x240, v2
	v_addc_co_u32_e32 v3, vcc, 0, v3, vcc
	s_waitcnt vmcnt(0)
	v_cvt_f32_i32_e32 v11, v11
	v_fmac_f32_e32 v8, v12, v11
	s_branch .LBB263_9
.LBB263_12:
	v_lshlrev_b32_e32 v1, 2, v0
	s_and_b64 vcc, exec, s[20:21]
	ds_write_b32 v1, v8
	s_waitcnt lgkmcnt(0)
	s_barrier
	s_cbranch_vccz .LBB263_24
; %bb.13:
	v_cmp_gt_u16_e32 vcc, 8, v9
	s_and_saveexec_b64 s[0:1], vcc
	s_cbranch_execz .LBB263_15
; %bb.14:
	ds_read2_b32 v[2:3], v1 offset1:16
	s_waitcnt lgkmcnt(0)
	v_add_f32_e32 v2, v3, v2
	ds_write_b32 v1, v2
.LBB263_15:
	s_or_b64 exec, exec, s[0:1]
	s_waitcnt lgkmcnt(0)
	s_barrier
	s_and_saveexec_b64 s[0:1], vcc
	s_cbranch_execz .LBB263_17
; %bb.16:
	ds_read2_b32 v[2:3], v1 offset1:8
	s_waitcnt lgkmcnt(0)
	v_add_f32_e32 v2, v3, v2
	ds_write_b32 v1, v2
.LBB263_17:
	s_or_b64 exec, exec, s[0:1]
	v_cmp_gt_u16_e32 vcc, 4, v9
	s_waitcnt lgkmcnt(0)
	s_barrier
	s_and_saveexec_b64 s[0:1], vcc
	s_cbranch_execz .LBB263_19
; %bb.18:
	ds_read2_b32 v[2:3], v1 offset1:4
	s_waitcnt lgkmcnt(0)
	v_add_f32_e32 v2, v3, v2
	ds_write_b32 v1, v2
.LBB263_19:
	s_or_b64 exec, exec, s[0:1]
	v_cmp_gt_u16_e32 vcc, 2, v9
	s_waitcnt lgkmcnt(0)
	s_barrier
	s_and_saveexec_b64 s[0:1], vcc
	s_cbranch_execz .LBB263_21
; %bb.20:
	ds_read2_b32 v[2:3], v1 offset1:2
	s_waitcnt lgkmcnt(0)
	v_add_f32_e32 v2, v3, v2
	ds_write_b32 v1, v2
.LBB263_21:
	s_or_b64 exec, exec, s[0:1]
	v_cmp_gt_u32_e32 vcc, 24, v0
	v_mov_b32_e32 v2, v8
	s_waitcnt lgkmcnt(0)
	s_barrier
	s_and_saveexec_b64 s[0:1], vcc
	s_cbranch_execz .LBB263_23
; %bb.22:
	s_movk_i32 s2, 0x5c
	v_mad_u32_u24 v2, v0, s2, v1
	ds_read_b64 v[2:3], v2
	s_waitcnt lgkmcnt(0)
	v_add_f32_e32 v2, v2, v3
.LBB263_23:
	s_or_b64 exec, exec, s[0:1]
	s_branch .LBB263_36
.LBB263_24:
                                        ; implicit-def: $vgpr2
	s_cbranch_execz .LBB263_36
; %bb.25:
	s_movk_i32 s0, 0xc0
	v_cmp_gt_u32_e32 vcc, s0, v0
	s_and_saveexec_b64 s[0:1], vcc
	s_cbranch_execz .LBB263_27
; %bb.26:
	ds_read2st64_b32 v[2:3], v1 offset1:6
	s_waitcnt lgkmcnt(0)
	v_add_f32_e32 v2, v3, v2
	ds_write_b32 v1, v2
.LBB263_27:
	s_or_b64 exec, exec, s[0:1]
	s_waitcnt lgkmcnt(0)
	s_barrier
	s_and_saveexec_b64 s[0:1], vcc
	s_cbranch_execz .LBB263_29
; %bb.28:
	ds_read2st64_b32 v[2:3], v1 offset1:3
	s_waitcnt lgkmcnt(0)
	v_add_f32_e32 v2, v3, v2
	ds_write_b32 v1, v2
.LBB263_29:
	s_or_b64 exec, exec, s[0:1]
	s_movk_i32 s0, 0x60
	v_cmp_gt_u32_e32 vcc, s0, v0
	s_waitcnt lgkmcnt(0)
	s_barrier
	s_and_saveexec_b64 s[0:1], vcc
	s_cbranch_execz .LBB263_31
; %bb.30:
	ds_read2_b32 v[2:3], v1 offset1:96
	s_waitcnt lgkmcnt(0)
	v_add_f32_e32 v2, v3, v2
	ds_write_b32 v1, v2
.LBB263_31:
	s_or_b64 exec, exec, s[0:1]
	v_cmp_gt_u32_e32 vcc, 48, v0
	s_waitcnt lgkmcnt(0)
	s_barrier
	s_and_saveexec_b64 s[0:1], vcc
	s_cbranch_execz .LBB263_33
; %bb.32:
	ds_read2_b32 v[2:3], v1 offset1:48
	s_waitcnt lgkmcnt(0)
	v_add_f32_e32 v2, v3, v2
	ds_write_b32 v1, v2
.LBB263_33:
	s_or_b64 exec, exec, s[0:1]
	v_cmp_gt_u32_e32 vcc, 24, v0
	s_waitcnt lgkmcnt(0)
	s_and_saveexec_b64 s[0:1], vcc
	s_cbranch_execz .LBB263_35
; %bb.34:
	ds_read2_b32 v[1:2], v1 offset1:24
	s_waitcnt lgkmcnt(0)
	v_add_f32_e32 v8, v1, v2
.LBB263_35:
	s_or_b64 exec, exec, s[0:1]
	v_mov_b32_e32 v2, v8
.LBB263_36:
	v_cmp_gt_u32_e32 vcc, 24, v0
	s_and_saveexec_b64 s[0:1], vcc
	s_cbranch_execz .LBB263_40
; %bb.37:
	v_cmp_eq_f32_e64 s[0:1], s12, 0
	s_and_b64 vcc, exec, s[0:1]
	v_mul_f32_e32 v1, s14, v2
	s_cbranch_vccz .LBB263_41
; %bb.38:
	v_mad_u64_u32 v[2:3], s[0:1], s6, 24, v[0:1]
	v_mov_b32_e32 v3, 0
	v_mov_b32_e32 v4, s17
	v_lshlrev_b64 v[2:3], 2, v[2:3]
	v_add_co_u32_e32 v2, vcc, s16, v2
	v_addc_co_u32_e32 v3, vcc, v4, v3, vcc
	global_store_dword v[2:3], v1, off
	s_cbranch_execnz .LBB263_40
.LBB263_39:
	v_mad_u64_u32 v[2:3], s[0:1], s6, 24, v[0:1]
	v_mov_b32_e32 v3, 0
	v_mov_b32_e32 v0, s17
	v_lshlrev_b64 v[2:3], 2, v[2:3]
	v_add_co_u32_e32 v2, vcc, s16, v2
	v_addc_co_u32_e32 v3, vcc, v0, v3, vcc
	global_load_dword v0, v[2:3], off
	s_waitcnt vmcnt(0)
	v_fmac_f32_e32 v1, s12, v0
	global_store_dword v[2:3], v1, off
.LBB263_40:
	s_endpgm
.LBB263_41:
	s_branch .LBB263_39
	.section	.rodata,"a",@progbits
	.p2align	6, 0x0
	.amdhsa_kernel _ZN9rocsparseL20bsrxmvn_17_32_kernelILj24EfliaafEEvT2_20rocsparse_direction_NS_24const_host_device_scalarIT0_EES1_PKS1_PKT1_SA_S7_PKT3_PKT4_S5_PT5_21rocsparse_index_base_b
		.amdhsa_group_segment_fixed_size 2304
		.amdhsa_private_segment_fixed_size 0
		.amdhsa_kernarg_size 96
		.amdhsa_user_sgpr_count 6
		.amdhsa_user_sgpr_private_segment_buffer 1
		.amdhsa_user_sgpr_dispatch_ptr 0
		.amdhsa_user_sgpr_queue_ptr 0
		.amdhsa_user_sgpr_kernarg_segment_ptr 1
		.amdhsa_user_sgpr_dispatch_id 0
		.amdhsa_user_sgpr_flat_scratch_init 0
		.amdhsa_user_sgpr_private_segment_size 0
		.amdhsa_uses_dynamic_stack 0
		.amdhsa_system_sgpr_private_segment_wavefront_offset 0
		.amdhsa_system_sgpr_workgroup_id_x 1
		.amdhsa_system_sgpr_workgroup_id_y 0
		.amdhsa_system_sgpr_workgroup_id_z 0
		.amdhsa_system_sgpr_workgroup_info 0
		.amdhsa_system_vgpr_workitem_id 0
		.amdhsa_next_free_vgpr 25
		.amdhsa_next_free_sgpr 61
		.amdhsa_reserve_vcc 1
		.amdhsa_reserve_flat_scratch 0
		.amdhsa_float_round_mode_32 0
		.amdhsa_float_round_mode_16_64 0
		.amdhsa_float_denorm_mode_32 3
		.amdhsa_float_denorm_mode_16_64 3
		.amdhsa_dx10_clamp 1
		.amdhsa_ieee_mode 1
		.amdhsa_fp16_overflow 0
		.amdhsa_exception_fp_ieee_invalid_op 0
		.amdhsa_exception_fp_denorm_src 0
		.amdhsa_exception_fp_ieee_div_zero 0
		.amdhsa_exception_fp_ieee_overflow 0
		.amdhsa_exception_fp_ieee_underflow 0
		.amdhsa_exception_fp_ieee_inexact 0
		.amdhsa_exception_int_div_zero 0
	.end_amdhsa_kernel
	.section	.text._ZN9rocsparseL20bsrxmvn_17_32_kernelILj24EfliaafEEvT2_20rocsparse_direction_NS_24const_host_device_scalarIT0_EES1_PKS1_PKT1_SA_S7_PKT3_PKT4_S5_PT5_21rocsparse_index_base_b,"axG",@progbits,_ZN9rocsparseL20bsrxmvn_17_32_kernelILj24EfliaafEEvT2_20rocsparse_direction_NS_24const_host_device_scalarIT0_EES1_PKS1_PKT1_SA_S7_PKT3_PKT4_S5_PT5_21rocsparse_index_base_b,comdat
.Lfunc_end263:
	.size	_ZN9rocsparseL20bsrxmvn_17_32_kernelILj24EfliaafEEvT2_20rocsparse_direction_NS_24const_host_device_scalarIT0_EES1_PKS1_PKT1_SA_S7_PKT3_PKT4_S5_PT5_21rocsparse_index_base_b, .Lfunc_end263-_ZN9rocsparseL20bsrxmvn_17_32_kernelILj24EfliaafEEvT2_20rocsparse_direction_NS_24const_host_device_scalarIT0_EES1_PKS1_PKT1_SA_S7_PKT3_PKT4_S5_PT5_21rocsparse_index_base_b
                                        ; -- End function
	.set _ZN9rocsparseL20bsrxmvn_17_32_kernelILj24EfliaafEEvT2_20rocsparse_direction_NS_24const_host_device_scalarIT0_EES1_PKS1_PKT1_SA_S7_PKT3_PKT4_S5_PT5_21rocsparse_index_base_b.num_vgpr, 15
	.set _ZN9rocsparseL20bsrxmvn_17_32_kernelILj24EfliaafEEvT2_20rocsparse_direction_NS_24const_host_device_scalarIT0_EES1_PKS1_PKT1_SA_S7_PKT3_PKT4_S5_PT5_21rocsparse_index_base_b.num_agpr, 0
	.set _ZN9rocsparseL20bsrxmvn_17_32_kernelILj24EfliaafEEvT2_20rocsparse_direction_NS_24const_host_device_scalarIT0_EES1_PKS1_PKT1_SA_S7_PKT3_PKT4_S5_PT5_21rocsparse_index_base_b.numbered_sgpr, 26
	.set _ZN9rocsparseL20bsrxmvn_17_32_kernelILj24EfliaafEEvT2_20rocsparse_direction_NS_24const_host_device_scalarIT0_EES1_PKS1_PKT1_SA_S7_PKT3_PKT4_S5_PT5_21rocsparse_index_base_b.num_named_barrier, 0
	.set _ZN9rocsparseL20bsrxmvn_17_32_kernelILj24EfliaafEEvT2_20rocsparse_direction_NS_24const_host_device_scalarIT0_EES1_PKS1_PKT1_SA_S7_PKT3_PKT4_S5_PT5_21rocsparse_index_base_b.private_seg_size, 0
	.set _ZN9rocsparseL20bsrxmvn_17_32_kernelILj24EfliaafEEvT2_20rocsparse_direction_NS_24const_host_device_scalarIT0_EES1_PKS1_PKT1_SA_S7_PKT3_PKT4_S5_PT5_21rocsparse_index_base_b.uses_vcc, 1
	.set _ZN9rocsparseL20bsrxmvn_17_32_kernelILj24EfliaafEEvT2_20rocsparse_direction_NS_24const_host_device_scalarIT0_EES1_PKS1_PKT1_SA_S7_PKT3_PKT4_S5_PT5_21rocsparse_index_base_b.uses_flat_scratch, 0
	.set _ZN9rocsparseL20bsrxmvn_17_32_kernelILj24EfliaafEEvT2_20rocsparse_direction_NS_24const_host_device_scalarIT0_EES1_PKS1_PKT1_SA_S7_PKT3_PKT4_S5_PT5_21rocsparse_index_base_b.has_dyn_sized_stack, 0
	.set _ZN9rocsparseL20bsrxmvn_17_32_kernelILj24EfliaafEEvT2_20rocsparse_direction_NS_24const_host_device_scalarIT0_EES1_PKS1_PKT1_SA_S7_PKT3_PKT4_S5_PT5_21rocsparse_index_base_b.has_recursion, 0
	.set _ZN9rocsparseL20bsrxmvn_17_32_kernelILj24EfliaafEEvT2_20rocsparse_direction_NS_24const_host_device_scalarIT0_EES1_PKS1_PKT1_SA_S7_PKT3_PKT4_S5_PT5_21rocsparse_index_base_b.has_indirect_call, 0
	.section	.AMDGPU.csdata,"",@progbits
; Kernel info:
; codeLenInByte = 1296
; TotalNumSgprs: 30
; NumVgprs: 15
; ScratchSize: 0
; MemoryBound: 0
; FloatMode: 240
; IeeeMode: 1
; LDSByteSize: 2304 bytes/workgroup (compile time only)
; SGPRBlocks: 8
; VGPRBlocks: 6
; NumSGPRsForWavesPerEU: 65
; NumVGPRsForWavesPerEU: 25
; Occupancy: 9
; WaveLimiterHint : 1
; COMPUTE_PGM_RSRC2:SCRATCH_EN: 0
; COMPUTE_PGM_RSRC2:USER_SGPR: 6
; COMPUTE_PGM_RSRC2:TRAP_HANDLER: 0
; COMPUTE_PGM_RSRC2:TGID_X_EN: 1
; COMPUTE_PGM_RSRC2:TGID_Y_EN: 0
; COMPUTE_PGM_RSRC2:TGID_Z_EN: 0
; COMPUTE_PGM_RSRC2:TIDIG_COMP_CNT: 0
	.section	.text._ZN9rocsparseL20bsrxmvn_17_32_kernelILj25EfliaafEEvT2_20rocsparse_direction_NS_24const_host_device_scalarIT0_EES1_PKS1_PKT1_SA_S7_PKT3_PKT4_S5_PT5_21rocsparse_index_base_b,"axG",@progbits,_ZN9rocsparseL20bsrxmvn_17_32_kernelILj25EfliaafEEvT2_20rocsparse_direction_NS_24const_host_device_scalarIT0_EES1_PKS1_PKT1_SA_S7_PKT3_PKT4_S5_PT5_21rocsparse_index_base_b,comdat
	.globl	_ZN9rocsparseL20bsrxmvn_17_32_kernelILj25EfliaafEEvT2_20rocsparse_direction_NS_24const_host_device_scalarIT0_EES1_PKS1_PKT1_SA_S7_PKT3_PKT4_S5_PT5_21rocsparse_index_base_b ; -- Begin function _ZN9rocsparseL20bsrxmvn_17_32_kernelILj25EfliaafEEvT2_20rocsparse_direction_NS_24const_host_device_scalarIT0_EES1_PKS1_PKT1_SA_S7_PKT3_PKT4_S5_PT5_21rocsparse_index_base_b
	.p2align	8
	.type	_ZN9rocsparseL20bsrxmvn_17_32_kernelILj25EfliaafEEvT2_20rocsparse_direction_NS_24const_host_device_scalarIT0_EES1_PKS1_PKT1_SA_S7_PKT3_PKT4_S5_PT5_21rocsparse_index_base_b,@function
_ZN9rocsparseL20bsrxmvn_17_32_kernelILj25EfliaafEEvT2_20rocsparse_direction_NS_24const_host_device_scalarIT0_EES1_PKS1_PKT1_SA_S7_PKT3_PKT4_S5_PT5_21rocsparse_index_base_b: ; @_ZN9rocsparseL20bsrxmvn_17_32_kernelILj25EfliaafEEvT2_20rocsparse_direction_NS_24const_host_device_scalarIT0_EES1_PKS1_PKT1_SA_S7_PKT3_PKT4_S5_PT5_21rocsparse_index_base_b
; %bb.0:
	s_load_dwordx2 s[18:19], s[4:5], 0x58
	s_load_dwordx2 s[14:15], s[4:5], 0x8
	;; [unrolled: 1-line block ×3, first 2 shown]
	s_waitcnt lgkmcnt(0)
	s_bitcmp1_b32 s19, 0
	s_cselect_b64 s[2:3], -1, 0
	s_xor_b64 s[0:1], s[2:3], -1
	s_and_b64 vcc, exec, s[2:3]
	s_cbranch_vccnz .LBB264_2
; %bb.1:
	s_load_dword s14, s[14:15], 0x0
.LBB264_2:
	s_andn2_b64 vcc, exec, s[0:1]
	s_cbranch_vccnz .LBB264_4
; %bb.3:
	s_load_dword s12, s[12:13], 0x0
.LBB264_4:
	s_waitcnt lgkmcnt(0)
	v_cmp_neq_f32_e64 s[0:1], s14, 0
	v_cmp_neq_f32_e64 s[2:3], s12, 1.0
	s_or_b64 s[0:1], s[0:1], s[2:3]
	s_andn2_b64 vcc, exec, s[0:1]
	s_cbranch_vccnz .LBB264_40
; %bb.5:
	s_load_dwordx4 s[0:3], s[4:5], 0x18
	s_load_dwordx2 s[8:9], s[4:5], 0x28
	s_waitcnt lgkmcnt(0)
	s_cmp_eq_u64 s[0:1], 0
	s_cbranch_scc1 .LBB264_7
; %bb.6:
	s_ashr_i32 s7, s6, 31
	s_lshl_b64 s[6:7], s[6:7], 2
	s_add_u32 s0, s0, s6
	s_addc_u32 s1, s1, s7
	s_load_dword s0, s[0:1], 0x0
	s_waitcnt lgkmcnt(0)
	s_sub_i32 s6, s0, s18
.LBB264_7:
	s_load_dword s7, s[4:5], 0x4
	s_load_dwordx2 s[16:17], s[4:5], 0x50
	v_mul_u32_u24_e32 v1, 0xa3e, v0
	v_mov_b32_e32 v2, 25
	v_mul_lo_u16_sdwa v2, v1, v2 dst_sel:DWORD dst_unused:UNUSED_PAD src0_sel:WORD_1 src1_sel:DWORD
	s_waitcnt lgkmcnt(0)
	s_cmp_eq_u32 s7, 1
	s_cselect_b64 s[0:1], -1, 0
	s_cmp_lg_u32 s7, 1
	s_cselect_b64 s[20:21], -1, 0
	s_ashr_i32 s7, s6, 31
	s_lshl_b64 s[10:11], s[6:7], 3
	s_add_u32 s2, s2, s10
	s_addc_u32 s3, s3, s11
	s_add_u32 s7, s2, 8
	s_addc_u32 s13, s3, 0
	;; [unrolled: 2-line block ×3, first 2 shown]
	s_cmp_eq_u64 s[8:9], 0
	s_cselect_b32 s9, s13, s11
	s_cselect_b32 s8, s7, s10
	s_load_dwordx2 s[22:23], s[8:9], 0x0
	s_load_dwordx2 s[24:25], s[2:3], 0x0
	v_sub_u16_e32 v9, v0, v2
	v_mov_b32_e32 v8, 0
	s_waitcnt lgkmcnt(0)
	v_mov_b32_e32 v2, s22
	v_mov_b32_e32 v3, s23
	v_cmp_ge_i64_e32 vcc, s[24:25], v[2:3]
	s_cbranch_vccnz .LBB264_12
; %bb.8:
	s_load_dwordx4 s[8:11], s[4:5], 0x30
	s_load_dwordx2 s[2:3], s[4:5], 0x40
	s_sub_u32 s4, s22, s18
	s_mov_b32 s7, 0xffff
	s_subb_u32 s5, s23, 0
	s_movk_i32 s13, 0x271
	v_and_b32_sdwa v1, s7, v1 dst_sel:DWORD dst_unused:UNUSED_PAD src0_sel:DWORD src1_sel:WORD_1
	v_subrev_u32_e32 v2, 25, v1
	v_cmp_gt_u32_e32 vcc, s13, v0
	s_sub_u32 s22, s24, s18
	v_cndmask_b32_e32 v1, v2, v1, vcc
	s_subb_u32 s23, s25, 0
	v_cndmask_b32_e64 v1, v9, v1, s[0:1]
	s_mul_i32 s0, s23, 0x271
	s_mul_hi_u32 s1, s22, 0x271
	s_add_i32 s1, s1, s0
	s_mul_i32 s0, s22, 0x271
	s_waitcnt lgkmcnt(0)
	s_add_u32 s0, s10, s0
	s_addc_u32 s1, s11, s1
	v_mov_b32_e32 v3, s1
	v_add_co_u32_e32 v2, vcc, s0, v0
	v_addc_co_u32_e32 v3, vcc, 0, v3, vcc
	s_movk_i32 s0, 0x270
	v_cmp_lt_u32_e32 vcc, s0, v0
	v_cndmask_b32_e64 v10, 0, 1, vcc
	v_mov_b32_e32 v4, s25
	v_add_co_u32_e32 v5, vcc, s24, v10
	v_addc_co_u32_e32 v6, vcc, 0, v4, vcc
	v_subrev_co_u32_e32 v4, vcc, s18, v5
	v_subbrev_co_u32_e32 v5, vcc, 0, v6, vcc
	v_lshlrev_b64 v[4:5], 2, v[4:5]
	v_mov_b32_e32 v6, s9
	v_add_co_u32_e32 v4, vcc, s8, v4
	v_addc_co_u32_e32 v5, vcc, v6, v5, vcc
	v_mov_b32_e32 v7, s5
	v_mov_b32_e32 v8, 0
	v_mov_b32_e32 v6, s4
	s_branch .LBB264_10
.LBB264_9:                              ;   in Loop: Header=BB264_10 Depth=1
	s_or_b64 exec, exec, s[0:1]
	s_add_u32 s22, s22, 1
	s_addc_u32 s23, s23, 0
	v_cmp_lt_i64_e32 vcc, s[22:23], v[6:7]
	v_add_co_u32_e64 v4, s[0:1], 4, v4
	v_addc_co_u32_e64 v5, s[0:1], 0, v5, s[0:1]
	s_cbranch_vccz .LBB264_12
.LBB264_10:                             ; =>This Inner Loop Header: Depth=1
	v_mov_b32_e32 v12, s23
	v_add_co_u32_e32 v11, vcc, s22, v10
	v_addc_co_u32_e32 v12, vcc, 0, v12, vcc
	v_cmp_gt_i64_e32 vcc, s[4:5], v[11:12]
	s_and_saveexec_b64 s[0:1], vcc
	s_cbranch_execz .LBB264_9
; %bb.11:                               ;   in Loop: Header=BB264_10 Depth=1
	global_load_dword v11, v[4:5], off
	global_load_sbyte v13, v[2:3], off
	s_waitcnt vmcnt(1)
	v_subrev_u32_e32 v11, s18, v11
	v_mad_u64_u32 v[11:12], s[8:9], v11, 25, v[1:2]
	v_mov_b32_e32 v12, s3
	v_ashrrev_i32_e32 v14, 31, v11
	v_add_co_u32_e32 v11, vcc, s2, v11
	v_addc_co_u32_e32 v12, vcc, v12, v14, vcc
	global_load_sbyte v11, v[11:12], off
	s_waitcnt vmcnt(1)
	v_cvt_f32_i32_e32 v12, v13
	v_add_co_u32_e32 v2, vcc, 0x271, v2
	v_addc_co_u32_e32 v3, vcc, 0, v3, vcc
	s_waitcnt vmcnt(0)
	v_cvt_f32_i32_e32 v11, v11
	v_fmac_f32_e32 v8, v12, v11
	s_branch .LBB264_9
.LBB264_12:
	v_lshlrev_b32_e32 v1, 2, v0
	s_and_b64 vcc, exec, s[20:21]
	ds_write_b32 v1, v8
	s_waitcnt lgkmcnt(0)
	s_barrier
	s_cbranch_vccz .LBB264_24
; %bb.13:
	v_cmp_gt_u16_e32 vcc, 9, v9
	s_and_saveexec_b64 s[0:1], vcc
	s_cbranch_execz .LBB264_15
; %bb.14:
	ds_read2_b32 v[2:3], v1 offset1:16
	s_waitcnt lgkmcnt(0)
	v_add_f32_e32 v2, v3, v2
	ds_write_b32 v1, v2
.LBB264_15:
	s_or_b64 exec, exec, s[0:1]
	v_cmp_gt_u16_e32 vcc, 8, v9
	s_waitcnt lgkmcnt(0)
	s_barrier
	s_and_saveexec_b64 s[0:1], vcc
	s_cbranch_execz .LBB264_17
; %bb.16:
	ds_read2_b32 v[2:3], v1 offset1:8
	s_waitcnt lgkmcnt(0)
	v_add_f32_e32 v2, v3, v2
	ds_write_b32 v1, v2
.LBB264_17:
	s_or_b64 exec, exec, s[0:1]
	v_cmp_gt_u16_e32 vcc, 4, v9
	s_waitcnt lgkmcnt(0)
	s_barrier
	;; [unrolled: 12-line block ×3, first 2 shown]
	s_and_saveexec_b64 s[0:1], vcc
	s_cbranch_execz .LBB264_21
; %bb.20:
	ds_read2_b32 v[2:3], v1 offset1:2
	s_waitcnt lgkmcnt(0)
	v_add_f32_e32 v2, v3, v2
	ds_write_b32 v1, v2
.LBB264_21:
	s_or_b64 exec, exec, s[0:1]
	v_cmp_gt_u32_e32 vcc, 25, v0
	v_mov_b32_e32 v2, v8
	s_waitcnt lgkmcnt(0)
	s_barrier
	s_and_saveexec_b64 s[0:1], vcc
	s_cbranch_execz .LBB264_23
; %bb.22:
	s_movk_i32 s2, 0x60
	v_mad_u32_u24 v2, v0, s2, v1
	ds_read2_b32 v[2:3], v2 offset1:1
	s_waitcnt lgkmcnt(0)
	v_add_f32_e32 v2, v2, v3
.LBB264_23:
	s_or_b64 exec, exec, s[0:1]
	s_branch .LBB264_36
.LBB264_24:
                                        ; implicit-def: $vgpr2
	s_cbranch_execz .LBB264_36
; %bb.25:
	s_movk_i32 s0, 0xe1
	v_cmp_gt_u32_e32 vcc, s0, v0
	s_and_saveexec_b64 s[0:1], vcc
	s_cbranch_execz .LBB264_27
; %bb.26:
	ds_read_b32 v2, v1 offset:1600
	ds_read_b32 v3, v1
	s_waitcnt lgkmcnt(0)
	v_add_f32_e32 v2, v2, v3
	ds_write_b32 v1, v2
.LBB264_27:
	s_or_b64 exec, exec, s[0:1]
	s_movk_i32 s0, 0xc8
	v_cmp_gt_u32_e32 vcc, s0, v0
	s_waitcnt lgkmcnt(0)
	s_barrier
	s_and_saveexec_b64 s[0:1], vcc
	s_cbranch_execz .LBB264_29
; %bb.28:
	ds_read2_b32 v[2:3], v1 offset1:200
	s_waitcnt lgkmcnt(0)
	v_add_f32_e32 v2, v3, v2
	ds_write_b32 v1, v2
.LBB264_29:
	s_or_b64 exec, exec, s[0:1]
	s_movk_i32 s0, 0x64
	v_cmp_gt_u32_e32 vcc, s0, v0
	s_waitcnt lgkmcnt(0)
	s_barrier
	s_and_saveexec_b64 s[0:1], vcc
	s_cbranch_execz .LBB264_31
; %bb.30:
	ds_read2_b32 v[2:3], v1 offset1:100
	s_waitcnt lgkmcnt(0)
	v_add_f32_e32 v2, v3, v2
	ds_write_b32 v1, v2
.LBB264_31:
	s_or_b64 exec, exec, s[0:1]
	v_cmp_gt_u32_e32 vcc, 50, v0
	s_waitcnt lgkmcnt(0)
	s_barrier
	s_and_saveexec_b64 s[0:1], vcc
	s_cbranch_execz .LBB264_33
; %bb.32:
	ds_read2_b32 v[2:3], v1 offset1:50
	s_waitcnt lgkmcnt(0)
	v_add_f32_e32 v2, v3, v2
	ds_write_b32 v1, v2
.LBB264_33:
	s_or_b64 exec, exec, s[0:1]
	v_cmp_gt_u32_e32 vcc, 25, v0
	s_waitcnt lgkmcnt(0)
	s_and_saveexec_b64 s[0:1], vcc
	s_cbranch_execz .LBB264_35
; %bb.34:
	ds_read2_b32 v[1:2], v1 offset1:25
	s_waitcnt lgkmcnt(0)
	v_add_f32_e32 v8, v1, v2
.LBB264_35:
	s_or_b64 exec, exec, s[0:1]
	v_mov_b32_e32 v2, v8
.LBB264_36:
	v_cmp_gt_u32_e32 vcc, 25, v0
	s_and_saveexec_b64 s[0:1], vcc
	s_cbranch_execz .LBB264_40
; %bb.37:
	v_cmp_eq_f32_e64 s[0:1], s12, 0
	s_and_b64 vcc, exec, s[0:1]
	v_mul_f32_e32 v1, s14, v2
	s_cbranch_vccz .LBB264_41
; %bb.38:
	v_mad_u64_u32 v[2:3], s[0:1], s6, 25, v[0:1]
	v_mov_b32_e32 v3, 0
	v_mov_b32_e32 v4, s17
	v_lshlrev_b64 v[2:3], 2, v[2:3]
	v_add_co_u32_e32 v2, vcc, s16, v2
	v_addc_co_u32_e32 v3, vcc, v4, v3, vcc
	global_store_dword v[2:3], v1, off
	s_cbranch_execnz .LBB264_40
.LBB264_39:
	v_mad_u64_u32 v[2:3], s[0:1], s6, 25, v[0:1]
	v_mov_b32_e32 v3, 0
	v_mov_b32_e32 v0, s17
	v_lshlrev_b64 v[2:3], 2, v[2:3]
	v_add_co_u32_e32 v2, vcc, s16, v2
	v_addc_co_u32_e32 v3, vcc, v0, v3, vcc
	global_load_dword v0, v[2:3], off
	s_waitcnt vmcnt(0)
	v_fmac_f32_e32 v1, s12, v0
	global_store_dword v[2:3], v1, off
.LBB264_40:
	s_endpgm
.LBB264_41:
	s_branch .LBB264_39
	.section	.rodata,"a",@progbits
	.p2align	6, 0x0
	.amdhsa_kernel _ZN9rocsparseL20bsrxmvn_17_32_kernelILj25EfliaafEEvT2_20rocsparse_direction_NS_24const_host_device_scalarIT0_EES1_PKS1_PKT1_SA_S7_PKT3_PKT4_S5_PT5_21rocsparse_index_base_b
		.amdhsa_group_segment_fixed_size 2500
		.amdhsa_private_segment_fixed_size 0
		.amdhsa_kernarg_size 96
		.amdhsa_user_sgpr_count 6
		.amdhsa_user_sgpr_private_segment_buffer 1
		.amdhsa_user_sgpr_dispatch_ptr 0
		.amdhsa_user_sgpr_queue_ptr 0
		.amdhsa_user_sgpr_kernarg_segment_ptr 1
		.amdhsa_user_sgpr_dispatch_id 0
		.amdhsa_user_sgpr_flat_scratch_init 0
		.amdhsa_user_sgpr_private_segment_size 0
		.amdhsa_uses_dynamic_stack 0
		.amdhsa_system_sgpr_private_segment_wavefront_offset 0
		.amdhsa_system_sgpr_workgroup_id_x 1
		.amdhsa_system_sgpr_workgroup_id_y 0
		.amdhsa_system_sgpr_workgroup_id_z 0
		.amdhsa_system_sgpr_workgroup_info 0
		.amdhsa_system_vgpr_workitem_id 0
		.amdhsa_next_free_vgpr 15
		.amdhsa_next_free_sgpr 26
		.amdhsa_reserve_vcc 1
		.amdhsa_reserve_flat_scratch 0
		.amdhsa_float_round_mode_32 0
		.amdhsa_float_round_mode_16_64 0
		.amdhsa_float_denorm_mode_32 3
		.amdhsa_float_denorm_mode_16_64 3
		.amdhsa_dx10_clamp 1
		.amdhsa_ieee_mode 1
		.amdhsa_fp16_overflow 0
		.amdhsa_exception_fp_ieee_invalid_op 0
		.amdhsa_exception_fp_denorm_src 0
		.amdhsa_exception_fp_ieee_div_zero 0
		.amdhsa_exception_fp_ieee_overflow 0
		.amdhsa_exception_fp_ieee_underflow 0
		.amdhsa_exception_fp_ieee_inexact 0
		.amdhsa_exception_int_div_zero 0
	.end_amdhsa_kernel
	.section	.text._ZN9rocsparseL20bsrxmvn_17_32_kernelILj25EfliaafEEvT2_20rocsparse_direction_NS_24const_host_device_scalarIT0_EES1_PKS1_PKT1_SA_S7_PKT3_PKT4_S5_PT5_21rocsparse_index_base_b,"axG",@progbits,_ZN9rocsparseL20bsrxmvn_17_32_kernelILj25EfliaafEEvT2_20rocsparse_direction_NS_24const_host_device_scalarIT0_EES1_PKS1_PKT1_SA_S7_PKT3_PKT4_S5_PT5_21rocsparse_index_base_b,comdat
.Lfunc_end264:
	.size	_ZN9rocsparseL20bsrxmvn_17_32_kernelILj25EfliaafEEvT2_20rocsparse_direction_NS_24const_host_device_scalarIT0_EES1_PKS1_PKT1_SA_S7_PKT3_PKT4_S5_PT5_21rocsparse_index_base_b, .Lfunc_end264-_ZN9rocsparseL20bsrxmvn_17_32_kernelILj25EfliaafEEvT2_20rocsparse_direction_NS_24const_host_device_scalarIT0_EES1_PKS1_PKT1_SA_S7_PKT3_PKT4_S5_PT5_21rocsparse_index_base_b
                                        ; -- End function
	.set _ZN9rocsparseL20bsrxmvn_17_32_kernelILj25EfliaafEEvT2_20rocsparse_direction_NS_24const_host_device_scalarIT0_EES1_PKS1_PKT1_SA_S7_PKT3_PKT4_S5_PT5_21rocsparse_index_base_b.num_vgpr, 15
	.set _ZN9rocsparseL20bsrxmvn_17_32_kernelILj25EfliaafEEvT2_20rocsparse_direction_NS_24const_host_device_scalarIT0_EES1_PKS1_PKT1_SA_S7_PKT3_PKT4_S5_PT5_21rocsparse_index_base_b.num_agpr, 0
	.set _ZN9rocsparseL20bsrxmvn_17_32_kernelILj25EfliaafEEvT2_20rocsparse_direction_NS_24const_host_device_scalarIT0_EES1_PKS1_PKT1_SA_S7_PKT3_PKT4_S5_PT5_21rocsparse_index_base_b.numbered_sgpr, 26
	.set _ZN9rocsparseL20bsrxmvn_17_32_kernelILj25EfliaafEEvT2_20rocsparse_direction_NS_24const_host_device_scalarIT0_EES1_PKS1_PKT1_SA_S7_PKT3_PKT4_S5_PT5_21rocsparse_index_base_b.num_named_barrier, 0
	.set _ZN9rocsparseL20bsrxmvn_17_32_kernelILj25EfliaafEEvT2_20rocsparse_direction_NS_24const_host_device_scalarIT0_EES1_PKS1_PKT1_SA_S7_PKT3_PKT4_S5_PT5_21rocsparse_index_base_b.private_seg_size, 0
	.set _ZN9rocsparseL20bsrxmvn_17_32_kernelILj25EfliaafEEvT2_20rocsparse_direction_NS_24const_host_device_scalarIT0_EES1_PKS1_PKT1_SA_S7_PKT3_PKT4_S5_PT5_21rocsparse_index_base_b.uses_vcc, 1
	.set _ZN9rocsparseL20bsrxmvn_17_32_kernelILj25EfliaafEEvT2_20rocsparse_direction_NS_24const_host_device_scalarIT0_EES1_PKS1_PKT1_SA_S7_PKT3_PKT4_S5_PT5_21rocsparse_index_base_b.uses_flat_scratch, 0
	.set _ZN9rocsparseL20bsrxmvn_17_32_kernelILj25EfliaafEEvT2_20rocsparse_direction_NS_24const_host_device_scalarIT0_EES1_PKS1_PKT1_SA_S7_PKT3_PKT4_S5_PT5_21rocsparse_index_base_b.has_dyn_sized_stack, 0
	.set _ZN9rocsparseL20bsrxmvn_17_32_kernelILj25EfliaafEEvT2_20rocsparse_direction_NS_24const_host_device_scalarIT0_EES1_PKS1_PKT1_SA_S7_PKT3_PKT4_S5_PT5_21rocsparse_index_base_b.has_recursion, 0
	.set _ZN9rocsparseL20bsrxmvn_17_32_kernelILj25EfliaafEEvT2_20rocsparse_direction_NS_24const_host_device_scalarIT0_EES1_PKS1_PKT1_SA_S7_PKT3_PKT4_S5_PT5_21rocsparse_index_base_b.has_indirect_call, 0
	.section	.AMDGPU.csdata,"",@progbits
; Kernel info:
; codeLenInByte = 1316
; TotalNumSgprs: 30
; NumVgprs: 15
; ScratchSize: 0
; MemoryBound: 0
; FloatMode: 240
; IeeeMode: 1
; LDSByteSize: 2500 bytes/workgroup (compile time only)
; SGPRBlocks: 3
; VGPRBlocks: 3
; NumSGPRsForWavesPerEU: 30
; NumVGPRsForWavesPerEU: 15
; Occupancy: 10
; WaveLimiterHint : 1
; COMPUTE_PGM_RSRC2:SCRATCH_EN: 0
; COMPUTE_PGM_RSRC2:USER_SGPR: 6
; COMPUTE_PGM_RSRC2:TRAP_HANDLER: 0
; COMPUTE_PGM_RSRC2:TGID_X_EN: 1
; COMPUTE_PGM_RSRC2:TGID_Y_EN: 0
; COMPUTE_PGM_RSRC2:TGID_Z_EN: 0
; COMPUTE_PGM_RSRC2:TIDIG_COMP_CNT: 0
	.section	.text._ZN9rocsparseL20bsrxmvn_17_32_kernelILj26EfliaafEEvT2_20rocsparse_direction_NS_24const_host_device_scalarIT0_EES1_PKS1_PKT1_SA_S7_PKT3_PKT4_S5_PT5_21rocsparse_index_base_b,"axG",@progbits,_ZN9rocsparseL20bsrxmvn_17_32_kernelILj26EfliaafEEvT2_20rocsparse_direction_NS_24const_host_device_scalarIT0_EES1_PKS1_PKT1_SA_S7_PKT3_PKT4_S5_PT5_21rocsparse_index_base_b,comdat
	.globl	_ZN9rocsparseL20bsrxmvn_17_32_kernelILj26EfliaafEEvT2_20rocsparse_direction_NS_24const_host_device_scalarIT0_EES1_PKS1_PKT1_SA_S7_PKT3_PKT4_S5_PT5_21rocsparse_index_base_b ; -- Begin function _ZN9rocsparseL20bsrxmvn_17_32_kernelILj26EfliaafEEvT2_20rocsparse_direction_NS_24const_host_device_scalarIT0_EES1_PKS1_PKT1_SA_S7_PKT3_PKT4_S5_PT5_21rocsparse_index_base_b
	.p2align	8
	.type	_ZN9rocsparseL20bsrxmvn_17_32_kernelILj26EfliaafEEvT2_20rocsparse_direction_NS_24const_host_device_scalarIT0_EES1_PKS1_PKT1_SA_S7_PKT3_PKT4_S5_PT5_21rocsparse_index_base_b,@function
_ZN9rocsparseL20bsrxmvn_17_32_kernelILj26EfliaafEEvT2_20rocsparse_direction_NS_24const_host_device_scalarIT0_EES1_PKS1_PKT1_SA_S7_PKT3_PKT4_S5_PT5_21rocsparse_index_base_b: ; @_ZN9rocsparseL20bsrxmvn_17_32_kernelILj26EfliaafEEvT2_20rocsparse_direction_NS_24const_host_device_scalarIT0_EES1_PKS1_PKT1_SA_S7_PKT3_PKT4_S5_PT5_21rocsparse_index_base_b
; %bb.0:
	s_load_dwordx2 s[18:19], s[4:5], 0x58
	s_load_dwordx2 s[14:15], s[4:5], 0x8
	;; [unrolled: 1-line block ×3, first 2 shown]
	s_waitcnt lgkmcnt(0)
	s_bitcmp1_b32 s19, 0
	s_cselect_b64 s[2:3], -1, 0
	s_xor_b64 s[0:1], s[2:3], -1
	s_and_b64 vcc, exec, s[2:3]
	s_cbranch_vccnz .LBB265_2
; %bb.1:
	s_load_dword s14, s[14:15], 0x0
.LBB265_2:
	s_andn2_b64 vcc, exec, s[0:1]
	s_cbranch_vccnz .LBB265_4
; %bb.3:
	s_load_dword s12, s[12:13], 0x0
.LBB265_4:
	s_waitcnt lgkmcnt(0)
	v_cmp_neq_f32_e64 s[0:1], s14, 0
	v_cmp_neq_f32_e64 s[2:3], s12, 1.0
	s_or_b64 s[0:1], s[0:1], s[2:3]
	s_andn2_b64 vcc, exec, s[0:1]
	s_cbranch_vccnz .LBB265_40
; %bb.5:
	s_load_dwordx4 s[0:3], s[4:5], 0x18
	s_load_dwordx2 s[8:9], s[4:5], 0x28
	s_waitcnt lgkmcnt(0)
	s_cmp_eq_u64 s[0:1], 0
	s_cbranch_scc1 .LBB265_7
; %bb.6:
	s_ashr_i32 s7, s6, 31
	s_lshl_b64 s[6:7], s[6:7], 2
	s_add_u32 s0, s0, s6
	s_addc_u32 s1, s1, s7
	s_load_dword s0, s[0:1], 0x0
	s_waitcnt lgkmcnt(0)
	s_sub_i32 s6, s0, s18
.LBB265_7:
	s_load_dword s7, s[4:5], 0x4
	s_load_dwordx2 s[16:17], s[4:5], 0x50
	v_mul_u32_u24_e32 v1, 0x9d9, v0
	v_mov_b32_e32 v2, 26
	v_mul_lo_u16_sdwa v2, v1, v2 dst_sel:DWORD dst_unused:UNUSED_PAD src0_sel:WORD_1 src1_sel:DWORD
	s_waitcnt lgkmcnt(0)
	s_cmp_eq_u32 s7, 1
	s_cselect_b64 s[0:1], -1, 0
	s_cmp_lg_u32 s7, 1
	s_cselect_b64 s[20:21], -1, 0
	s_ashr_i32 s7, s6, 31
	s_lshl_b64 s[10:11], s[6:7], 3
	s_add_u32 s2, s2, s10
	s_addc_u32 s3, s3, s11
	s_add_u32 s7, s2, 8
	s_addc_u32 s13, s3, 0
	;; [unrolled: 2-line block ×3, first 2 shown]
	s_cmp_eq_u64 s[8:9], 0
	s_cselect_b32 s9, s13, s11
	s_cselect_b32 s8, s7, s10
	s_load_dwordx2 s[22:23], s[8:9], 0x0
	s_load_dwordx2 s[24:25], s[2:3], 0x0
	v_sub_u16_e32 v9, v0, v2
	v_mov_b32_e32 v8, 0
	s_waitcnt lgkmcnt(0)
	v_mov_b32_e32 v2, s22
	v_mov_b32_e32 v3, s23
	v_cmp_ge_i64_e32 vcc, s[24:25], v[2:3]
	s_cbranch_vccnz .LBB265_12
; %bb.8:
	s_load_dwordx4 s[8:11], s[4:5], 0x30
	s_load_dwordx2 s[2:3], s[4:5], 0x40
	s_sub_u32 s4, s22, s18
	s_mov_b32 s7, 0xffff
	s_subb_u32 s5, s23, 0
	s_movk_i32 s13, 0x2a4
	v_and_b32_sdwa v1, s7, v1 dst_sel:DWORD dst_unused:UNUSED_PAD src0_sel:DWORD src1_sel:WORD_1
	v_subrev_u32_e32 v2, 26, v1
	v_cmp_gt_u32_e32 vcc, s13, v0
	s_sub_u32 s22, s24, s18
	v_cndmask_b32_e32 v1, v2, v1, vcc
	s_subb_u32 s23, s25, 0
	v_cndmask_b32_e64 v1, v9, v1, s[0:1]
	s_mul_i32 s0, s23, 0x2a4
	s_mul_hi_u32 s1, s22, 0x2a4
	s_add_i32 s1, s1, s0
	s_mul_i32 s0, s22, 0x2a4
	s_waitcnt lgkmcnt(0)
	s_add_u32 s0, s10, s0
	s_addc_u32 s1, s11, s1
	v_mov_b32_e32 v3, s1
	v_add_co_u32_e32 v2, vcc, s0, v0
	v_addc_co_u32_e32 v3, vcc, 0, v3, vcc
	s_movk_i32 s0, 0x2a3
	v_cmp_lt_u32_e32 vcc, s0, v0
	v_cndmask_b32_e64 v10, 0, 1, vcc
	v_mov_b32_e32 v4, s25
	v_add_co_u32_e32 v5, vcc, s24, v10
	v_addc_co_u32_e32 v6, vcc, 0, v4, vcc
	v_subrev_co_u32_e32 v4, vcc, s18, v5
	v_subbrev_co_u32_e32 v5, vcc, 0, v6, vcc
	v_lshlrev_b64 v[4:5], 2, v[4:5]
	v_mov_b32_e32 v6, s9
	v_add_co_u32_e32 v4, vcc, s8, v4
	v_addc_co_u32_e32 v5, vcc, v6, v5, vcc
	v_mov_b32_e32 v7, s5
	v_mov_b32_e32 v8, 0
	;; [unrolled: 1-line block ×3, first 2 shown]
	s_branch .LBB265_10
.LBB265_9:                              ;   in Loop: Header=BB265_10 Depth=1
	s_or_b64 exec, exec, s[0:1]
	s_add_u32 s22, s22, 1
	s_addc_u32 s23, s23, 0
	v_cmp_lt_i64_e32 vcc, s[22:23], v[6:7]
	v_add_co_u32_e64 v4, s[0:1], 4, v4
	v_addc_co_u32_e64 v5, s[0:1], 0, v5, s[0:1]
	s_cbranch_vccz .LBB265_12
.LBB265_10:                             ; =>This Inner Loop Header: Depth=1
	v_mov_b32_e32 v12, s23
	v_add_co_u32_e32 v11, vcc, s22, v10
	v_addc_co_u32_e32 v12, vcc, 0, v12, vcc
	v_cmp_gt_i64_e32 vcc, s[4:5], v[11:12]
	s_and_saveexec_b64 s[0:1], vcc
	s_cbranch_execz .LBB265_9
; %bb.11:                               ;   in Loop: Header=BB265_10 Depth=1
	global_load_dword v11, v[4:5], off
	global_load_sbyte v13, v[2:3], off
	s_waitcnt vmcnt(1)
	v_subrev_u32_e32 v11, s18, v11
	v_mad_u64_u32 v[11:12], s[8:9], v11, 26, v[1:2]
	v_mov_b32_e32 v12, s3
	v_ashrrev_i32_e32 v14, 31, v11
	v_add_co_u32_e32 v11, vcc, s2, v11
	v_addc_co_u32_e32 v12, vcc, v12, v14, vcc
	global_load_sbyte v11, v[11:12], off
	s_waitcnt vmcnt(1)
	v_cvt_f32_i32_e32 v12, v13
	v_add_co_u32_e32 v2, vcc, 0x2a4, v2
	v_addc_co_u32_e32 v3, vcc, 0, v3, vcc
	s_waitcnt vmcnt(0)
	v_cvt_f32_i32_e32 v11, v11
	v_fmac_f32_e32 v8, v12, v11
	s_branch .LBB265_9
.LBB265_12:
	v_lshlrev_b32_e32 v1, 2, v0
	s_and_b64 vcc, exec, s[20:21]
	ds_write_b32 v1, v8
	s_waitcnt lgkmcnt(0)
	s_barrier
	s_cbranch_vccz .LBB265_24
; %bb.13:
	v_cmp_gt_u16_e32 vcc, 10, v9
	s_and_saveexec_b64 s[0:1], vcc
	s_cbranch_execz .LBB265_15
; %bb.14:
	ds_read2_b32 v[2:3], v1 offset1:16
	s_waitcnt lgkmcnt(0)
	v_add_f32_e32 v2, v3, v2
	ds_write_b32 v1, v2
.LBB265_15:
	s_or_b64 exec, exec, s[0:1]
	v_cmp_gt_u16_e32 vcc, 8, v9
	s_waitcnt lgkmcnt(0)
	s_barrier
	s_and_saveexec_b64 s[0:1], vcc
	s_cbranch_execz .LBB265_17
; %bb.16:
	ds_read2_b32 v[2:3], v1 offset1:8
	s_waitcnt lgkmcnt(0)
	v_add_f32_e32 v2, v3, v2
	ds_write_b32 v1, v2
.LBB265_17:
	s_or_b64 exec, exec, s[0:1]
	v_cmp_gt_u16_e32 vcc, 4, v9
	s_waitcnt lgkmcnt(0)
	s_barrier
	;; [unrolled: 12-line block ×3, first 2 shown]
	s_and_saveexec_b64 s[0:1], vcc
	s_cbranch_execz .LBB265_21
; %bb.20:
	ds_read2_b32 v[2:3], v1 offset1:2
	s_waitcnt lgkmcnt(0)
	v_add_f32_e32 v2, v3, v2
	ds_write_b32 v1, v2
.LBB265_21:
	s_or_b64 exec, exec, s[0:1]
	v_cmp_gt_u32_e32 vcc, 26, v0
	v_mov_b32_e32 v2, v8
	s_waitcnt lgkmcnt(0)
	s_barrier
	s_and_saveexec_b64 s[0:1], vcc
	s_cbranch_execz .LBB265_23
; %bb.22:
	s_movk_i32 s2, 0x64
	v_mad_u32_u24 v2, v0, s2, v1
	ds_read_b64 v[2:3], v2
	s_waitcnt lgkmcnt(0)
	v_add_f32_e32 v2, v2, v3
.LBB265_23:
	s_or_b64 exec, exec, s[0:1]
	s_branch .LBB265_36
.LBB265_24:
                                        ; implicit-def: $vgpr2
	s_cbranch_execz .LBB265_36
; %bb.25:
	s_movk_i32 s0, 0x104
	v_cmp_gt_u32_e32 vcc, s0, v0
	s_and_saveexec_b64 s[0:1], vcc
	s_cbranch_execz .LBB265_27
; %bb.26:
	ds_read_b32 v2, v1 offset:1664
	ds_read_b32 v3, v1
	s_waitcnt lgkmcnt(0)
	v_add_f32_e32 v2, v2, v3
	ds_write_b32 v1, v2
.LBB265_27:
	s_or_b64 exec, exec, s[0:1]
	s_movk_i32 s0, 0xd0
	v_cmp_gt_u32_e32 vcc, s0, v0
	s_waitcnt lgkmcnt(0)
	s_barrier
	s_and_saveexec_b64 s[0:1], vcc
	s_cbranch_execz .LBB265_29
; %bb.28:
	ds_read2_b32 v[2:3], v1 offset1:208
	s_waitcnt lgkmcnt(0)
	v_add_f32_e32 v2, v3, v2
	ds_write_b32 v1, v2
.LBB265_29:
	s_or_b64 exec, exec, s[0:1]
	s_movk_i32 s0, 0x68
	v_cmp_gt_u32_e32 vcc, s0, v0
	s_waitcnt lgkmcnt(0)
	s_barrier
	s_and_saveexec_b64 s[0:1], vcc
	s_cbranch_execz .LBB265_31
; %bb.30:
	ds_read2_b32 v[2:3], v1 offset1:104
	s_waitcnt lgkmcnt(0)
	v_add_f32_e32 v2, v3, v2
	ds_write_b32 v1, v2
.LBB265_31:
	s_or_b64 exec, exec, s[0:1]
	v_cmp_gt_u32_e32 vcc, 52, v0
	s_waitcnt lgkmcnt(0)
	s_barrier
	s_and_saveexec_b64 s[0:1], vcc
	s_cbranch_execz .LBB265_33
; %bb.32:
	ds_read2_b32 v[2:3], v1 offset1:52
	s_waitcnt lgkmcnt(0)
	v_add_f32_e32 v2, v3, v2
	ds_write_b32 v1, v2
.LBB265_33:
	s_or_b64 exec, exec, s[0:1]
	v_cmp_gt_u32_e32 vcc, 26, v0
	s_waitcnt lgkmcnt(0)
	s_and_saveexec_b64 s[0:1], vcc
	s_cbranch_execz .LBB265_35
; %bb.34:
	ds_read2_b32 v[1:2], v1 offset1:26
	s_waitcnt lgkmcnt(0)
	v_add_f32_e32 v8, v1, v2
.LBB265_35:
	s_or_b64 exec, exec, s[0:1]
	v_mov_b32_e32 v2, v8
.LBB265_36:
	v_cmp_gt_u32_e32 vcc, 26, v0
	s_and_saveexec_b64 s[0:1], vcc
	s_cbranch_execz .LBB265_40
; %bb.37:
	v_cmp_eq_f32_e64 s[0:1], s12, 0
	s_and_b64 vcc, exec, s[0:1]
	v_mul_f32_e32 v1, s14, v2
	s_cbranch_vccz .LBB265_41
; %bb.38:
	v_mad_u64_u32 v[2:3], s[0:1], s6, 26, v[0:1]
	v_mov_b32_e32 v3, 0
	v_mov_b32_e32 v4, s17
	v_lshlrev_b64 v[2:3], 2, v[2:3]
	v_add_co_u32_e32 v2, vcc, s16, v2
	v_addc_co_u32_e32 v3, vcc, v4, v3, vcc
	global_store_dword v[2:3], v1, off
	s_cbranch_execnz .LBB265_40
.LBB265_39:
	v_mad_u64_u32 v[2:3], s[0:1], s6, 26, v[0:1]
	v_mov_b32_e32 v3, 0
	v_mov_b32_e32 v0, s17
	v_lshlrev_b64 v[2:3], 2, v[2:3]
	v_add_co_u32_e32 v2, vcc, s16, v2
	v_addc_co_u32_e32 v3, vcc, v0, v3, vcc
	global_load_dword v0, v[2:3], off
	s_waitcnt vmcnt(0)
	v_fmac_f32_e32 v1, s12, v0
	global_store_dword v[2:3], v1, off
.LBB265_40:
	s_endpgm
.LBB265_41:
	s_branch .LBB265_39
	.section	.rodata,"a",@progbits
	.p2align	6, 0x0
	.amdhsa_kernel _ZN9rocsparseL20bsrxmvn_17_32_kernelILj26EfliaafEEvT2_20rocsparse_direction_NS_24const_host_device_scalarIT0_EES1_PKS1_PKT1_SA_S7_PKT3_PKT4_S5_PT5_21rocsparse_index_base_b
		.amdhsa_group_segment_fixed_size 2704
		.amdhsa_private_segment_fixed_size 0
		.amdhsa_kernarg_size 96
		.amdhsa_user_sgpr_count 6
		.amdhsa_user_sgpr_private_segment_buffer 1
		.amdhsa_user_sgpr_dispatch_ptr 0
		.amdhsa_user_sgpr_queue_ptr 0
		.amdhsa_user_sgpr_kernarg_segment_ptr 1
		.amdhsa_user_sgpr_dispatch_id 0
		.amdhsa_user_sgpr_flat_scratch_init 0
		.amdhsa_user_sgpr_private_segment_size 0
		.amdhsa_uses_dynamic_stack 0
		.amdhsa_system_sgpr_private_segment_wavefront_offset 0
		.amdhsa_system_sgpr_workgroup_id_x 1
		.amdhsa_system_sgpr_workgroup_id_y 0
		.amdhsa_system_sgpr_workgroup_id_z 0
		.amdhsa_system_sgpr_workgroup_info 0
		.amdhsa_system_vgpr_workitem_id 0
		.amdhsa_next_free_vgpr 25
		.amdhsa_next_free_sgpr 61
		.amdhsa_reserve_vcc 1
		.amdhsa_reserve_flat_scratch 0
		.amdhsa_float_round_mode_32 0
		.amdhsa_float_round_mode_16_64 0
		.amdhsa_float_denorm_mode_32 3
		.amdhsa_float_denorm_mode_16_64 3
		.amdhsa_dx10_clamp 1
		.amdhsa_ieee_mode 1
		.amdhsa_fp16_overflow 0
		.amdhsa_exception_fp_ieee_invalid_op 0
		.amdhsa_exception_fp_denorm_src 0
		.amdhsa_exception_fp_ieee_div_zero 0
		.amdhsa_exception_fp_ieee_overflow 0
		.amdhsa_exception_fp_ieee_underflow 0
		.amdhsa_exception_fp_ieee_inexact 0
		.amdhsa_exception_int_div_zero 0
	.end_amdhsa_kernel
	.section	.text._ZN9rocsparseL20bsrxmvn_17_32_kernelILj26EfliaafEEvT2_20rocsparse_direction_NS_24const_host_device_scalarIT0_EES1_PKS1_PKT1_SA_S7_PKT3_PKT4_S5_PT5_21rocsparse_index_base_b,"axG",@progbits,_ZN9rocsparseL20bsrxmvn_17_32_kernelILj26EfliaafEEvT2_20rocsparse_direction_NS_24const_host_device_scalarIT0_EES1_PKS1_PKT1_SA_S7_PKT3_PKT4_S5_PT5_21rocsparse_index_base_b,comdat
.Lfunc_end265:
	.size	_ZN9rocsparseL20bsrxmvn_17_32_kernelILj26EfliaafEEvT2_20rocsparse_direction_NS_24const_host_device_scalarIT0_EES1_PKS1_PKT1_SA_S7_PKT3_PKT4_S5_PT5_21rocsparse_index_base_b, .Lfunc_end265-_ZN9rocsparseL20bsrxmvn_17_32_kernelILj26EfliaafEEvT2_20rocsparse_direction_NS_24const_host_device_scalarIT0_EES1_PKS1_PKT1_SA_S7_PKT3_PKT4_S5_PT5_21rocsparse_index_base_b
                                        ; -- End function
	.set _ZN9rocsparseL20bsrxmvn_17_32_kernelILj26EfliaafEEvT2_20rocsparse_direction_NS_24const_host_device_scalarIT0_EES1_PKS1_PKT1_SA_S7_PKT3_PKT4_S5_PT5_21rocsparse_index_base_b.num_vgpr, 15
	.set _ZN9rocsparseL20bsrxmvn_17_32_kernelILj26EfliaafEEvT2_20rocsparse_direction_NS_24const_host_device_scalarIT0_EES1_PKS1_PKT1_SA_S7_PKT3_PKT4_S5_PT5_21rocsparse_index_base_b.num_agpr, 0
	.set _ZN9rocsparseL20bsrxmvn_17_32_kernelILj26EfliaafEEvT2_20rocsparse_direction_NS_24const_host_device_scalarIT0_EES1_PKS1_PKT1_SA_S7_PKT3_PKT4_S5_PT5_21rocsparse_index_base_b.numbered_sgpr, 26
	.set _ZN9rocsparseL20bsrxmvn_17_32_kernelILj26EfliaafEEvT2_20rocsparse_direction_NS_24const_host_device_scalarIT0_EES1_PKS1_PKT1_SA_S7_PKT3_PKT4_S5_PT5_21rocsparse_index_base_b.num_named_barrier, 0
	.set _ZN9rocsparseL20bsrxmvn_17_32_kernelILj26EfliaafEEvT2_20rocsparse_direction_NS_24const_host_device_scalarIT0_EES1_PKS1_PKT1_SA_S7_PKT3_PKT4_S5_PT5_21rocsparse_index_base_b.private_seg_size, 0
	.set _ZN9rocsparseL20bsrxmvn_17_32_kernelILj26EfliaafEEvT2_20rocsparse_direction_NS_24const_host_device_scalarIT0_EES1_PKS1_PKT1_SA_S7_PKT3_PKT4_S5_PT5_21rocsparse_index_base_b.uses_vcc, 1
	.set _ZN9rocsparseL20bsrxmvn_17_32_kernelILj26EfliaafEEvT2_20rocsparse_direction_NS_24const_host_device_scalarIT0_EES1_PKS1_PKT1_SA_S7_PKT3_PKT4_S5_PT5_21rocsparse_index_base_b.uses_flat_scratch, 0
	.set _ZN9rocsparseL20bsrxmvn_17_32_kernelILj26EfliaafEEvT2_20rocsparse_direction_NS_24const_host_device_scalarIT0_EES1_PKS1_PKT1_SA_S7_PKT3_PKT4_S5_PT5_21rocsparse_index_base_b.has_dyn_sized_stack, 0
	.set _ZN9rocsparseL20bsrxmvn_17_32_kernelILj26EfliaafEEvT2_20rocsparse_direction_NS_24const_host_device_scalarIT0_EES1_PKS1_PKT1_SA_S7_PKT3_PKT4_S5_PT5_21rocsparse_index_base_b.has_recursion, 0
	.set _ZN9rocsparseL20bsrxmvn_17_32_kernelILj26EfliaafEEvT2_20rocsparse_direction_NS_24const_host_device_scalarIT0_EES1_PKS1_PKT1_SA_S7_PKT3_PKT4_S5_PT5_21rocsparse_index_base_b.has_indirect_call, 0
	.section	.AMDGPU.csdata,"",@progbits
; Kernel info:
; codeLenInByte = 1316
; TotalNumSgprs: 30
; NumVgprs: 15
; ScratchSize: 0
; MemoryBound: 0
; FloatMode: 240
; IeeeMode: 1
; LDSByteSize: 2704 bytes/workgroup (compile time only)
; SGPRBlocks: 8
; VGPRBlocks: 6
; NumSGPRsForWavesPerEU: 65
; NumVGPRsForWavesPerEU: 25
; Occupancy: 9
; WaveLimiterHint : 1
; COMPUTE_PGM_RSRC2:SCRATCH_EN: 0
; COMPUTE_PGM_RSRC2:USER_SGPR: 6
; COMPUTE_PGM_RSRC2:TRAP_HANDLER: 0
; COMPUTE_PGM_RSRC2:TGID_X_EN: 1
; COMPUTE_PGM_RSRC2:TGID_Y_EN: 0
; COMPUTE_PGM_RSRC2:TGID_Z_EN: 0
; COMPUTE_PGM_RSRC2:TIDIG_COMP_CNT: 0
	.section	.text._ZN9rocsparseL20bsrxmvn_17_32_kernelILj27EfliaafEEvT2_20rocsparse_direction_NS_24const_host_device_scalarIT0_EES1_PKS1_PKT1_SA_S7_PKT3_PKT4_S5_PT5_21rocsparse_index_base_b,"axG",@progbits,_ZN9rocsparseL20bsrxmvn_17_32_kernelILj27EfliaafEEvT2_20rocsparse_direction_NS_24const_host_device_scalarIT0_EES1_PKS1_PKT1_SA_S7_PKT3_PKT4_S5_PT5_21rocsparse_index_base_b,comdat
	.globl	_ZN9rocsparseL20bsrxmvn_17_32_kernelILj27EfliaafEEvT2_20rocsparse_direction_NS_24const_host_device_scalarIT0_EES1_PKS1_PKT1_SA_S7_PKT3_PKT4_S5_PT5_21rocsparse_index_base_b ; -- Begin function _ZN9rocsparseL20bsrxmvn_17_32_kernelILj27EfliaafEEvT2_20rocsparse_direction_NS_24const_host_device_scalarIT0_EES1_PKS1_PKT1_SA_S7_PKT3_PKT4_S5_PT5_21rocsparse_index_base_b
	.p2align	8
	.type	_ZN9rocsparseL20bsrxmvn_17_32_kernelILj27EfliaafEEvT2_20rocsparse_direction_NS_24const_host_device_scalarIT0_EES1_PKS1_PKT1_SA_S7_PKT3_PKT4_S5_PT5_21rocsparse_index_base_b,@function
_ZN9rocsparseL20bsrxmvn_17_32_kernelILj27EfliaafEEvT2_20rocsparse_direction_NS_24const_host_device_scalarIT0_EES1_PKS1_PKT1_SA_S7_PKT3_PKT4_S5_PT5_21rocsparse_index_base_b: ; @_ZN9rocsparseL20bsrxmvn_17_32_kernelILj27EfliaafEEvT2_20rocsparse_direction_NS_24const_host_device_scalarIT0_EES1_PKS1_PKT1_SA_S7_PKT3_PKT4_S5_PT5_21rocsparse_index_base_b
; %bb.0:
	s_load_dwordx2 s[18:19], s[4:5], 0x58
	s_load_dwordx2 s[14:15], s[4:5], 0x8
	;; [unrolled: 1-line block ×3, first 2 shown]
	s_waitcnt lgkmcnt(0)
	s_bitcmp1_b32 s19, 0
	s_cselect_b64 s[2:3], -1, 0
	s_xor_b64 s[0:1], s[2:3], -1
	s_and_b64 vcc, exec, s[2:3]
	s_cbranch_vccnz .LBB266_2
; %bb.1:
	s_load_dword s14, s[14:15], 0x0
.LBB266_2:
	s_andn2_b64 vcc, exec, s[0:1]
	s_cbranch_vccnz .LBB266_4
; %bb.3:
	s_load_dword s12, s[12:13], 0x0
.LBB266_4:
	s_waitcnt lgkmcnt(0)
	v_cmp_neq_f32_e64 s[0:1], s14, 0
	v_cmp_neq_f32_e64 s[2:3], s12, 1.0
	s_or_b64 s[0:1], s[0:1], s[2:3]
	s_andn2_b64 vcc, exec, s[0:1]
	s_cbranch_vccnz .LBB266_40
; %bb.5:
	s_load_dwordx4 s[0:3], s[4:5], 0x18
	s_load_dwordx2 s[8:9], s[4:5], 0x28
	s_waitcnt lgkmcnt(0)
	s_cmp_eq_u64 s[0:1], 0
	s_cbranch_scc1 .LBB266_7
; %bb.6:
	s_ashr_i32 s7, s6, 31
	s_lshl_b64 s[6:7], s[6:7], 2
	s_add_u32 s0, s0, s6
	s_addc_u32 s1, s1, s7
	s_load_dword s0, s[0:1], 0x0
	s_waitcnt lgkmcnt(0)
	s_sub_i32 s6, s0, s18
.LBB266_7:
	s_load_dword s7, s[4:5], 0x4
	s_load_dwordx2 s[16:17], s[4:5], 0x50
	v_mul_u32_u24_e32 v1, 0x97c, v0
	v_mov_b32_e32 v2, 27
	v_mul_lo_u16_sdwa v2, v1, v2 dst_sel:DWORD dst_unused:UNUSED_PAD src0_sel:WORD_1 src1_sel:DWORD
	s_waitcnt lgkmcnt(0)
	s_cmp_eq_u32 s7, 1
	s_cselect_b64 s[0:1], -1, 0
	s_cmp_lg_u32 s7, 1
	s_cselect_b64 s[20:21], -1, 0
	s_ashr_i32 s7, s6, 31
	s_lshl_b64 s[10:11], s[6:7], 3
	s_add_u32 s2, s2, s10
	s_addc_u32 s3, s3, s11
	s_add_u32 s7, s2, 8
	s_addc_u32 s13, s3, 0
	;; [unrolled: 2-line block ×3, first 2 shown]
	s_cmp_eq_u64 s[8:9], 0
	s_cselect_b32 s9, s13, s11
	s_cselect_b32 s8, s7, s10
	s_load_dwordx2 s[22:23], s[8:9], 0x0
	s_load_dwordx2 s[24:25], s[2:3], 0x0
	v_sub_u16_e32 v9, v0, v2
	v_mov_b32_e32 v8, 0
	s_waitcnt lgkmcnt(0)
	v_mov_b32_e32 v2, s22
	v_mov_b32_e32 v3, s23
	v_cmp_ge_i64_e32 vcc, s[24:25], v[2:3]
	s_cbranch_vccnz .LBB266_12
; %bb.8:
	s_load_dwordx4 s[8:11], s[4:5], 0x30
	s_load_dwordx2 s[2:3], s[4:5], 0x40
	s_sub_u32 s4, s22, s18
	s_mov_b32 s7, 0xffff
	s_subb_u32 s5, s23, 0
	s_movk_i32 s13, 0x2d9
	v_and_b32_sdwa v1, s7, v1 dst_sel:DWORD dst_unused:UNUSED_PAD src0_sel:DWORD src1_sel:WORD_1
	v_subrev_u32_e32 v2, 27, v1
	v_cmp_gt_u32_e32 vcc, s13, v0
	s_sub_u32 s22, s24, s18
	v_cndmask_b32_e32 v1, v2, v1, vcc
	s_subb_u32 s23, s25, 0
	v_cndmask_b32_e64 v1, v9, v1, s[0:1]
	s_mul_i32 s0, s23, 0x2d9
	s_mul_hi_u32 s1, s22, 0x2d9
	s_add_i32 s1, s1, s0
	s_mul_i32 s0, s22, 0x2d9
	s_waitcnt lgkmcnt(0)
	s_add_u32 s0, s10, s0
	s_addc_u32 s1, s11, s1
	v_mov_b32_e32 v3, s1
	v_add_co_u32_e32 v2, vcc, s0, v0
	v_addc_co_u32_e32 v3, vcc, 0, v3, vcc
	s_movk_i32 s0, 0x2d8
	v_cmp_lt_u32_e32 vcc, s0, v0
	v_cndmask_b32_e64 v10, 0, 1, vcc
	v_mov_b32_e32 v4, s25
	v_add_co_u32_e32 v5, vcc, s24, v10
	v_addc_co_u32_e32 v6, vcc, 0, v4, vcc
	v_subrev_co_u32_e32 v4, vcc, s18, v5
	v_subbrev_co_u32_e32 v5, vcc, 0, v6, vcc
	v_lshlrev_b64 v[4:5], 2, v[4:5]
	v_mov_b32_e32 v6, s9
	v_add_co_u32_e32 v4, vcc, s8, v4
	v_addc_co_u32_e32 v5, vcc, v6, v5, vcc
	v_mov_b32_e32 v7, s5
	v_mov_b32_e32 v8, 0
	;; [unrolled: 1-line block ×3, first 2 shown]
	s_branch .LBB266_10
.LBB266_9:                              ;   in Loop: Header=BB266_10 Depth=1
	s_or_b64 exec, exec, s[0:1]
	s_add_u32 s22, s22, 1
	s_addc_u32 s23, s23, 0
	v_cmp_lt_i64_e32 vcc, s[22:23], v[6:7]
	v_add_co_u32_e64 v4, s[0:1], 4, v4
	v_addc_co_u32_e64 v5, s[0:1], 0, v5, s[0:1]
	s_cbranch_vccz .LBB266_12
.LBB266_10:                             ; =>This Inner Loop Header: Depth=1
	v_mov_b32_e32 v12, s23
	v_add_co_u32_e32 v11, vcc, s22, v10
	v_addc_co_u32_e32 v12, vcc, 0, v12, vcc
	v_cmp_gt_i64_e32 vcc, s[4:5], v[11:12]
	s_and_saveexec_b64 s[0:1], vcc
	s_cbranch_execz .LBB266_9
; %bb.11:                               ;   in Loop: Header=BB266_10 Depth=1
	global_load_dword v11, v[4:5], off
	global_load_sbyte v13, v[2:3], off
	s_waitcnt vmcnt(1)
	v_subrev_u32_e32 v11, s18, v11
	v_mad_u64_u32 v[11:12], s[8:9], v11, 27, v[1:2]
	v_mov_b32_e32 v12, s3
	v_ashrrev_i32_e32 v14, 31, v11
	v_add_co_u32_e32 v11, vcc, s2, v11
	v_addc_co_u32_e32 v12, vcc, v12, v14, vcc
	global_load_sbyte v11, v[11:12], off
	s_waitcnt vmcnt(1)
	v_cvt_f32_i32_e32 v12, v13
	v_add_co_u32_e32 v2, vcc, 0x2d9, v2
	v_addc_co_u32_e32 v3, vcc, 0, v3, vcc
	s_waitcnt vmcnt(0)
	v_cvt_f32_i32_e32 v11, v11
	v_fmac_f32_e32 v8, v12, v11
	s_branch .LBB266_9
.LBB266_12:
	v_lshlrev_b32_e32 v1, 2, v0
	s_and_b64 vcc, exec, s[20:21]
	ds_write_b32 v1, v8
	s_waitcnt lgkmcnt(0)
	s_barrier
	s_cbranch_vccz .LBB266_24
; %bb.13:
	v_cmp_gt_u16_e32 vcc, 11, v9
	s_and_saveexec_b64 s[0:1], vcc
	s_cbranch_execz .LBB266_15
; %bb.14:
	ds_read2_b32 v[2:3], v1 offset1:16
	s_waitcnt lgkmcnt(0)
	v_add_f32_e32 v2, v3, v2
	ds_write_b32 v1, v2
.LBB266_15:
	s_or_b64 exec, exec, s[0:1]
	v_cmp_gt_u16_e32 vcc, 8, v9
	s_waitcnt lgkmcnt(0)
	s_barrier
	s_and_saveexec_b64 s[0:1], vcc
	s_cbranch_execz .LBB266_17
; %bb.16:
	ds_read2_b32 v[2:3], v1 offset1:8
	s_waitcnt lgkmcnt(0)
	v_add_f32_e32 v2, v3, v2
	ds_write_b32 v1, v2
.LBB266_17:
	s_or_b64 exec, exec, s[0:1]
	v_cmp_gt_u16_e32 vcc, 4, v9
	s_waitcnt lgkmcnt(0)
	s_barrier
	s_and_saveexec_b64 s[0:1], vcc
	s_cbranch_execz .LBB266_19
; %bb.18:
	ds_read2_b32 v[2:3], v1 offset1:4
	s_waitcnt lgkmcnt(0)
	v_add_f32_e32 v2, v3, v2
	ds_write_b32 v1, v2
.LBB266_19:
	s_or_b64 exec, exec, s[0:1]
	v_cmp_gt_u16_e32 vcc, 2, v9
	s_waitcnt lgkmcnt(0)
	s_barrier
	s_and_saveexec_b64 s[0:1], vcc
	s_cbranch_execz .LBB266_21
; %bb.20:
	ds_read2_b32 v[2:3], v1 offset1:2
	s_waitcnt lgkmcnt(0)
	v_add_f32_e32 v2, v3, v2
	ds_write_b32 v1, v2
.LBB266_21:
	s_or_b64 exec, exec, s[0:1]
	v_cmp_gt_u32_e32 vcc, 27, v0
	v_mov_b32_e32 v2, v8
	s_waitcnt lgkmcnt(0)
	s_barrier
	s_and_saveexec_b64 s[0:1], vcc
	s_cbranch_execz .LBB266_23
; %bb.22:
	s_movk_i32 s2, 0x68
	v_mad_u32_u24 v2, v0, s2, v1
	ds_read2_b32 v[2:3], v2 offset1:1
	s_waitcnt lgkmcnt(0)
	v_add_f32_e32 v2, v2, v3
.LBB266_23:
	s_or_b64 exec, exec, s[0:1]
	s_branch .LBB266_36
.LBB266_24:
                                        ; implicit-def: $vgpr2
	s_cbranch_execz .LBB266_36
; %bb.25:
	s_movk_i32 s0, 0x129
	v_cmp_gt_u32_e32 vcc, s0, v0
	s_and_saveexec_b64 s[0:1], vcc
	s_cbranch_execz .LBB266_27
; %bb.26:
	ds_read_b32 v2, v1 offset:1728
	ds_read_b32 v3, v1
	s_waitcnt lgkmcnt(0)
	v_add_f32_e32 v2, v2, v3
	ds_write_b32 v1, v2
.LBB266_27:
	s_or_b64 exec, exec, s[0:1]
	s_movk_i32 s0, 0xd8
	v_cmp_gt_u32_e32 vcc, s0, v0
	s_waitcnt lgkmcnt(0)
	s_barrier
	s_and_saveexec_b64 s[0:1], vcc
	s_cbranch_execz .LBB266_29
; %bb.28:
	ds_read2_b32 v[2:3], v1 offset1:216
	s_waitcnt lgkmcnt(0)
	v_add_f32_e32 v2, v3, v2
	ds_write_b32 v1, v2
.LBB266_29:
	s_or_b64 exec, exec, s[0:1]
	s_movk_i32 s0, 0x6c
	v_cmp_gt_u32_e32 vcc, s0, v0
	s_waitcnt lgkmcnt(0)
	s_barrier
	s_and_saveexec_b64 s[0:1], vcc
	s_cbranch_execz .LBB266_31
; %bb.30:
	ds_read2_b32 v[2:3], v1 offset1:108
	s_waitcnt lgkmcnt(0)
	v_add_f32_e32 v2, v3, v2
	ds_write_b32 v1, v2
.LBB266_31:
	s_or_b64 exec, exec, s[0:1]
	v_cmp_gt_u32_e32 vcc, 54, v0
	s_waitcnt lgkmcnt(0)
	s_barrier
	s_and_saveexec_b64 s[0:1], vcc
	s_cbranch_execz .LBB266_33
; %bb.32:
	ds_read2_b32 v[2:3], v1 offset1:54
	s_waitcnt lgkmcnt(0)
	v_add_f32_e32 v2, v3, v2
	ds_write_b32 v1, v2
.LBB266_33:
	s_or_b64 exec, exec, s[0:1]
	v_cmp_gt_u32_e32 vcc, 27, v0
	s_waitcnt lgkmcnt(0)
	s_and_saveexec_b64 s[0:1], vcc
	s_cbranch_execz .LBB266_35
; %bb.34:
	ds_read2_b32 v[1:2], v1 offset1:27
	s_waitcnt lgkmcnt(0)
	v_add_f32_e32 v8, v1, v2
.LBB266_35:
	s_or_b64 exec, exec, s[0:1]
	v_mov_b32_e32 v2, v8
.LBB266_36:
	v_cmp_gt_u32_e32 vcc, 27, v0
	s_and_saveexec_b64 s[0:1], vcc
	s_cbranch_execz .LBB266_40
; %bb.37:
	v_cmp_eq_f32_e64 s[0:1], s12, 0
	s_and_b64 vcc, exec, s[0:1]
	v_mul_f32_e32 v1, s14, v2
	s_cbranch_vccz .LBB266_41
; %bb.38:
	v_mad_u64_u32 v[2:3], s[0:1], s6, 27, v[0:1]
	v_mov_b32_e32 v3, 0
	v_mov_b32_e32 v4, s17
	v_lshlrev_b64 v[2:3], 2, v[2:3]
	v_add_co_u32_e32 v2, vcc, s16, v2
	v_addc_co_u32_e32 v3, vcc, v4, v3, vcc
	global_store_dword v[2:3], v1, off
	s_cbranch_execnz .LBB266_40
.LBB266_39:
	v_mad_u64_u32 v[2:3], s[0:1], s6, 27, v[0:1]
	v_mov_b32_e32 v3, 0
	v_mov_b32_e32 v0, s17
	v_lshlrev_b64 v[2:3], 2, v[2:3]
	v_add_co_u32_e32 v2, vcc, s16, v2
	v_addc_co_u32_e32 v3, vcc, v0, v3, vcc
	global_load_dword v0, v[2:3], off
	s_waitcnt vmcnt(0)
	v_fmac_f32_e32 v1, s12, v0
	global_store_dword v[2:3], v1, off
.LBB266_40:
	s_endpgm
.LBB266_41:
	s_branch .LBB266_39
	.section	.rodata,"a",@progbits
	.p2align	6, 0x0
	.amdhsa_kernel _ZN9rocsparseL20bsrxmvn_17_32_kernelILj27EfliaafEEvT2_20rocsparse_direction_NS_24const_host_device_scalarIT0_EES1_PKS1_PKT1_SA_S7_PKT3_PKT4_S5_PT5_21rocsparse_index_base_b
		.amdhsa_group_segment_fixed_size 2916
		.amdhsa_private_segment_fixed_size 0
		.amdhsa_kernarg_size 96
		.amdhsa_user_sgpr_count 6
		.amdhsa_user_sgpr_private_segment_buffer 1
		.amdhsa_user_sgpr_dispatch_ptr 0
		.amdhsa_user_sgpr_queue_ptr 0
		.amdhsa_user_sgpr_kernarg_segment_ptr 1
		.amdhsa_user_sgpr_dispatch_id 0
		.amdhsa_user_sgpr_flat_scratch_init 0
		.amdhsa_user_sgpr_private_segment_size 0
		.amdhsa_uses_dynamic_stack 0
		.amdhsa_system_sgpr_private_segment_wavefront_offset 0
		.amdhsa_system_sgpr_workgroup_id_x 1
		.amdhsa_system_sgpr_workgroup_id_y 0
		.amdhsa_system_sgpr_workgroup_id_z 0
		.amdhsa_system_sgpr_workgroup_info 0
		.amdhsa_system_vgpr_workitem_id 0
		.amdhsa_next_free_vgpr 25
		.amdhsa_next_free_sgpr 61
		.amdhsa_reserve_vcc 1
		.amdhsa_reserve_flat_scratch 0
		.amdhsa_float_round_mode_32 0
		.amdhsa_float_round_mode_16_64 0
		.amdhsa_float_denorm_mode_32 3
		.amdhsa_float_denorm_mode_16_64 3
		.amdhsa_dx10_clamp 1
		.amdhsa_ieee_mode 1
		.amdhsa_fp16_overflow 0
		.amdhsa_exception_fp_ieee_invalid_op 0
		.amdhsa_exception_fp_denorm_src 0
		.amdhsa_exception_fp_ieee_div_zero 0
		.amdhsa_exception_fp_ieee_overflow 0
		.amdhsa_exception_fp_ieee_underflow 0
		.amdhsa_exception_fp_ieee_inexact 0
		.amdhsa_exception_int_div_zero 0
	.end_amdhsa_kernel
	.section	.text._ZN9rocsparseL20bsrxmvn_17_32_kernelILj27EfliaafEEvT2_20rocsparse_direction_NS_24const_host_device_scalarIT0_EES1_PKS1_PKT1_SA_S7_PKT3_PKT4_S5_PT5_21rocsparse_index_base_b,"axG",@progbits,_ZN9rocsparseL20bsrxmvn_17_32_kernelILj27EfliaafEEvT2_20rocsparse_direction_NS_24const_host_device_scalarIT0_EES1_PKS1_PKT1_SA_S7_PKT3_PKT4_S5_PT5_21rocsparse_index_base_b,comdat
.Lfunc_end266:
	.size	_ZN9rocsparseL20bsrxmvn_17_32_kernelILj27EfliaafEEvT2_20rocsparse_direction_NS_24const_host_device_scalarIT0_EES1_PKS1_PKT1_SA_S7_PKT3_PKT4_S5_PT5_21rocsparse_index_base_b, .Lfunc_end266-_ZN9rocsparseL20bsrxmvn_17_32_kernelILj27EfliaafEEvT2_20rocsparse_direction_NS_24const_host_device_scalarIT0_EES1_PKS1_PKT1_SA_S7_PKT3_PKT4_S5_PT5_21rocsparse_index_base_b
                                        ; -- End function
	.set _ZN9rocsparseL20bsrxmvn_17_32_kernelILj27EfliaafEEvT2_20rocsparse_direction_NS_24const_host_device_scalarIT0_EES1_PKS1_PKT1_SA_S7_PKT3_PKT4_S5_PT5_21rocsparse_index_base_b.num_vgpr, 15
	.set _ZN9rocsparseL20bsrxmvn_17_32_kernelILj27EfliaafEEvT2_20rocsparse_direction_NS_24const_host_device_scalarIT0_EES1_PKS1_PKT1_SA_S7_PKT3_PKT4_S5_PT5_21rocsparse_index_base_b.num_agpr, 0
	.set _ZN9rocsparseL20bsrxmvn_17_32_kernelILj27EfliaafEEvT2_20rocsparse_direction_NS_24const_host_device_scalarIT0_EES1_PKS1_PKT1_SA_S7_PKT3_PKT4_S5_PT5_21rocsparse_index_base_b.numbered_sgpr, 26
	.set _ZN9rocsparseL20bsrxmvn_17_32_kernelILj27EfliaafEEvT2_20rocsparse_direction_NS_24const_host_device_scalarIT0_EES1_PKS1_PKT1_SA_S7_PKT3_PKT4_S5_PT5_21rocsparse_index_base_b.num_named_barrier, 0
	.set _ZN9rocsparseL20bsrxmvn_17_32_kernelILj27EfliaafEEvT2_20rocsparse_direction_NS_24const_host_device_scalarIT0_EES1_PKS1_PKT1_SA_S7_PKT3_PKT4_S5_PT5_21rocsparse_index_base_b.private_seg_size, 0
	.set _ZN9rocsparseL20bsrxmvn_17_32_kernelILj27EfliaafEEvT2_20rocsparse_direction_NS_24const_host_device_scalarIT0_EES1_PKS1_PKT1_SA_S7_PKT3_PKT4_S5_PT5_21rocsparse_index_base_b.uses_vcc, 1
	.set _ZN9rocsparseL20bsrxmvn_17_32_kernelILj27EfliaafEEvT2_20rocsparse_direction_NS_24const_host_device_scalarIT0_EES1_PKS1_PKT1_SA_S7_PKT3_PKT4_S5_PT5_21rocsparse_index_base_b.uses_flat_scratch, 0
	.set _ZN9rocsparseL20bsrxmvn_17_32_kernelILj27EfliaafEEvT2_20rocsparse_direction_NS_24const_host_device_scalarIT0_EES1_PKS1_PKT1_SA_S7_PKT3_PKT4_S5_PT5_21rocsparse_index_base_b.has_dyn_sized_stack, 0
	.set _ZN9rocsparseL20bsrxmvn_17_32_kernelILj27EfliaafEEvT2_20rocsparse_direction_NS_24const_host_device_scalarIT0_EES1_PKS1_PKT1_SA_S7_PKT3_PKT4_S5_PT5_21rocsparse_index_base_b.has_recursion, 0
	.set _ZN9rocsparseL20bsrxmvn_17_32_kernelILj27EfliaafEEvT2_20rocsparse_direction_NS_24const_host_device_scalarIT0_EES1_PKS1_PKT1_SA_S7_PKT3_PKT4_S5_PT5_21rocsparse_index_base_b.has_indirect_call, 0
	.section	.AMDGPU.csdata,"",@progbits
; Kernel info:
; codeLenInByte = 1316
; TotalNumSgprs: 30
; NumVgprs: 15
; ScratchSize: 0
; MemoryBound: 0
; FloatMode: 240
; IeeeMode: 1
; LDSByteSize: 2916 bytes/workgroup (compile time only)
; SGPRBlocks: 8
; VGPRBlocks: 6
; NumSGPRsForWavesPerEU: 65
; NumVGPRsForWavesPerEU: 25
; Occupancy: 9
; WaveLimiterHint : 1
; COMPUTE_PGM_RSRC2:SCRATCH_EN: 0
; COMPUTE_PGM_RSRC2:USER_SGPR: 6
; COMPUTE_PGM_RSRC2:TRAP_HANDLER: 0
; COMPUTE_PGM_RSRC2:TGID_X_EN: 1
; COMPUTE_PGM_RSRC2:TGID_Y_EN: 0
; COMPUTE_PGM_RSRC2:TGID_Z_EN: 0
; COMPUTE_PGM_RSRC2:TIDIG_COMP_CNT: 0
	.section	.text._ZN9rocsparseL20bsrxmvn_17_32_kernelILj28EfliaafEEvT2_20rocsparse_direction_NS_24const_host_device_scalarIT0_EES1_PKS1_PKT1_SA_S7_PKT3_PKT4_S5_PT5_21rocsparse_index_base_b,"axG",@progbits,_ZN9rocsparseL20bsrxmvn_17_32_kernelILj28EfliaafEEvT2_20rocsparse_direction_NS_24const_host_device_scalarIT0_EES1_PKS1_PKT1_SA_S7_PKT3_PKT4_S5_PT5_21rocsparse_index_base_b,comdat
	.globl	_ZN9rocsparseL20bsrxmvn_17_32_kernelILj28EfliaafEEvT2_20rocsparse_direction_NS_24const_host_device_scalarIT0_EES1_PKS1_PKT1_SA_S7_PKT3_PKT4_S5_PT5_21rocsparse_index_base_b ; -- Begin function _ZN9rocsparseL20bsrxmvn_17_32_kernelILj28EfliaafEEvT2_20rocsparse_direction_NS_24const_host_device_scalarIT0_EES1_PKS1_PKT1_SA_S7_PKT3_PKT4_S5_PT5_21rocsparse_index_base_b
	.p2align	8
	.type	_ZN9rocsparseL20bsrxmvn_17_32_kernelILj28EfliaafEEvT2_20rocsparse_direction_NS_24const_host_device_scalarIT0_EES1_PKS1_PKT1_SA_S7_PKT3_PKT4_S5_PT5_21rocsparse_index_base_b,@function
_ZN9rocsparseL20bsrxmvn_17_32_kernelILj28EfliaafEEvT2_20rocsparse_direction_NS_24const_host_device_scalarIT0_EES1_PKS1_PKT1_SA_S7_PKT3_PKT4_S5_PT5_21rocsparse_index_base_b: ; @_ZN9rocsparseL20bsrxmvn_17_32_kernelILj28EfliaafEEvT2_20rocsparse_direction_NS_24const_host_device_scalarIT0_EES1_PKS1_PKT1_SA_S7_PKT3_PKT4_S5_PT5_21rocsparse_index_base_b
; %bb.0:
	s_load_dwordx2 s[18:19], s[4:5], 0x58
	s_load_dwordx2 s[14:15], s[4:5], 0x8
	;; [unrolled: 1-line block ×3, first 2 shown]
	s_waitcnt lgkmcnt(0)
	s_bitcmp1_b32 s19, 0
	s_cselect_b64 s[2:3], -1, 0
	s_xor_b64 s[0:1], s[2:3], -1
	s_and_b64 vcc, exec, s[2:3]
	s_cbranch_vccnz .LBB267_2
; %bb.1:
	s_load_dword s14, s[14:15], 0x0
.LBB267_2:
	s_andn2_b64 vcc, exec, s[0:1]
	s_cbranch_vccnz .LBB267_4
; %bb.3:
	s_load_dword s12, s[12:13], 0x0
.LBB267_4:
	s_waitcnt lgkmcnt(0)
	v_cmp_neq_f32_e64 s[0:1], s14, 0
	v_cmp_neq_f32_e64 s[2:3], s12, 1.0
	s_or_b64 s[0:1], s[0:1], s[2:3]
	s_andn2_b64 vcc, exec, s[0:1]
	s_cbranch_vccnz .LBB267_40
; %bb.5:
	s_load_dwordx4 s[0:3], s[4:5], 0x18
	s_load_dwordx2 s[8:9], s[4:5], 0x28
	s_waitcnt lgkmcnt(0)
	s_cmp_eq_u64 s[0:1], 0
	s_cbranch_scc1 .LBB267_7
; %bb.6:
	s_ashr_i32 s7, s6, 31
	s_lshl_b64 s[6:7], s[6:7], 2
	s_add_u32 s0, s0, s6
	s_addc_u32 s1, s1, s7
	s_load_dword s0, s[0:1], 0x0
	s_waitcnt lgkmcnt(0)
	s_sub_i32 s6, s0, s18
.LBB267_7:
	s_load_dword s7, s[4:5], 0x4
	s_load_dwordx2 s[16:17], s[4:5], 0x50
	v_mul_u32_u24_e32 v1, 0x925, v0
	v_mov_b32_e32 v2, 28
	v_mul_lo_u16_sdwa v2, v1, v2 dst_sel:DWORD dst_unused:UNUSED_PAD src0_sel:WORD_1 src1_sel:DWORD
	s_waitcnt lgkmcnt(0)
	s_cmp_eq_u32 s7, 1
	s_cselect_b64 s[0:1], -1, 0
	s_cmp_lg_u32 s7, 1
	s_cselect_b64 s[20:21], -1, 0
	s_ashr_i32 s7, s6, 31
	s_lshl_b64 s[10:11], s[6:7], 3
	s_add_u32 s2, s2, s10
	s_addc_u32 s3, s3, s11
	s_add_u32 s7, s2, 8
	s_addc_u32 s13, s3, 0
	;; [unrolled: 2-line block ×3, first 2 shown]
	s_cmp_eq_u64 s[8:9], 0
	s_cselect_b32 s9, s13, s11
	s_cselect_b32 s8, s7, s10
	s_load_dwordx2 s[22:23], s[8:9], 0x0
	s_load_dwordx2 s[24:25], s[2:3], 0x0
	v_sub_u16_e32 v9, v0, v2
	v_mov_b32_e32 v8, 0
	s_waitcnt lgkmcnt(0)
	v_mov_b32_e32 v2, s22
	v_mov_b32_e32 v3, s23
	v_cmp_ge_i64_e32 vcc, s[24:25], v[2:3]
	s_cbranch_vccnz .LBB267_12
; %bb.8:
	s_load_dwordx4 s[8:11], s[4:5], 0x30
	s_load_dwordx2 s[2:3], s[4:5], 0x40
	s_sub_u32 s4, s22, s18
	s_mov_b32 s7, 0xffff
	s_subb_u32 s5, s23, 0
	s_movk_i32 s13, 0x310
	v_and_b32_sdwa v1, s7, v1 dst_sel:DWORD dst_unused:UNUSED_PAD src0_sel:DWORD src1_sel:WORD_1
	v_subrev_u32_e32 v2, 28, v1
	v_cmp_gt_u32_e32 vcc, s13, v0
	s_sub_u32 s22, s24, s18
	v_cndmask_b32_e32 v1, v2, v1, vcc
	s_subb_u32 s23, s25, 0
	v_cndmask_b32_e64 v1, v9, v1, s[0:1]
	s_mul_i32 s0, s23, 0x310
	s_mul_hi_u32 s1, s22, 0x310
	s_add_i32 s1, s1, s0
	s_mul_i32 s0, s22, 0x310
	s_waitcnt lgkmcnt(0)
	s_add_u32 s0, s10, s0
	s_addc_u32 s1, s11, s1
	v_mov_b32_e32 v3, s1
	v_add_co_u32_e32 v2, vcc, s0, v0
	v_addc_co_u32_e32 v3, vcc, 0, v3, vcc
	s_movk_i32 s0, 0x30f
	v_cmp_lt_u32_e32 vcc, s0, v0
	v_cndmask_b32_e64 v10, 0, 1, vcc
	v_mov_b32_e32 v4, s25
	v_add_co_u32_e32 v5, vcc, s24, v10
	v_addc_co_u32_e32 v6, vcc, 0, v4, vcc
	v_subrev_co_u32_e32 v4, vcc, s18, v5
	v_subbrev_co_u32_e32 v5, vcc, 0, v6, vcc
	v_lshlrev_b64 v[4:5], 2, v[4:5]
	v_mov_b32_e32 v6, s9
	v_add_co_u32_e32 v4, vcc, s8, v4
	v_addc_co_u32_e32 v5, vcc, v6, v5, vcc
	v_mov_b32_e32 v7, s5
	v_mov_b32_e32 v8, 0
	v_mov_b32_e32 v6, s4
	s_branch .LBB267_10
.LBB267_9:                              ;   in Loop: Header=BB267_10 Depth=1
	s_or_b64 exec, exec, s[0:1]
	s_add_u32 s22, s22, 1
	s_addc_u32 s23, s23, 0
	v_cmp_lt_i64_e32 vcc, s[22:23], v[6:7]
	v_add_co_u32_e64 v4, s[0:1], 4, v4
	v_addc_co_u32_e64 v5, s[0:1], 0, v5, s[0:1]
	s_cbranch_vccz .LBB267_12
.LBB267_10:                             ; =>This Inner Loop Header: Depth=1
	v_mov_b32_e32 v12, s23
	v_add_co_u32_e32 v11, vcc, s22, v10
	v_addc_co_u32_e32 v12, vcc, 0, v12, vcc
	v_cmp_gt_i64_e32 vcc, s[4:5], v[11:12]
	s_and_saveexec_b64 s[0:1], vcc
	s_cbranch_execz .LBB267_9
; %bb.11:                               ;   in Loop: Header=BB267_10 Depth=1
	global_load_dword v11, v[4:5], off
	global_load_sbyte v13, v[2:3], off
	s_waitcnt vmcnt(1)
	v_subrev_u32_e32 v11, s18, v11
	v_mad_u64_u32 v[11:12], s[8:9], v11, 28, v[1:2]
	v_mov_b32_e32 v12, s3
	v_ashrrev_i32_e32 v14, 31, v11
	v_add_co_u32_e32 v11, vcc, s2, v11
	v_addc_co_u32_e32 v12, vcc, v12, v14, vcc
	global_load_sbyte v11, v[11:12], off
	s_waitcnt vmcnt(1)
	v_cvt_f32_i32_e32 v12, v13
	v_add_co_u32_e32 v2, vcc, 0x310, v2
	v_addc_co_u32_e32 v3, vcc, 0, v3, vcc
	s_waitcnt vmcnt(0)
	v_cvt_f32_i32_e32 v11, v11
	v_fmac_f32_e32 v8, v12, v11
	s_branch .LBB267_9
.LBB267_12:
	v_lshlrev_b32_e32 v1, 2, v0
	s_and_b64 vcc, exec, s[20:21]
	ds_write_b32 v1, v8
	s_waitcnt lgkmcnt(0)
	s_barrier
	s_cbranch_vccz .LBB267_24
; %bb.13:
	v_cmp_gt_u16_e32 vcc, 12, v9
	s_and_saveexec_b64 s[0:1], vcc
	s_cbranch_execz .LBB267_15
; %bb.14:
	ds_read2_b32 v[2:3], v1 offset1:16
	s_waitcnt lgkmcnt(0)
	v_add_f32_e32 v2, v3, v2
	ds_write_b32 v1, v2
.LBB267_15:
	s_or_b64 exec, exec, s[0:1]
	v_cmp_gt_u16_e32 vcc, 8, v9
	s_waitcnt lgkmcnt(0)
	s_barrier
	s_and_saveexec_b64 s[0:1], vcc
	s_cbranch_execz .LBB267_17
; %bb.16:
	ds_read2_b32 v[2:3], v1 offset1:8
	s_waitcnt lgkmcnt(0)
	v_add_f32_e32 v2, v3, v2
	ds_write_b32 v1, v2
.LBB267_17:
	s_or_b64 exec, exec, s[0:1]
	v_cmp_gt_u16_e32 vcc, 4, v9
	s_waitcnt lgkmcnt(0)
	s_barrier
	;; [unrolled: 12-line block ×3, first 2 shown]
	s_and_saveexec_b64 s[0:1], vcc
	s_cbranch_execz .LBB267_21
; %bb.20:
	ds_read2_b32 v[2:3], v1 offset1:2
	s_waitcnt lgkmcnt(0)
	v_add_f32_e32 v2, v3, v2
	ds_write_b32 v1, v2
.LBB267_21:
	s_or_b64 exec, exec, s[0:1]
	v_cmp_gt_u32_e32 vcc, 28, v0
	v_mov_b32_e32 v2, v8
	s_waitcnt lgkmcnt(0)
	s_barrier
	s_and_saveexec_b64 s[0:1], vcc
	s_cbranch_execz .LBB267_23
; %bb.22:
	s_movk_i32 s2, 0x6c
	v_mad_u32_u24 v2, v0, s2, v1
	ds_read_b64 v[2:3], v2
	s_waitcnt lgkmcnt(0)
	v_add_f32_e32 v2, v2, v3
.LBB267_23:
	s_or_b64 exec, exec, s[0:1]
	s_branch .LBB267_36
.LBB267_24:
                                        ; implicit-def: $vgpr2
	s_cbranch_execz .LBB267_36
; %bb.25:
	s_movk_i32 s0, 0x150
	v_cmp_gt_u32_e32 vcc, s0, v0
	s_and_saveexec_b64 s[0:1], vcc
	s_cbranch_execz .LBB267_27
; %bb.26:
	ds_read2st64_b32 v[2:3], v1 offset1:7
	s_waitcnt lgkmcnt(0)
	v_add_f32_e32 v2, v3, v2
	ds_write_b32 v1, v2
.LBB267_27:
	s_or_b64 exec, exec, s[0:1]
	s_movk_i32 s0, 0xe0
	v_cmp_gt_u32_e32 vcc, s0, v0
	s_waitcnt lgkmcnt(0)
	s_barrier
	s_and_saveexec_b64 s[0:1], vcc
	s_cbranch_execz .LBB267_29
; %bb.28:
	ds_read2_b32 v[2:3], v1 offset1:224
	s_waitcnt lgkmcnt(0)
	v_add_f32_e32 v2, v3, v2
	ds_write_b32 v1, v2
.LBB267_29:
	s_or_b64 exec, exec, s[0:1]
	s_movk_i32 s0, 0x70
	v_cmp_gt_u32_e32 vcc, s0, v0
	s_waitcnt lgkmcnt(0)
	s_barrier
	s_and_saveexec_b64 s[0:1], vcc
	s_cbranch_execz .LBB267_31
; %bb.30:
	ds_read2_b32 v[2:3], v1 offset1:112
	s_waitcnt lgkmcnt(0)
	v_add_f32_e32 v2, v3, v2
	ds_write_b32 v1, v2
.LBB267_31:
	s_or_b64 exec, exec, s[0:1]
	v_cmp_gt_u32_e32 vcc, 56, v0
	s_waitcnt lgkmcnt(0)
	s_barrier
	s_and_saveexec_b64 s[0:1], vcc
	s_cbranch_execz .LBB267_33
; %bb.32:
	ds_read2_b32 v[2:3], v1 offset1:56
	s_waitcnt lgkmcnt(0)
	v_add_f32_e32 v2, v3, v2
	ds_write_b32 v1, v2
.LBB267_33:
	s_or_b64 exec, exec, s[0:1]
	v_cmp_gt_u32_e32 vcc, 28, v0
	s_waitcnt lgkmcnt(0)
	s_and_saveexec_b64 s[0:1], vcc
	s_cbranch_execz .LBB267_35
; %bb.34:
	ds_read2_b32 v[1:2], v1 offset1:28
	s_waitcnt lgkmcnt(0)
	v_add_f32_e32 v8, v1, v2
.LBB267_35:
	s_or_b64 exec, exec, s[0:1]
	v_mov_b32_e32 v2, v8
.LBB267_36:
	v_cmp_gt_u32_e32 vcc, 28, v0
	s_and_saveexec_b64 s[0:1], vcc
	s_cbranch_execz .LBB267_40
; %bb.37:
	v_cmp_eq_f32_e64 s[0:1], s12, 0
	s_and_b64 vcc, exec, s[0:1]
	v_mul_f32_e32 v1, s14, v2
	s_cbranch_vccz .LBB267_41
; %bb.38:
	v_mad_u64_u32 v[2:3], s[0:1], s6, 28, v[0:1]
	v_mov_b32_e32 v3, 0
	v_mov_b32_e32 v4, s17
	v_lshlrev_b64 v[2:3], 2, v[2:3]
	v_add_co_u32_e32 v2, vcc, s16, v2
	v_addc_co_u32_e32 v3, vcc, v4, v3, vcc
	global_store_dword v[2:3], v1, off
	s_cbranch_execnz .LBB267_40
.LBB267_39:
	v_mad_u64_u32 v[2:3], s[0:1], s6, 28, v[0:1]
	v_mov_b32_e32 v3, 0
	v_mov_b32_e32 v0, s17
	v_lshlrev_b64 v[2:3], 2, v[2:3]
	v_add_co_u32_e32 v2, vcc, s16, v2
	v_addc_co_u32_e32 v3, vcc, v0, v3, vcc
	global_load_dword v0, v[2:3], off
	s_waitcnt vmcnt(0)
	v_fmac_f32_e32 v1, s12, v0
	global_store_dword v[2:3], v1, off
.LBB267_40:
	s_endpgm
.LBB267_41:
	s_branch .LBB267_39
	.section	.rodata,"a",@progbits
	.p2align	6, 0x0
	.amdhsa_kernel _ZN9rocsparseL20bsrxmvn_17_32_kernelILj28EfliaafEEvT2_20rocsparse_direction_NS_24const_host_device_scalarIT0_EES1_PKS1_PKT1_SA_S7_PKT3_PKT4_S5_PT5_21rocsparse_index_base_b
		.amdhsa_group_segment_fixed_size 3136
		.amdhsa_private_segment_fixed_size 0
		.amdhsa_kernarg_size 96
		.amdhsa_user_sgpr_count 6
		.amdhsa_user_sgpr_private_segment_buffer 1
		.amdhsa_user_sgpr_dispatch_ptr 0
		.amdhsa_user_sgpr_queue_ptr 0
		.amdhsa_user_sgpr_kernarg_segment_ptr 1
		.amdhsa_user_sgpr_dispatch_id 0
		.amdhsa_user_sgpr_flat_scratch_init 0
		.amdhsa_user_sgpr_private_segment_size 0
		.amdhsa_uses_dynamic_stack 0
		.amdhsa_system_sgpr_private_segment_wavefront_offset 0
		.amdhsa_system_sgpr_workgroup_id_x 1
		.amdhsa_system_sgpr_workgroup_id_y 0
		.amdhsa_system_sgpr_workgroup_id_z 0
		.amdhsa_system_sgpr_workgroup_info 0
		.amdhsa_system_vgpr_workitem_id 0
		.amdhsa_next_free_vgpr 15
		.amdhsa_next_free_sgpr 26
		.amdhsa_reserve_vcc 1
		.amdhsa_reserve_flat_scratch 0
		.amdhsa_float_round_mode_32 0
		.amdhsa_float_round_mode_16_64 0
		.amdhsa_float_denorm_mode_32 3
		.amdhsa_float_denorm_mode_16_64 3
		.amdhsa_dx10_clamp 1
		.amdhsa_ieee_mode 1
		.amdhsa_fp16_overflow 0
		.amdhsa_exception_fp_ieee_invalid_op 0
		.amdhsa_exception_fp_denorm_src 0
		.amdhsa_exception_fp_ieee_div_zero 0
		.amdhsa_exception_fp_ieee_overflow 0
		.amdhsa_exception_fp_ieee_underflow 0
		.amdhsa_exception_fp_ieee_inexact 0
		.amdhsa_exception_int_div_zero 0
	.end_amdhsa_kernel
	.section	.text._ZN9rocsparseL20bsrxmvn_17_32_kernelILj28EfliaafEEvT2_20rocsparse_direction_NS_24const_host_device_scalarIT0_EES1_PKS1_PKT1_SA_S7_PKT3_PKT4_S5_PT5_21rocsparse_index_base_b,"axG",@progbits,_ZN9rocsparseL20bsrxmvn_17_32_kernelILj28EfliaafEEvT2_20rocsparse_direction_NS_24const_host_device_scalarIT0_EES1_PKS1_PKT1_SA_S7_PKT3_PKT4_S5_PT5_21rocsparse_index_base_b,comdat
.Lfunc_end267:
	.size	_ZN9rocsparseL20bsrxmvn_17_32_kernelILj28EfliaafEEvT2_20rocsparse_direction_NS_24const_host_device_scalarIT0_EES1_PKS1_PKT1_SA_S7_PKT3_PKT4_S5_PT5_21rocsparse_index_base_b, .Lfunc_end267-_ZN9rocsparseL20bsrxmvn_17_32_kernelILj28EfliaafEEvT2_20rocsparse_direction_NS_24const_host_device_scalarIT0_EES1_PKS1_PKT1_SA_S7_PKT3_PKT4_S5_PT5_21rocsparse_index_base_b
                                        ; -- End function
	.set _ZN9rocsparseL20bsrxmvn_17_32_kernelILj28EfliaafEEvT2_20rocsparse_direction_NS_24const_host_device_scalarIT0_EES1_PKS1_PKT1_SA_S7_PKT3_PKT4_S5_PT5_21rocsparse_index_base_b.num_vgpr, 15
	.set _ZN9rocsparseL20bsrxmvn_17_32_kernelILj28EfliaafEEvT2_20rocsparse_direction_NS_24const_host_device_scalarIT0_EES1_PKS1_PKT1_SA_S7_PKT3_PKT4_S5_PT5_21rocsparse_index_base_b.num_agpr, 0
	.set _ZN9rocsparseL20bsrxmvn_17_32_kernelILj28EfliaafEEvT2_20rocsparse_direction_NS_24const_host_device_scalarIT0_EES1_PKS1_PKT1_SA_S7_PKT3_PKT4_S5_PT5_21rocsparse_index_base_b.numbered_sgpr, 26
	.set _ZN9rocsparseL20bsrxmvn_17_32_kernelILj28EfliaafEEvT2_20rocsparse_direction_NS_24const_host_device_scalarIT0_EES1_PKS1_PKT1_SA_S7_PKT3_PKT4_S5_PT5_21rocsparse_index_base_b.num_named_barrier, 0
	.set _ZN9rocsparseL20bsrxmvn_17_32_kernelILj28EfliaafEEvT2_20rocsparse_direction_NS_24const_host_device_scalarIT0_EES1_PKS1_PKT1_SA_S7_PKT3_PKT4_S5_PT5_21rocsparse_index_base_b.private_seg_size, 0
	.set _ZN9rocsparseL20bsrxmvn_17_32_kernelILj28EfliaafEEvT2_20rocsparse_direction_NS_24const_host_device_scalarIT0_EES1_PKS1_PKT1_SA_S7_PKT3_PKT4_S5_PT5_21rocsparse_index_base_b.uses_vcc, 1
	.set _ZN9rocsparseL20bsrxmvn_17_32_kernelILj28EfliaafEEvT2_20rocsparse_direction_NS_24const_host_device_scalarIT0_EES1_PKS1_PKT1_SA_S7_PKT3_PKT4_S5_PT5_21rocsparse_index_base_b.uses_flat_scratch, 0
	.set _ZN9rocsparseL20bsrxmvn_17_32_kernelILj28EfliaafEEvT2_20rocsparse_direction_NS_24const_host_device_scalarIT0_EES1_PKS1_PKT1_SA_S7_PKT3_PKT4_S5_PT5_21rocsparse_index_base_b.has_dyn_sized_stack, 0
	.set _ZN9rocsparseL20bsrxmvn_17_32_kernelILj28EfliaafEEvT2_20rocsparse_direction_NS_24const_host_device_scalarIT0_EES1_PKS1_PKT1_SA_S7_PKT3_PKT4_S5_PT5_21rocsparse_index_base_b.has_recursion, 0
	.set _ZN9rocsparseL20bsrxmvn_17_32_kernelILj28EfliaafEEvT2_20rocsparse_direction_NS_24const_host_device_scalarIT0_EES1_PKS1_PKT1_SA_S7_PKT3_PKT4_S5_PT5_21rocsparse_index_base_b.has_indirect_call, 0
	.section	.AMDGPU.csdata,"",@progbits
; Kernel info:
; codeLenInByte = 1308
; TotalNumSgprs: 30
; NumVgprs: 15
; ScratchSize: 0
; MemoryBound: 0
; FloatMode: 240
; IeeeMode: 1
; LDSByteSize: 3136 bytes/workgroup (compile time only)
; SGPRBlocks: 3
; VGPRBlocks: 3
; NumSGPRsForWavesPerEU: 30
; NumVGPRsForWavesPerEU: 15
; Occupancy: 10
; WaveLimiterHint : 1
; COMPUTE_PGM_RSRC2:SCRATCH_EN: 0
; COMPUTE_PGM_RSRC2:USER_SGPR: 6
; COMPUTE_PGM_RSRC2:TRAP_HANDLER: 0
; COMPUTE_PGM_RSRC2:TGID_X_EN: 1
; COMPUTE_PGM_RSRC2:TGID_Y_EN: 0
; COMPUTE_PGM_RSRC2:TGID_Z_EN: 0
; COMPUTE_PGM_RSRC2:TIDIG_COMP_CNT: 0
	.section	.text._ZN9rocsparseL20bsrxmvn_17_32_kernelILj29EfliaafEEvT2_20rocsparse_direction_NS_24const_host_device_scalarIT0_EES1_PKS1_PKT1_SA_S7_PKT3_PKT4_S5_PT5_21rocsparse_index_base_b,"axG",@progbits,_ZN9rocsparseL20bsrxmvn_17_32_kernelILj29EfliaafEEvT2_20rocsparse_direction_NS_24const_host_device_scalarIT0_EES1_PKS1_PKT1_SA_S7_PKT3_PKT4_S5_PT5_21rocsparse_index_base_b,comdat
	.globl	_ZN9rocsparseL20bsrxmvn_17_32_kernelILj29EfliaafEEvT2_20rocsparse_direction_NS_24const_host_device_scalarIT0_EES1_PKS1_PKT1_SA_S7_PKT3_PKT4_S5_PT5_21rocsparse_index_base_b ; -- Begin function _ZN9rocsparseL20bsrxmvn_17_32_kernelILj29EfliaafEEvT2_20rocsparse_direction_NS_24const_host_device_scalarIT0_EES1_PKS1_PKT1_SA_S7_PKT3_PKT4_S5_PT5_21rocsparse_index_base_b
	.p2align	8
	.type	_ZN9rocsparseL20bsrxmvn_17_32_kernelILj29EfliaafEEvT2_20rocsparse_direction_NS_24const_host_device_scalarIT0_EES1_PKS1_PKT1_SA_S7_PKT3_PKT4_S5_PT5_21rocsparse_index_base_b,@function
_ZN9rocsparseL20bsrxmvn_17_32_kernelILj29EfliaafEEvT2_20rocsparse_direction_NS_24const_host_device_scalarIT0_EES1_PKS1_PKT1_SA_S7_PKT3_PKT4_S5_PT5_21rocsparse_index_base_b: ; @_ZN9rocsparseL20bsrxmvn_17_32_kernelILj29EfliaafEEvT2_20rocsparse_direction_NS_24const_host_device_scalarIT0_EES1_PKS1_PKT1_SA_S7_PKT3_PKT4_S5_PT5_21rocsparse_index_base_b
; %bb.0:
	s_load_dwordx2 s[18:19], s[4:5], 0x58
	s_load_dwordx2 s[14:15], s[4:5], 0x8
	;; [unrolled: 1-line block ×3, first 2 shown]
	s_waitcnt lgkmcnt(0)
	s_bitcmp1_b32 s19, 0
	s_cselect_b64 s[2:3], -1, 0
	s_xor_b64 s[0:1], s[2:3], -1
	s_and_b64 vcc, exec, s[2:3]
	s_cbranch_vccnz .LBB268_2
; %bb.1:
	s_load_dword s14, s[14:15], 0x0
.LBB268_2:
	s_andn2_b64 vcc, exec, s[0:1]
	s_cbranch_vccnz .LBB268_4
; %bb.3:
	s_load_dword s12, s[12:13], 0x0
.LBB268_4:
	s_waitcnt lgkmcnt(0)
	v_cmp_neq_f32_e64 s[0:1], s14, 0
	v_cmp_neq_f32_e64 s[2:3], s12, 1.0
	s_or_b64 s[0:1], s[0:1], s[2:3]
	s_andn2_b64 vcc, exec, s[0:1]
	s_cbranch_vccnz .LBB268_40
; %bb.5:
	s_load_dwordx4 s[0:3], s[4:5], 0x18
	s_load_dwordx2 s[8:9], s[4:5], 0x28
	s_waitcnt lgkmcnt(0)
	s_cmp_eq_u64 s[0:1], 0
	s_cbranch_scc1 .LBB268_7
; %bb.6:
	s_ashr_i32 s7, s6, 31
	s_lshl_b64 s[6:7], s[6:7], 2
	s_add_u32 s0, s0, s6
	s_addc_u32 s1, s1, s7
	s_load_dword s0, s[0:1], 0x0
	s_waitcnt lgkmcnt(0)
	s_sub_i32 s6, s0, s18
.LBB268_7:
	s_load_dword s7, s[4:5], 0x4
	s_load_dwordx2 s[16:17], s[4:5], 0x50
	v_mul_u32_u24_e32 v1, 0x8d4, v0
	v_mov_b32_e32 v2, 29
	v_mul_lo_u16_sdwa v2, v1, v2 dst_sel:DWORD dst_unused:UNUSED_PAD src0_sel:WORD_1 src1_sel:DWORD
	s_waitcnt lgkmcnt(0)
	s_cmp_eq_u32 s7, 1
	s_cselect_b64 s[0:1], -1, 0
	s_cmp_lg_u32 s7, 1
	s_cselect_b64 s[20:21], -1, 0
	s_ashr_i32 s7, s6, 31
	s_lshl_b64 s[10:11], s[6:7], 3
	s_add_u32 s2, s2, s10
	s_addc_u32 s3, s3, s11
	s_add_u32 s7, s2, 8
	s_addc_u32 s13, s3, 0
	;; [unrolled: 2-line block ×3, first 2 shown]
	s_cmp_eq_u64 s[8:9], 0
	s_cselect_b32 s9, s13, s11
	s_cselect_b32 s8, s7, s10
	s_load_dwordx2 s[22:23], s[8:9], 0x0
	s_load_dwordx2 s[24:25], s[2:3], 0x0
	v_sub_u16_e32 v9, v0, v2
	v_mov_b32_e32 v8, 0
	s_waitcnt lgkmcnt(0)
	v_mov_b32_e32 v2, s22
	v_mov_b32_e32 v3, s23
	v_cmp_ge_i64_e32 vcc, s[24:25], v[2:3]
	s_cbranch_vccnz .LBB268_12
; %bb.8:
	s_load_dwordx4 s[8:11], s[4:5], 0x30
	s_load_dwordx2 s[2:3], s[4:5], 0x40
	s_sub_u32 s4, s22, s18
	s_mov_b32 s7, 0xffff
	s_subb_u32 s5, s23, 0
	s_movk_i32 s13, 0x349
	v_and_b32_sdwa v1, s7, v1 dst_sel:DWORD dst_unused:UNUSED_PAD src0_sel:DWORD src1_sel:WORD_1
	v_subrev_u32_e32 v2, 29, v1
	v_cmp_gt_u32_e32 vcc, s13, v0
	s_sub_u32 s22, s24, s18
	v_cndmask_b32_e32 v1, v2, v1, vcc
	s_subb_u32 s23, s25, 0
	v_cndmask_b32_e64 v1, v9, v1, s[0:1]
	s_mul_i32 s0, s23, 0x349
	s_mul_hi_u32 s1, s22, 0x349
	s_add_i32 s1, s1, s0
	s_mul_i32 s0, s22, 0x349
	s_waitcnt lgkmcnt(0)
	s_add_u32 s0, s10, s0
	s_addc_u32 s1, s11, s1
	v_mov_b32_e32 v3, s1
	v_add_co_u32_e32 v2, vcc, s0, v0
	v_addc_co_u32_e32 v3, vcc, 0, v3, vcc
	s_movk_i32 s0, 0x348
	v_cmp_lt_u32_e32 vcc, s0, v0
	v_cndmask_b32_e64 v10, 0, 1, vcc
	v_mov_b32_e32 v4, s25
	v_add_co_u32_e32 v5, vcc, s24, v10
	v_addc_co_u32_e32 v6, vcc, 0, v4, vcc
	v_subrev_co_u32_e32 v4, vcc, s18, v5
	v_subbrev_co_u32_e32 v5, vcc, 0, v6, vcc
	v_lshlrev_b64 v[4:5], 2, v[4:5]
	v_mov_b32_e32 v6, s9
	v_add_co_u32_e32 v4, vcc, s8, v4
	v_addc_co_u32_e32 v5, vcc, v6, v5, vcc
	v_mov_b32_e32 v7, s5
	v_mov_b32_e32 v8, 0
	;; [unrolled: 1-line block ×3, first 2 shown]
	s_branch .LBB268_10
.LBB268_9:                              ;   in Loop: Header=BB268_10 Depth=1
	s_or_b64 exec, exec, s[0:1]
	s_add_u32 s22, s22, 1
	s_addc_u32 s23, s23, 0
	v_cmp_lt_i64_e32 vcc, s[22:23], v[6:7]
	v_add_co_u32_e64 v4, s[0:1], 4, v4
	v_addc_co_u32_e64 v5, s[0:1], 0, v5, s[0:1]
	s_cbranch_vccz .LBB268_12
.LBB268_10:                             ; =>This Inner Loop Header: Depth=1
	v_mov_b32_e32 v12, s23
	v_add_co_u32_e32 v11, vcc, s22, v10
	v_addc_co_u32_e32 v12, vcc, 0, v12, vcc
	v_cmp_gt_i64_e32 vcc, s[4:5], v[11:12]
	s_and_saveexec_b64 s[0:1], vcc
	s_cbranch_execz .LBB268_9
; %bb.11:                               ;   in Loop: Header=BB268_10 Depth=1
	global_load_dword v11, v[4:5], off
	global_load_sbyte v13, v[2:3], off
	s_waitcnt vmcnt(1)
	v_subrev_u32_e32 v11, s18, v11
	v_mad_u64_u32 v[11:12], s[8:9], v11, 29, v[1:2]
	v_mov_b32_e32 v12, s3
	v_ashrrev_i32_e32 v14, 31, v11
	v_add_co_u32_e32 v11, vcc, s2, v11
	v_addc_co_u32_e32 v12, vcc, v12, v14, vcc
	global_load_sbyte v11, v[11:12], off
	s_waitcnt vmcnt(1)
	v_cvt_f32_i32_e32 v12, v13
	v_add_co_u32_e32 v2, vcc, 0x349, v2
	v_addc_co_u32_e32 v3, vcc, 0, v3, vcc
	s_waitcnt vmcnt(0)
	v_cvt_f32_i32_e32 v11, v11
	v_fmac_f32_e32 v8, v12, v11
	s_branch .LBB268_9
.LBB268_12:
	v_lshlrev_b32_e32 v1, 2, v0
	s_and_b64 vcc, exec, s[20:21]
	ds_write_b32 v1, v8
	s_waitcnt lgkmcnt(0)
	s_barrier
	s_cbranch_vccz .LBB268_24
; %bb.13:
	v_cmp_gt_u16_e32 vcc, 13, v9
	s_and_saveexec_b64 s[0:1], vcc
	s_cbranch_execz .LBB268_15
; %bb.14:
	ds_read2_b32 v[2:3], v1 offset1:16
	s_waitcnt lgkmcnt(0)
	v_add_f32_e32 v2, v3, v2
	ds_write_b32 v1, v2
.LBB268_15:
	s_or_b64 exec, exec, s[0:1]
	v_cmp_gt_u16_e32 vcc, 8, v9
	s_waitcnt lgkmcnt(0)
	s_barrier
	s_and_saveexec_b64 s[0:1], vcc
	s_cbranch_execz .LBB268_17
; %bb.16:
	ds_read2_b32 v[2:3], v1 offset1:8
	s_waitcnt lgkmcnt(0)
	v_add_f32_e32 v2, v3, v2
	ds_write_b32 v1, v2
.LBB268_17:
	s_or_b64 exec, exec, s[0:1]
	v_cmp_gt_u16_e32 vcc, 4, v9
	s_waitcnt lgkmcnt(0)
	s_barrier
	;; [unrolled: 12-line block ×3, first 2 shown]
	s_and_saveexec_b64 s[0:1], vcc
	s_cbranch_execz .LBB268_21
; %bb.20:
	ds_read2_b32 v[2:3], v1 offset1:2
	s_waitcnt lgkmcnt(0)
	v_add_f32_e32 v2, v3, v2
	ds_write_b32 v1, v2
.LBB268_21:
	s_or_b64 exec, exec, s[0:1]
	v_cmp_gt_u32_e32 vcc, 29, v0
	v_mov_b32_e32 v2, v8
	s_waitcnt lgkmcnt(0)
	s_barrier
	s_and_saveexec_b64 s[0:1], vcc
	s_cbranch_execz .LBB268_23
; %bb.22:
	s_movk_i32 s2, 0x70
	v_mad_u32_u24 v2, v0, s2, v1
	ds_read2_b32 v[2:3], v2 offset1:1
	s_waitcnt lgkmcnt(0)
	v_add_f32_e32 v2, v2, v3
.LBB268_23:
	s_or_b64 exec, exec, s[0:1]
	s_branch .LBB268_36
.LBB268_24:
                                        ; implicit-def: $vgpr2
	s_cbranch_execz .LBB268_36
; %bb.25:
	s_movk_i32 s0, 0x179
	v_cmp_gt_u32_e32 vcc, s0, v0
	s_and_saveexec_b64 s[0:1], vcc
	s_cbranch_execz .LBB268_27
; %bb.26:
	ds_read_b32 v2, v1 offset:1856
	ds_read_b32 v3, v1
	s_waitcnt lgkmcnt(0)
	v_add_f32_e32 v2, v2, v3
	ds_write_b32 v1, v2
.LBB268_27:
	s_or_b64 exec, exec, s[0:1]
	s_movk_i32 s0, 0xe8
	v_cmp_gt_u32_e32 vcc, s0, v0
	s_waitcnt lgkmcnt(0)
	s_barrier
	s_and_saveexec_b64 s[0:1], vcc
	s_cbranch_execz .LBB268_29
; %bb.28:
	ds_read2_b32 v[2:3], v1 offset1:232
	s_waitcnt lgkmcnt(0)
	v_add_f32_e32 v2, v3, v2
	ds_write_b32 v1, v2
.LBB268_29:
	s_or_b64 exec, exec, s[0:1]
	s_movk_i32 s0, 0x74
	v_cmp_gt_u32_e32 vcc, s0, v0
	s_waitcnt lgkmcnt(0)
	s_barrier
	s_and_saveexec_b64 s[0:1], vcc
	s_cbranch_execz .LBB268_31
; %bb.30:
	ds_read2_b32 v[2:3], v1 offset1:116
	s_waitcnt lgkmcnt(0)
	v_add_f32_e32 v2, v3, v2
	ds_write_b32 v1, v2
.LBB268_31:
	s_or_b64 exec, exec, s[0:1]
	v_cmp_gt_u32_e32 vcc, 58, v0
	s_waitcnt lgkmcnt(0)
	s_barrier
	s_and_saveexec_b64 s[0:1], vcc
	s_cbranch_execz .LBB268_33
; %bb.32:
	ds_read2_b32 v[2:3], v1 offset1:58
	s_waitcnt lgkmcnt(0)
	v_add_f32_e32 v2, v3, v2
	ds_write_b32 v1, v2
.LBB268_33:
	s_or_b64 exec, exec, s[0:1]
	v_cmp_gt_u32_e32 vcc, 29, v0
	s_waitcnt lgkmcnt(0)
	s_and_saveexec_b64 s[0:1], vcc
	s_cbranch_execz .LBB268_35
; %bb.34:
	ds_read2_b32 v[1:2], v1 offset1:29
	s_waitcnt lgkmcnt(0)
	v_add_f32_e32 v8, v1, v2
.LBB268_35:
	s_or_b64 exec, exec, s[0:1]
	v_mov_b32_e32 v2, v8
.LBB268_36:
	v_cmp_gt_u32_e32 vcc, 29, v0
	s_and_saveexec_b64 s[0:1], vcc
	s_cbranch_execz .LBB268_40
; %bb.37:
	v_cmp_eq_f32_e64 s[0:1], s12, 0
	s_and_b64 vcc, exec, s[0:1]
	v_mul_f32_e32 v1, s14, v2
	s_cbranch_vccz .LBB268_41
; %bb.38:
	v_mad_u64_u32 v[2:3], s[0:1], s6, 29, v[0:1]
	v_mov_b32_e32 v3, 0
	v_mov_b32_e32 v4, s17
	v_lshlrev_b64 v[2:3], 2, v[2:3]
	v_add_co_u32_e32 v2, vcc, s16, v2
	v_addc_co_u32_e32 v3, vcc, v4, v3, vcc
	global_store_dword v[2:3], v1, off
	s_cbranch_execnz .LBB268_40
.LBB268_39:
	v_mad_u64_u32 v[2:3], s[0:1], s6, 29, v[0:1]
	v_mov_b32_e32 v3, 0
	v_mov_b32_e32 v0, s17
	v_lshlrev_b64 v[2:3], 2, v[2:3]
	v_add_co_u32_e32 v2, vcc, s16, v2
	v_addc_co_u32_e32 v3, vcc, v0, v3, vcc
	global_load_dword v0, v[2:3], off
	s_waitcnt vmcnt(0)
	v_fmac_f32_e32 v1, s12, v0
	global_store_dword v[2:3], v1, off
.LBB268_40:
	s_endpgm
.LBB268_41:
	s_branch .LBB268_39
	.section	.rodata,"a",@progbits
	.p2align	6, 0x0
	.amdhsa_kernel _ZN9rocsparseL20bsrxmvn_17_32_kernelILj29EfliaafEEvT2_20rocsparse_direction_NS_24const_host_device_scalarIT0_EES1_PKS1_PKT1_SA_S7_PKT3_PKT4_S5_PT5_21rocsparse_index_base_b
		.amdhsa_group_segment_fixed_size 3364
		.amdhsa_private_segment_fixed_size 0
		.amdhsa_kernarg_size 96
		.amdhsa_user_sgpr_count 6
		.amdhsa_user_sgpr_private_segment_buffer 1
		.amdhsa_user_sgpr_dispatch_ptr 0
		.amdhsa_user_sgpr_queue_ptr 0
		.amdhsa_user_sgpr_kernarg_segment_ptr 1
		.amdhsa_user_sgpr_dispatch_id 0
		.amdhsa_user_sgpr_flat_scratch_init 0
		.amdhsa_user_sgpr_private_segment_size 0
		.amdhsa_uses_dynamic_stack 0
		.amdhsa_system_sgpr_private_segment_wavefront_offset 0
		.amdhsa_system_sgpr_workgroup_id_x 1
		.amdhsa_system_sgpr_workgroup_id_y 0
		.amdhsa_system_sgpr_workgroup_id_z 0
		.amdhsa_system_sgpr_workgroup_info 0
		.amdhsa_system_vgpr_workitem_id 0
		.amdhsa_next_free_vgpr 33
		.amdhsa_next_free_sgpr 77
		.amdhsa_reserve_vcc 1
		.amdhsa_reserve_flat_scratch 0
		.amdhsa_float_round_mode_32 0
		.amdhsa_float_round_mode_16_64 0
		.amdhsa_float_denorm_mode_32 3
		.amdhsa_float_denorm_mode_16_64 3
		.amdhsa_dx10_clamp 1
		.amdhsa_ieee_mode 1
		.amdhsa_fp16_overflow 0
		.amdhsa_exception_fp_ieee_invalid_op 0
		.amdhsa_exception_fp_denorm_src 0
		.amdhsa_exception_fp_ieee_div_zero 0
		.amdhsa_exception_fp_ieee_overflow 0
		.amdhsa_exception_fp_ieee_underflow 0
		.amdhsa_exception_fp_ieee_inexact 0
		.amdhsa_exception_int_div_zero 0
	.end_amdhsa_kernel
	.section	.text._ZN9rocsparseL20bsrxmvn_17_32_kernelILj29EfliaafEEvT2_20rocsparse_direction_NS_24const_host_device_scalarIT0_EES1_PKS1_PKT1_SA_S7_PKT3_PKT4_S5_PT5_21rocsparse_index_base_b,"axG",@progbits,_ZN9rocsparseL20bsrxmvn_17_32_kernelILj29EfliaafEEvT2_20rocsparse_direction_NS_24const_host_device_scalarIT0_EES1_PKS1_PKT1_SA_S7_PKT3_PKT4_S5_PT5_21rocsparse_index_base_b,comdat
.Lfunc_end268:
	.size	_ZN9rocsparseL20bsrxmvn_17_32_kernelILj29EfliaafEEvT2_20rocsparse_direction_NS_24const_host_device_scalarIT0_EES1_PKS1_PKT1_SA_S7_PKT3_PKT4_S5_PT5_21rocsparse_index_base_b, .Lfunc_end268-_ZN9rocsparseL20bsrxmvn_17_32_kernelILj29EfliaafEEvT2_20rocsparse_direction_NS_24const_host_device_scalarIT0_EES1_PKS1_PKT1_SA_S7_PKT3_PKT4_S5_PT5_21rocsparse_index_base_b
                                        ; -- End function
	.set _ZN9rocsparseL20bsrxmvn_17_32_kernelILj29EfliaafEEvT2_20rocsparse_direction_NS_24const_host_device_scalarIT0_EES1_PKS1_PKT1_SA_S7_PKT3_PKT4_S5_PT5_21rocsparse_index_base_b.num_vgpr, 15
	.set _ZN9rocsparseL20bsrxmvn_17_32_kernelILj29EfliaafEEvT2_20rocsparse_direction_NS_24const_host_device_scalarIT0_EES1_PKS1_PKT1_SA_S7_PKT3_PKT4_S5_PT5_21rocsparse_index_base_b.num_agpr, 0
	.set _ZN9rocsparseL20bsrxmvn_17_32_kernelILj29EfliaafEEvT2_20rocsparse_direction_NS_24const_host_device_scalarIT0_EES1_PKS1_PKT1_SA_S7_PKT3_PKT4_S5_PT5_21rocsparse_index_base_b.numbered_sgpr, 26
	.set _ZN9rocsparseL20bsrxmvn_17_32_kernelILj29EfliaafEEvT2_20rocsparse_direction_NS_24const_host_device_scalarIT0_EES1_PKS1_PKT1_SA_S7_PKT3_PKT4_S5_PT5_21rocsparse_index_base_b.num_named_barrier, 0
	.set _ZN9rocsparseL20bsrxmvn_17_32_kernelILj29EfliaafEEvT2_20rocsparse_direction_NS_24const_host_device_scalarIT0_EES1_PKS1_PKT1_SA_S7_PKT3_PKT4_S5_PT5_21rocsparse_index_base_b.private_seg_size, 0
	.set _ZN9rocsparseL20bsrxmvn_17_32_kernelILj29EfliaafEEvT2_20rocsparse_direction_NS_24const_host_device_scalarIT0_EES1_PKS1_PKT1_SA_S7_PKT3_PKT4_S5_PT5_21rocsparse_index_base_b.uses_vcc, 1
	.set _ZN9rocsparseL20bsrxmvn_17_32_kernelILj29EfliaafEEvT2_20rocsparse_direction_NS_24const_host_device_scalarIT0_EES1_PKS1_PKT1_SA_S7_PKT3_PKT4_S5_PT5_21rocsparse_index_base_b.uses_flat_scratch, 0
	.set _ZN9rocsparseL20bsrxmvn_17_32_kernelILj29EfliaafEEvT2_20rocsparse_direction_NS_24const_host_device_scalarIT0_EES1_PKS1_PKT1_SA_S7_PKT3_PKT4_S5_PT5_21rocsparse_index_base_b.has_dyn_sized_stack, 0
	.set _ZN9rocsparseL20bsrxmvn_17_32_kernelILj29EfliaafEEvT2_20rocsparse_direction_NS_24const_host_device_scalarIT0_EES1_PKS1_PKT1_SA_S7_PKT3_PKT4_S5_PT5_21rocsparse_index_base_b.has_recursion, 0
	.set _ZN9rocsparseL20bsrxmvn_17_32_kernelILj29EfliaafEEvT2_20rocsparse_direction_NS_24const_host_device_scalarIT0_EES1_PKS1_PKT1_SA_S7_PKT3_PKT4_S5_PT5_21rocsparse_index_base_b.has_indirect_call, 0
	.section	.AMDGPU.csdata,"",@progbits
; Kernel info:
; codeLenInByte = 1316
; TotalNumSgprs: 30
; NumVgprs: 15
; ScratchSize: 0
; MemoryBound: 0
; FloatMode: 240
; IeeeMode: 1
; LDSByteSize: 3364 bytes/workgroup (compile time only)
; SGPRBlocks: 10
; VGPRBlocks: 8
; NumSGPRsForWavesPerEU: 81
; NumVGPRsForWavesPerEU: 33
; Occupancy: 7
; WaveLimiterHint : 1
; COMPUTE_PGM_RSRC2:SCRATCH_EN: 0
; COMPUTE_PGM_RSRC2:USER_SGPR: 6
; COMPUTE_PGM_RSRC2:TRAP_HANDLER: 0
; COMPUTE_PGM_RSRC2:TGID_X_EN: 1
; COMPUTE_PGM_RSRC2:TGID_Y_EN: 0
; COMPUTE_PGM_RSRC2:TGID_Z_EN: 0
; COMPUTE_PGM_RSRC2:TIDIG_COMP_CNT: 0
	.section	.text._ZN9rocsparseL20bsrxmvn_17_32_kernelILj30EfliaafEEvT2_20rocsparse_direction_NS_24const_host_device_scalarIT0_EES1_PKS1_PKT1_SA_S7_PKT3_PKT4_S5_PT5_21rocsparse_index_base_b,"axG",@progbits,_ZN9rocsparseL20bsrxmvn_17_32_kernelILj30EfliaafEEvT2_20rocsparse_direction_NS_24const_host_device_scalarIT0_EES1_PKS1_PKT1_SA_S7_PKT3_PKT4_S5_PT5_21rocsparse_index_base_b,comdat
	.globl	_ZN9rocsparseL20bsrxmvn_17_32_kernelILj30EfliaafEEvT2_20rocsparse_direction_NS_24const_host_device_scalarIT0_EES1_PKS1_PKT1_SA_S7_PKT3_PKT4_S5_PT5_21rocsparse_index_base_b ; -- Begin function _ZN9rocsparseL20bsrxmvn_17_32_kernelILj30EfliaafEEvT2_20rocsparse_direction_NS_24const_host_device_scalarIT0_EES1_PKS1_PKT1_SA_S7_PKT3_PKT4_S5_PT5_21rocsparse_index_base_b
	.p2align	8
	.type	_ZN9rocsparseL20bsrxmvn_17_32_kernelILj30EfliaafEEvT2_20rocsparse_direction_NS_24const_host_device_scalarIT0_EES1_PKS1_PKT1_SA_S7_PKT3_PKT4_S5_PT5_21rocsparse_index_base_b,@function
_ZN9rocsparseL20bsrxmvn_17_32_kernelILj30EfliaafEEvT2_20rocsparse_direction_NS_24const_host_device_scalarIT0_EES1_PKS1_PKT1_SA_S7_PKT3_PKT4_S5_PT5_21rocsparse_index_base_b: ; @_ZN9rocsparseL20bsrxmvn_17_32_kernelILj30EfliaafEEvT2_20rocsparse_direction_NS_24const_host_device_scalarIT0_EES1_PKS1_PKT1_SA_S7_PKT3_PKT4_S5_PT5_21rocsparse_index_base_b
; %bb.0:
	s_load_dwordx2 s[18:19], s[4:5], 0x58
	s_load_dwordx2 s[14:15], s[4:5], 0x8
	s_load_dwordx2 s[12:13], s[4:5], 0x48
	s_waitcnt lgkmcnt(0)
	s_bitcmp1_b32 s19, 0
	s_cselect_b64 s[2:3], -1, 0
	s_xor_b64 s[0:1], s[2:3], -1
	s_and_b64 vcc, exec, s[2:3]
	s_cbranch_vccnz .LBB269_2
; %bb.1:
	s_load_dword s14, s[14:15], 0x0
.LBB269_2:
	s_andn2_b64 vcc, exec, s[0:1]
	s_cbranch_vccnz .LBB269_4
; %bb.3:
	s_load_dword s12, s[12:13], 0x0
.LBB269_4:
	s_waitcnt lgkmcnt(0)
	v_cmp_neq_f32_e64 s[0:1], s14, 0
	v_cmp_neq_f32_e64 s[2:3], s12, 1.0
	s_or_b64 s[0:1], s[0:1], s[2:3]
	s_andn2_b64 vcc, exec, s[0:1]
	s_cbranch_vccnz .LBB269_40
; %bb.5:
	s_load_dwordx4 s[0:3], s[4:5], 0x18
	s_load_dwordx2 s[8:9], s[4:5], 0x28
	s_waitcnt lgkmcnt(0)
	s_cmp_eq_u64 s[0:1], 0
	s_cbranch_scc1 .LBB269_7
; %bb.6:
	s_ashr_i32 s7, s6, 31
	s_lshl_b64 s[6:7], s[6:7], 2
	s_add_u32 s0, s0, s6
	s_addc_u32 s1, s1, s7
	s_load_dword s0, s[0:1], 0x0
	s_waitcnt lgkmcnt(0)
	s_sub_i32 s6, s0, s18
.LBB269_7:
	s_load_dword s7, s[4:5], 0x4
	s_load_dwordx2 s[16:17], s[4:5], 0x50
	v_mul_u32_u24_e32 v1, 0x889, v0
	v_mov_b32_e32 v2, 30
	v_mul_lo_u16_sdwa v2, v1, v2 dst_sel:DWORD dst_unused:UNUSED_PAD src0_sel:WORD_1 src1_sel:DWORD
	s_waitcnt lgkmcnt(0)
	s_cmp_eq_u32 s7, 1
	s_cselect_b64 s[0:1], -1, 0
	s_cmp_lg_u32 s7, 1
	s_cselect_b64 s[20:21], -1, 0
	s_ashr_i32 s7, s6, 31
	s_lshl_b64 s[10:11], s[6:7], 3
	s_add_u32 s2, s2, s10
	s_addc_u32 s3, s3, s11
	s_add_u32 s7, s2, 8
	s_addc_u32 s13, s3, 0
	;; [unrolled: 2-line block ×3, first 2 shown]
	s_cmp_eq_u64 s[8:9], 0
	s_cselect_b32 s9, s13, s11
	s_cselect_b32 s8, s7, s10
	s_load_dwordx2 s[22:23], s[8:9], 0x0
	s_load_dwordx2 s[24:25], s[2:3], 0x0
	v_sub_u16_e32 v9, v0, v2
	v_mov_b32_e32 v8, 0
	s_waitcnt lgkmcnt(0)
	v_mov_b32_e32 v2, s22
	v_mov_b32_e32 v3, s23
	v_cmp_ge_i64_e32 vcc, s[24:25], v[2:3]
	s_cbranch_vccnz .LBB269_12
; %bb.8:
	s_load_dwordx4 s[8:11], s[4:5], 0x30
	s_load_dwordx2 s[2:3], s[4:5], 0x40
	s_sub_u32 s4, s22, s18
	s_mov_b32 s7, 0xffff
	s_subb_u32 s5, s23, 0
	s_movk_i32 s13, 0x384
	v_and_b32_sdwa v1, s7, v1 dst_sel:DWORD dst_unused:UNUSED_PAD src0_sel:DWORD src1_sel:WORD_1
	v_subrev_u32_e32 v2, 30, v1
	v_cmp_gt_u32_e32 vcc, s13, v0
	s_sub_u32 s22, s24, s18
	v_cndmask_b32_e32 v1, v2, v1, vcc
	s_subb_u32 s23, s25, 0
	v_cndmask_b32_e64 v1, v9, v1, s[0:1]
	s_mul_i32 s0, s23, 0x384
	s_mul_hi_u32 s1, s22, 0x384
	s_add_i32 s1, s1, s0
	s_mul_i32 s0, s22, 0x384
	s_waitcnt lgkmcnt(0)
	s_add_u32 s0, s10, s0
	s_addc_u32 s1, s11, s1
	v_mov_b32_e32 v3, s1
	v_add_co_u32_e32 v2, vcc, s0, v0
	v_addc_co_u32_e32 v3, vcc, 0, v3, vcc
	s_movk_i32 s0, 0x383
	v_cmp_lt_u32_e32 vcc, s0, v0
	v_cndmask_b32_e64 v10, 0, 1, vcc
	v_mov_b32_e32 v4, s25
	v_add_co_u32_e32 v5, vcc, s24, v10
	v_addc_co_u32_e32 v6, vcc, 0, v4, vcc
	v_subrev_co_u32_e32 v4, vcc, s18, v5
	v_subbrev_co_u32_e32 v5, vcc, 0, v6, vcc
	v_lshlrev_b64 v[4:5], 2, v[4:5]
	v_mov_b32_e32 v6, s9
	v_add_co_u32_e32 v4, vcc, s8, v4
	v_addc_co_u32_e32 v5, vcc, v6, v5, vcc
	v_mov_b32_e32 v7, s5
	v_mov_b32_e32 v8, 0
	;; [unrolled: 1-line block ×3, first 2 shown]
	s_branch .LBB269_10
.LBB269_9:                              ;   in Loop: Header=BB269_10 Depth=1
	s_or_b64 exec, exec, s[0:1]
	s_add_u32 s22, s22, 1
	s_addc_u32 s23, s23, 0
	v_cmp_lt_i64_e32 vcc, s[22:23], v[6:7]
	v_add_co_u32_e64 v4, s[0:1], 4, v4
	v_addc_co_u32_e64 v5, s[0:1], 0, v5, s[0:1]
	s_cbranch_vccz .LBB269_12
.LBB269_10:                             ; =>This Inner Loop Header: Depth=1
	v_mov_b32_e32 v12, s23
	v_add_co_u32_e32 v11, vcc, s22, v10
	v_addc_co_u32_e32 v12, vcc, 0, v12, vcc
	v_cmp_gt_i64_e32 vcc, s[4:5], v[11:12]
	s_and_saveexec_b64 s[0:1], vcc
	s_cbranch_execz .LBB269_9
; %bb.11:                               ;   in Loop: Header=BB269_10 Depth=1
	global_load_dword v11, v[4:5], off
	global_load_sbyte v13, v[2:3], off
	s_waitcnt vmcnt(1)
	v_subrev_u32_e32 v11, s18, v11
	v_mad_u64_u32 v[11:12], s[8:9], v11, 30, v[1:2]
	v_mov_b32_e32 v12, s3
	v_ashrrev_i32_e32 v14, 31, v11
	v_add_co_u32_e32 v11, vcc, s2, v11
	v_addc_co_u32_e32 v12, vcc, v12, v14, vcc
	global_load_sbyte v11, v[11:12], off
	s_waitcnt vmcnt(1)
	v_cvt_f32_i32_e32 v12, v13
	v_add_co_u32_e32 v2, vcc, 0x384, v2
	v_addc_co_u32_e32 v3, vcc, 0, v3, vcc
	s_waitcnt vmcnt(0)
	v_cvt_f32_i32_e32 v11, v11
	v_fmac_f32_e32 v8, v12, v11
	s_branch .LBB269_9
.LBB269_12:
	v_lshlrev_b32_e32 v1, 2, v0
	s_and_b64 vcc, exec, s[20:21]
	ds_write_b32 v1, v8
	s_waitcnt lgkmcnt(0)
	s_barrier
	s_cbranch_vccz .LBB269_24
; %bb.13:
	v_cmp_gt_u16_e32 vcc, 14, v9
	s_and_saveexec_b64 s[0:1], vcc
	s_cbranch_execz .LBB269_15
; %bb.14:
	ds_read2_b32 v[2:3], v1 offset1:16
	s_waitcnt lgkmcnt(0)
	v_add_f32_e32 v2, v3, v2
	ds_write_b32 v1, v2
.LBB269_15:
	s_or_b64 exec, exec, s[0:1]
	v_cmp_gt_u16_e32 vcc, 8, v9
	s_waitcnt lgkmcnt(0)
	s_barrier
	s_and_saveexec_b64 s[0:1], vcc
	s_cbranch_execz .LBB269_17
; %bb.16:
	ds_read2_b32 v[2:3], v1 offset1:8
	s_waitcnt lgkmcnt(0)
	v_add_f32_e32 v2, v3, v2
	ds_write_b32 v1, v2
.LBB269_17:
	s_or_b64 exec, exec, s[0:1]
	v_cmp_gt_u16_e32 vcc, 4, v9
	s_waitcnt lgkmcnt(0)
	s_barrier
	;; [unrolled: 12-line block ×3, first 2 shown]
	s_and_saveexec_b64 s[0:1], vcc
	s_cbranch_execz .LBB269_21
; %bb.20:
	ds_read2_b32 v[2:3], v1 offset1:2
	s_waitcnt lgkmcnt(0)
	v_add_f32_e32 v2, v3, v2
	ds_write_b32 v1, v2
.LBB269_21:
	s_or_b64 exec, exec, s[0:1]
	v_cmp_gt_u32_e32 vcc, 30, v0
	v_mov_b32_e32 v2, v8
	s_waitcnt lgkmcnt(0)
	s_barrier
	s_and_saveexec_b64 s[0:1], vcc
	s_cbranch_execz .LBB269_23
; %bb.22:
	s_movk_i32 s2, 0x74
	v_mad_u32_u24 v2, v0, s2, v1
	ds_read_b64 v[2:3], v2
	s_waitcnt lgkmcnt(0)
	v_add_f32_e32 v2, v2, v3
.LBB269_23:
	s_or_b64 exec, exec, s[0:1]
	s_branch .LBB269_36
.LBB269_24:
                                        ; implicit-def: $vgpr2
	s_cbranch_execz .LBB269_36
; %bb.25:
	s_movk_i32 s0, 0x1a4
	v_cmp_gt_u32_e32 vcc, s0, v0
	s_and_saveexec_b64 s[0:1], vcc
	s_cbranch_execz .LBB269_27
; %bb.26:
	ds_read_b32 v2, v1 offset:1920
	ds_read_b32 v3, v1
	s_waitcnt lgkmcnt(0)
	v_add_f32_e32 v2, v2, v3
	ds_write_b32 v1, v2
.LBB269_27:
	s_or_b64 exec, exec, s[0:1]
	s_movk_i32 s0, 0xf0
	v_cmp_gt_u32_e32 vcc, s0, v0
	s_waitcnt lgkmcnt(0)
	s_barrier
	s_and_saveexec_b64 s[0:1], vcc
	s_cbranch_execz .LBB269_29
; %bb.28:
	ds_read2_b32 v[2:3], v1 offset1:240
	s_waitcnt lgkmcnt(0)
	v_add_f32_e32 v2, v3, v2
	ds_write_b32 v1, v2
.LBB269_29:
	s_or_b64 exec, exec, s[0:1]
	s_movk_i32 s0, 0x78
	v_cmp_gt_u32_e32 vcc, s0, v0
	s_waitcnt lgkmcnt(0)
	s_barrier
	s_and_saveexec_b64 s[0:1], vcc
	s_cbranch_execz .LBB269_31
; %bb.30:
	ds_read2_b32 v[2:3], v1 offset1:120
	s_waitcnt lgkmcnt(0)
	v_add_f32_e32 v2, v3, v2
	ds_write_b32 v1, v2
.LBB269_31:
	s_or_b64 exec, exec, s[0:1]
	v_cmp_gt_u32_e32 vcc, 60, v0
	s_waitcnt lgkmcnt(0)
	s_barrier
	s_and_saveexec_b64 s[0:1], vcc
	s_cbranch_execz .LBB269_33
; %bb.32:
	ds_read2_b32 v[2:3], v1 offset1:60
	s_waitcnt lgkmcnt(0)
	v_add_f32_e32 v2, v3, v2
	ds_write_b32 v1, v2
.LBB269_33:
	s_or_b64 exec, exec, s[0:1]
	v_cmp_gt_u32_e32 vcc, 30, v0
	s_waitcnt lgkmcnt(0)
	s_and_saveexec_b64 s[0:1], vcc
	s_cbranch_execz .LBB269_35
; %bb.34:
	ds_read2_b32 v[1:2], v1 offset1:30
	s_waitcnt lgkmcnt(0)
	v_add_f32_e32 v8, v1, v2
.LBB269_35:
	s_or_b64 exec, exec, s[0:1]
	v_mov_b32_e32 v2, v8
.LBB269_36:
	v_cmp_gt_u32_e32 vcc, 30, v0
	s_and_saveexec_b64 s[0:1], vcc
	s_cbranch_execz .LBB269_40
; %bb.37:
	v_cmp_eq_f32_e64 s[0:1], s12, 0
	s_and_b64 vcc, exec, s[0:1]
	v_mul_f32_e32 v1, s14, v2
	s_cbranch_vccz .LBB269_41
; %bb.38:
	v_mad_u64_u32 v[2:3], s[0:1], s6, 30, v[0:1]
	v_mov_b32_e32 v3, 0
	v_mov_b32_e32 v4, s17
	v_lshlrev_b64 v[2:3], 2, v[2:3]
	v_add_co_u32_e32 v2, vcc, s16, v2
	v_addc_co_u32_e32 v3, vcc, v4, v3, vcc
	global_store_dword v[2:3], v1, off
	s_cbranch_execnz .LBB269_40
.LBB269_39:
	v_mad_u64_u32 v[2:3], s[0:1], s6, 30, v[0:1]
	v_mov_b32_e32 v3, 0
	v_mov_b32_e32 v0, s17
	v_lshlrev_b64 v[2:3], 2, v[2:3]
	v_add_co_u32_e32 v2, vcc, s16, v2
	v_addc_co_u32_e32 v3, vcc, v0, v3, vcc
	global_load_dword v0, v[2:3], off
	s_waitcnt vmcnt(0)
	v_fmac_f32_e32 v1, s12, v0
	global_store_dword v[2:3], v1, off
.LBB269_40:
	s_endpgm
.LBB269_41:
	s_branch .LBB269_39
	.section	.rodata,"a",@progbits
	.p2align	6, 0x0
	.amdhsa_kernel _ZN9rocsparseL20bsrxmvn_17_32_kernelILj30EfliaafEEvT2_20rocsparse_direction_NS_24const_host_device_scalarIT0_EES1_PKS1_PKT1_SA_S7_PKT3_PKT4_S5_PT5_21rocsparse_index_base_b
		.amdhsa_group_segment_fixed_size 3600
		.amdhsa_private_segment_fixed_size 0
		.amdhsa_kernarg_size 96
		.amdhsa_user_sgpr_count 6
		.amdhsa_user_sgpr_private_segment_buffer 1
		.amdhsa_user_sgpr_dispatch_ptr 0
		.amdhsa_user_sgpr_queue_ptr 0
		.amdhsa_user_sgpr_kernarg_segment_ptr 1
		.amdhsa_user_sgpr_dispatch_id 0
		.amdhsa_user_sgpr_flat_scratch_init 0
		.amdhsa_user_sgpr_private_segment_size 0
		.amdhsa_uses_dynamic_stack 0
		.amdhsa_system_sgpr_private_segment_wavefront_offset 0
		.amdhsa_system_sgpr_workgroup_id_x 1
		.amdhsa_system_sgpr_workgroup_id_y 0
		.amdhsa_system_sgpr_workgroup_id_z 0
		.amdhsa_system_sgpr_workgroup_info 0
		.amdhsa_system_vgpr_workitem_id 0
		.amdhsa_next_free_vgpr 29
		.amdhsa_next_free_sgpr 61
		.amdhsa_reserve_vcc 1
		.amdhsa_reserve_flat_scratch 0
		.amdhsa_float_round_mode_32 0
		.amdhsa_float_round_mode_16_64 0
		.amdhsa_float_denorm_mode_32 3
		.amdhsa_float_denorm_mode_16_64 3
		.amdhsa_dx10_clamp 1
		.amdhsa_ieee_mode 1
		.amdhsa_fp16_overflow 0
		.amdhsa_exception_fp_ieee_invalid_op 0
		.amdhsa_exception_fp_denorm_src 0
		.amdhsa_exception_fp_ieee_div_zero 0
		.amdhsa_exception_fp_ieee_overflow 0
		.amdhsa_exception_fp_ieee_underflow 0
		.amdhsa_exception_fp_ieee_inexact 0
		.amdhsa_exception_int_div_zero 0
	.end_amdhsa_kernel
	.section	.text._ZN9rocsparseL20bsrxmvn_17_32_kernelILj30EfliaafEEvT2_20rocsparse_direction_NS_24const_host_device_scalarIT0_EES1_PKS1_PKT1_SA_S7_PKT3_PKT4_S5_PT5_21rocsparse_index_base_b,"axG",@progbits,_ZN9rocsparseL20bsrxmvn_17_32_kernelILj30EfliaafEEvT2_20rocsparse_direction_NS_24const_host_device_scalarIT0_EES1_PKS1_PKT1_SA_S7_PKT3_PKT4_S5_PT5_21rocsparse_index_base_b,comdat
.Lfunc_end269:
	.size	_ZN9rocsparseL20bsrxmvn_17_32_kernelILj30EfliaafEEvT2_20rocsparse_direction_NS_24const_host_device_scalarIT0_EES1_PKS1_PKT1_SA_S7_PKT3_PKT4_S5_PT5_21rocsparse_index_base_b, .Lfunc_end269-_ZN9rocsparseL20bsrxmvn_17_32_kernelILj30EfliaafEEvT2_20rocsparse_direction_NS_24const_host_device_scalarIT0_EES1_PKS1_PKT1_SA_S7_PKT3_PKT4_S5_PT5_21rocsparse_index_base_b
                                        ; -- End function
	.set _ZN9rocsparseL20bsrxmvn_17_32_kernelILj30EfliaafEEvT2_20rocsparse_direction_NS_24const_host_device_scalarIT0_EES1_PKS1_PKT1_SA_S7_PKT3_PKT4_S5_PT5_21rocsparse_index_base_b.num_vgpr, 15
	.set _ZN9rocsparseL20bsrxmvn_17_32_kernelILj30EfliaafEEvT2_20rocsparse_direction_NS_24const_host_device_scalarIT0_EES1_PKS1_PKT1_SA_S7_PKT3_PKT4_S5_PT5_21rocsparse_index_base_b.num_agpr, 0
	.set _ZN9rocsparseL20bsrxmvn_17_32_kernelILj30EfliaafEEvT2_20rocsparse_direction_NS_24const_host_device_scalarIT0_EES1_PKS1_PKT1_SA_S7_PKT3_PKT4_S5_PT5_21rocsparse_index_base_b.numbered_sgpr, 26
	.set _ZN9rocsparseL20bsrxmvn_17_32_kernelILj30EfliaafEEvT2_20rocsparse_direction_NS_24const_host_device_scalarIT0_EES1_PKS1_PKT1_SA_S7_PKT3_PKT4_S5_PT5_21rocsparse_index_base_b.num_named_barrier, 0
	.set _ZN9rocsparseL20bsrxmvn_17_32_kernelILj30EfliaafEEvT2_20rocsparse_direction_NS_24const_host_device_scalarIT0_EES1_PKS1_PKT1_SA_S7_PKT3_PKT4_S5_PT5_21rocsparse_index_base_b.private_seg_size, 0
	.set _ZN9rocsparseL20bsrxmvn_17_32_kernelILj30EfliaafEEvT2_20rocsparse_direction_NS_24const_host_device_scalarIT0_EES1_PKS1_PKT1_SA_S7_PKT3_PKT4_S5_PT5_21rocsparse_index_base_b.uses_vcc, 1
	.set _ZN9rocsparseL20bsrxmvn_17_32_kernelILj30EfliaafEEvT2_20rocsparse_direction_NS_24const_host_device_scalarIT0_EES1_PKS1_PKT1_SA_S7_PKT3_PKT4_S5_PT5_21rocsparse_index_base_b.uses_flat_scratch, 0
	.set _ZN9rocsparseL20bsrxmvn_17_32_kernelILj30EfliaafEEvT2_20rocsparse_direction_NS_24const_host_device_scalarIT0_EES1_PKS1_PKT1_SA_S7_PKT3_PKT4_S5_PT5_21rocsparse_index_base_b.has_dyn_sized_stack, 0
	.set _ZN9rocsparseL20bsrxmvn_17_32_kernelILj30EfliaafEEvT2_20rocsparse_direction_NS_24const_host_device_scalarIT0_EES1_PKS1_PKT1_SA_S7_PKT3_PKT4_S5_PT5_21rocsparse_index_base_b.has_recursion, 0
	.set _ZN9rocsparseL20bsrxmvn_17_32_kernelILj30EfliaafEEvT2_20rocsparse_direction_NS_24const_host_device_scalarIT0_EES1_PKS1_PKT1_SA_S7_PKT3_PKT4_S5_PT5_21rocsparse_index_base_b.has_indirect_call, 0
	.section	.AMDGPU.csdata,"",@progbits
; Kernel info:
; codeLenInByte = 1316
; TotalNumSgprs: 30
; NumVgprs: 15
; ScratchSize: 0
; MemoryBound: 0
; FloatMode: 240
; IeeeMode: 1
; LDSByteSize: 3600 bytes/workgroup (compile time only)
; SGPRBlocks: 8
; VGPRBlocks: 7
; NumSGPRsForWavesPerEU: 65
; NumVGPRsForWavesPerEU: 29
; Occupancy: 8
; WaveLimiterHint : 1
; COMPUTE_PGM_RSRC2:SCRATCH_EN: 0
; COMPUTE_PGM_RSRC2:USER_SGPR: 6
; COMPUTE_PGM_RSRC2:TRAP_HANDLER: 0
; COMPUTE_PGM_RSRC2:TGID_X_EN: 1
; COMPUTE_PGM_RSRC2:TGID_Y_EN: 0
; COMPUTE_PGM_RSRC2:TGID_Z_EN: 0
; COMPUTE_PGM_RSRC2:TIDIG_COMP_CNT: 0
	.section	.text._ZN9rocsparseL20bsrxmvn_17_32_kernelILj31EfliaafEEvT2_20rocsparse_direction_NS_24const_host_device_scalarIT0_EES1_PKS1_PKT1_SA_S7_PKT3_PKT4_S5_PT5_21rocsparse_index_base_b,"axG",@progbits,_ZN9rocsparseL20bsrxmvn_17_32_kernelILj31EfliaafEEvT2_20rocsparse_direction_NS_24const_host_device_scalarIT0_EES1_PKS1_PKT1_SA_S7_PKT3_PKT4_S5_PT5_21rocsparse_index_base_b,comdat
	.globl	_ZN9rocsparseL20bsrxmvn_17_32_kernelILj31EfliaafEEvT2_20rocsparse_direction_NS_24const_host_device_scalarIT0_EES1_PKS1_PKT1_SA_S7_PKT3_PKT4_S5_PT5_21rocsparse_index_base_b ; -- Begin function _ZN9rocsparseL20bsrxmvn_17_32_kernelILj31EfliaafEEvT2_20rocsparse_direction_NS_24const_host_device_scalarIT0_EES1_PKS1_PKT1_SA_S7_PKT3_PKT4_S5_PT5_21rocsparse_index_base_b
	.p2align	8
	.type	_ZN9rocsparseL20bsrxmvn_17_32_kernelILj31EfliaafEEvT2_20rocsparse_direction_NS_24const_host_device_scalarIT0_EES1_PKS1_PKT1_SA_S7_PKT3_PKT4_S5_PT5_21rocsparse_index_base_b,@function
_ZN9rocsparseL20bsrxmvn_17_32_kernelILj31EfliaafEEvT2_20rocsparse_direction_NS_24const_host_device_scalarIT0_EES1_PKS1_PKT1_SA_S7_PKT3_PKT4_S5_PT5_21rocsparse_index_base_b: ; @_ZN9rocsparseL20bsrxmvn_17_32_kernelILj31EfliaafEEvT2_20rocsparse_direction_NS_24const_host_device_scalarIT0_EES1_PKS1_PKT1_SA_S7_PKT3_PKT4_S5_PT5_21rocsparse_index_base_b
; %bb.0:
	s_load_dwordx2 s[18:19], s[4:5], 0x58
	s_load_dwordx2 s[14:15], s[4:5], 0x8
	;; [unrolled: 1-line block ×3, first 2 shown]
	s_waitcnt lgkmcnt(0)
	s_bitcmp1_b32 s19, 0
	s_cselect_b64 s[2:3], -1, 0
	s_xor_b64 s[0:1], s[2:3], -1
	s_and_b64 vcc, exec, s[2:3]
	s_cbranch_vccnz .LBB270_2
; %bb.1:
	s_load_dword s14, s[14:15], 0x0
.LBB270_2:
	s_andn2_b64 vcc, exec, s[0:1]
	s_cbranch_vccnz .LBB270_4
; %bb.3:
	s_load_dword s12, s[12:13], 0x0
.LBB270_4:
	s_waitcnt lgkmcnt(0)
	v_cmp_neq_f32_e64 s[0:1], s14, 0
	v_cmp_neq_f32_e64 s[2:3], s12, 1.0
	s_or_b64 s[0:1], s[0:1], s[2:3]
	s_andn2_b64 vcc, exec, s[0:1]
	s_cbranch_vccnz .LBB270_40
; %bb.5:
	s_load_dwordx4 s[0:3], s[4:5], 0x18
	s_load_dwordx2 s[8:9], s[4:5], 0x28
	s_waitcnt lgkmcnt(0)
	s_cmp_eq_u64 s[0:1], 0
	s_cbranch_scc1 .LBB270_7
; %bb.6:
	s_ashr_i32 s7, s6, 31
	s_lshl_b64 s[6:7], s[6:7], 2
	s_add_u32 s0, s0, s6
	s_addc_u32 s1, s1, s7
	s_load_dword s0, s[0:1], 0x0
	s_waitcnt lgkmcnt(0)
	s_sub_i32 s6, s0, s18
.LBB270_7:
	s_load_dword s7, s[4:5], 0x4
	s_load_dwordx2 s[16:17], s[4:5], 0x50
	v_mul_u32_u24_e32 v1, 0x843, v0
	v_mov_b32_e32 v2, 31
	v_mul_lo_u16_sdwa v2, v1, v2 dst_sel:DWORD dst_unused:UNUSED_PAD src0_sel:WORD_1 src1_sel:DWORD
	s_waitcnt lgkmcnt(0)
	s_cmp_eq_u32 s7, 1
	s_cselect_b64 s[0:1], -1, 0
	s_cmp_lg_u32 s7, 1
	s_cselect_b64 s[20:21], -1, 0
	s_ashr_i32 s7, s6, 31
	s_lshl_b64 s[10:11], s[6:7], 3
	s_add_u32 s2, s2, s10
	s_addc_u32 s3, s3, s11
	s_add_u32 s7, s2, 8
	s_addc_u32 s13, s3, 0
	s_add_u32 s10, s8, s10
	s_addc_u32 s11, s9, s11
	s_cmp_eq_u64 s[8:9], 0
	s_cselect_b32 s9, s13, s11
	s_cselect_b32 s8, s7, s10
	s_load_dwordx2 s[22:23], s[8:9], 0x0
	s_load_dwordx2 s[24:25], s[2:3], 0x0
	v_sub_u16_e32 v9, v0, v2
	v_mov_b32_e32 v8, 0
	s_waitcnt lgkmcnt(0)
	v_mov_b32_e32 v2, s22
	v_mov_b32_e32 v3, s23
	v_cmp_ge_i64_e32 vcc, s[24:25], v[2:3]
	s_cbranch_vccnz .LBB270_12
; %bb.8:
	s_load_dwordx4 s[8:11], s[4:5], 0x30
	s_load_dwordx2 s[2:3], s[4:5], 0x40
	s_sub_u32 s4, s22, s18
	s_mov_b32 s7, 0xffff
	s_subb_u32 s5, s23, 0
	s_movk_i32 s13, 0x3c1
	v_and_b32_sdwa v1, s7, v1 dst_sel:DWORD dst_unused:UNUSED_PAD src0_sel:DWORD src1_sel:WORD_1
	v_subrev_u32_e32 v2, 31, v1
	v_cmp_gt_u32_e32 vcc, s13, v0
	s_sub_u32 s22, s24, s18
	v_cndmask_b32_e32 v1, v2, v1, vcc
	s_subb_u32 s23, s25, 0
	v_cndmask_b32_e64 v1, v9, v1, s[0:1]
	s_mul_i32 s0, s23, 0x3c1
	s_mul_hi_u32 s1, s22, 0x3c1
	s_add_i32 s1, s1, s0
	s_mul_i32 s0, s22, 0x3c1
	s_waitcnt lgkmcnt(0)
	s_add_u32 s0, s10, s0
	s_addc_u32 s1, s11, s1
	v_mov_b32_e32 v3, s1
	v_add_co_u32_e32 v2, vcc, s0, v0
	v_addc_co_u32_e32 v3, vcc, 0, v3, vcc
	s_movk_i32 s0, 0x3c0
	v_cmp_lt_u32_e32 vcc, s0, v0
	v_cndmask_b32_e64 v10, 0, 1, vcc
	v_mov_b32_e32 v4, s25
	v_add_co_u32_e32 v5, vcc, s24, v10
	v_addc_co_u32_e32 v6, vcc, 0, v4, vcc
	v_subrev_co_u32_e32 v4, vcc, s18, v5
	v_subbrev_co_u32_e32 v5, vcc, 0, v6, vcc
	v_lshlrev_b64 v[4:5], 2, v[4:5]
	v_mov_b32_e32 v6, s9
	v_add_co_u32_e32 v4, vcc, s8, v4
	v_addc_co_u32_e32 v5, vcc, v6, v5, vcc
	v_mov_b32_e32 v7, s5
	v_mov_b32_e32 v8, 0
	v_mov_b32_e32 v6, s4
	s_branch .LBB270_10
.LBB270_9:                              ;   in Loop: Header=BB270_10 Depth=1
	s_or_b64 exec, exec, s[0:1]
	s_add_u32 s22, s22, 1
	s_addc_u32 s23, s23, 0
	v_cmp_lt_i64_e32 vcc, s[22:23], v[6:7]
	v_add_co_u32_e64 v4, s[0:1], 4, v4
	v_addc_co_u32_e64 v5, s[0:1], 0, v5, s[0:1]
	s_cbranch_vccz .LBB270_12
.LBB270_10:                             ; =>This Inner Loop Header: Depth=1
	v_mov_b32_e32 v12, s23
	v_add_co_u32_e32 v11, vcc, s22, v10
	v_addc_co_u32_e32 v12, vcc, 0, v12, vcc
	v_cmp_gt_i64_e32 vcc, s[4:5], v[11:12]
	s_and_saveexec_b64 s[0:1], vcc
	s_cbranch_execz .LBB270_9
; %bb.11:                               ;   in Loop: Header=BB270_10 Depth=1
	global_load_dword v11, v[4:5], off
	global_load_sbyte v13, v[2:3], off
	s_waitcnt vmcnt(1)
	v_subrev_u32_e32 v11, s18, v11
	v_mad_u64_u32 v[11:12], s[8:9], v11, 31, v[1:2]
	v_mov_b32_e32 v12, s3
	v_ashrrev_i32_e32 v14, 31, v11
	v_add_co_u32_e32 v11, vcc, s2, v11
	v_addc_co_u32_e32 v12, vcc, v12, v14, vcc
	global_load_sbyte v11, v[11:12], off
	s_waitcnt vmcnt(1)
	v_cvt_f32_i32_e32 v12, v13
	v_add_co_u32_e32 v2, vcc, 0x3c1, v2
	v_addc_co_u32_e32 v3, vcc, 0, v3, vcc
	s_waitcnt vmcnt(0)
	v_cvt_f32_i32_e32 v11, v11
	v_fmac_f32_e32 v8, v12, v11
	s_branch .LBB270_9
.LBB270_12:
	v_lshlrev_b32_e32 v1, 2, v0
	s_and_b64 vcc, exec, s[20:21]
	ds_write_b32 v1, v8
	s_waitcnt lgkmcnt(0)
	s_barrier
	s_cbranch_vccz .LBB270_24
; %bb.13:
	v_cmp_gt_u16_e32 vcc, 15, v9
	s_and_saveexec_b64 s[0:1], vcc
	s_cbranch_execz .LBB270_15
; %bb.14:
	ds_read2_b32 v[2:3], v1 offset1:16
	s_waitcnt lgkmcnt(0)
	v_add_f32_e32 v2, v3, v2
	ds_write_b32 v1, v2
.LBB270_15:
	s_or_b64 exec, exec, s[0:1]
	v_cmp_gt_u16_e32 vcc, 8, v9
	s_waitcnt lgkmcnt(0)
	s_barrier
	s_and_saveexec_b64 s[0:1], vcc
	s_cbranch_execz .LBB270_17
; %bb.16:
	ds_read2_b32 v[2:3], v1 offset1:8
	s_waitcnt lgkmcnt(0)
	v_add_f32_e32 v2, v3, v2
	ds_write_b32 v1, v2
.LBB270_17:
	s_or_b64 exec, exec, s[0:1]
	v_cmp_gt_u16_e32 vcc, 4, v9
	s_waitcnt lgkmcnt(0)
	s_barrier
	;; [unrolled: 12-line block ×3, first 2 shown]
	s_and_saveexec_b64 s[0:1], vcc
	s_cbranch_execz .LBB270_21
; %bb.20:
	ds_read2_b32 v[2:3], v1 offset1:2
	s_waitcnt lgkmcnt(0)
	v_add_f32_e32 v2, v3, v2
	ds_write_b32 v1, v2
.LBB270_21:
	s_or_b64 exec, exec, s[0:1]
	v_cmp_gt_u32_e32 vcc, 31, v0
	v_mov_b32_e32 v2, v8
	s_waitcnt lgkmcnt(0)
	s_barrier
	s_and_saveexec_b64 s[0:1], vcc
	s_cbranch_execz .LBB270_23
; %bb.22:
	s_movk_i32 s2, 0x78
	v_mad_u32_u24 v2, v0, s2, v1
	ds_read2_b32 v[2:3], v2 offset1:1
	s_waitcnt lgkmcnt(0)
	v_add_f32_e32 v2, v2, v3
.LBB270_23:
	s_or_b64 exec, exec, s[0:1]
	s_branch .LBB270_36
.LBB270_24:
                                        ; implicit-def: $vgpr2
	s_cbranch_execz .LBB270_36
; %bb.25:
	s_movk_i32 s0, 0x1d1
	v_cmp_gt_u32_e32 vcc, s0, v0
	s_and_saveexec_b64 s[0:1], vcc
	s_cbranch_execz .LBB270_27
; %bb.26:
	ds_read_b32 v2, v1 offset:1984
	ds_read_b32 v3, v1
	s_waitcnt lgkmcnt(0)
	v_add_f32_e32 v2, v2, v3
	ds_write_b32 v1, v2
.LBB270_27:
	s_or_b64 exec, exec, s[0:1]
	s_movk_i32 s0, 0xf8
	v_cmp_gt_u32_e32 vcc, s0, v0
	s_waitcnt lgkmcnt(0)
	s_barrier
	s_and_saveexec_b64 s[0:1], vcc
	s_cbranch_execz .LBB270_29
; %bb.28:
	ds_read2_b32 v[2:3], v1 offset1:248
	s_waitcnt lgkmcnt(0)
	v_add_f32_e32 v2, v3, v2
	ds_write_b32 v1, v2
.LBB270_29:
	s_or_b64 exec, exec, s[0:1]
	s_movk_i32 s0, 0x7c
	v_cmp_gt_u32_e32 vcc, s0, v0
	s_waitcnt lgkmcnt(0)
	s_barrier
	s_and_saveexec_b64 s[0:1], vcc
	s_cbranch_execz .LBB270_31
; %bb.30:
	ds_read2_b32 v[2:3], v1 offset1:124
	s_waitcnt lgkmcnt(0)
	v_add_f32_e32 v2, v3, v2
	ds_write_b32 v1, v2
.LBB270_31:
	s_or_b64 exec, exec, s[0:1]
	v_cmp_gt_u32_e32 vcc, 62, v0
	s_waitcnt lgkmcnt(0)
	s_barrier
	s_and_saveexec_b64 s[0:1], vcc
	s_cbranch_execz .LBB270_33
; %bb.32:
	ds_read2_b32 v[2:3], v1 offset1:62
	s_waitcnt lgkmcnt(0)
	v_add_f32_e32 v2, v3, v2
	ds_write_b32 v1, v2
.LBB270_33:
	s_or_b64 exec, exec, s[0:1]
	v_cmp_gt_u32_e32 vcc, 31, v0
	s_waitcnt lgkmcnt(0)
	s_and_saveexec_b64 s[0:1], vcc
	s_cbranch_execz .LBB270_35
; %bb.34:
	ds_read2_b32 v[1:2], v1 offset1:31
	s_waitcnt lgkmcnt(0)
	v_add_f32_e32 v8, v1, v2
.LBB270_35:
	s_or_b64 exec, exec, s[0:1]
	v_mov_b32_e32 v2, v8
.LBB270_36:
	v_cmp_gt_u32_e32 vcc, 31, v0
	s_and_saveexec_b64 s[0:1], vcc
	s_cbranch_execz .LBB270_40
; %bb.37:
	v_cmp_eq_f32_e64 s[0:1], s12, 0
	s_and_b64 vcc, exec, s[0:1]
	v_mul_f32_e32 v1, s14, v2
	s_cbranch_vccz .LBB270_41
; %bb.38:
	v_mad_u64_u32 v[2:3], s[0:1], s6, 31, v[0:1]
	v_mov_b32_e32 v3, 0
	v_mov_b32_e32 v4, s17
	v_lshlrev_b64 v[2:3], 2, v[2:3]
	v_add_co_u32_e32 v2, vcc, s16, v2
	v_addc_co_u32_e32 v3, vcc, v4, v3, vcc
	global_store_dword v[2:3], v1, off
	s_cbranch_execnz .LBB270_40
.LBB270_39:
	v_mad_u64_u32 v[2:3], s[0:1], s6, 31, v[0:1]
	v_mov_b32_e32 v3, 0
	v_mov_b32_e32 v0, s17
	v_lshlrev_b64 v[2:3], 2, v[2:3]
	v_add_co_u32_e32 v2, vcc, s16, v2
	v_addc_co_u32_e32 v3, vcc, v0, v3, vcc
	global_load_dword v0, v[2:3], off
	s_waitcnt vmcnt(0)
	v_fmac_f32_e32 v1, s12, v0
	global_store_dword v[2:3], v1, off
.LBB270_40:
	s_endpgm
.LBB270_41:
	s_branch .LBB270_39
	.section	.rodata,"a",@progbits
	.p2align	6, 0x0
	.amdhsa_kernel _ZN9rocsparseL20bsrxmvn_17_32_kernelILj31EfliaafEEvT2_20rocsparse_direction_NS_24const_host_device_scalarIT0_EES1_PKS1_PKT1_SA_S7_PKT3_PKT4_S5_PT5_21rocsparse_index_base_b
		.amdhsa_group_segment_fixed_size 3844
		.amdhsa_private_segment_fixed_size 0
		.amdhsa_kernarg_size 96
		.amdhsa_user_sgpr_count 6
		.amdhsa_user_sgpr_private_segment_buffer 1
		.amdhsa_user_sgpr_dispatch_ptr 0
		.amdhsa_user_sgpr_queue_ptr 0
		.amdhsa_user_sgpr_kernarg_segment_ptr 1
		.amdhsa_user_sgpr_dispatch_id 0
		.amdhsa_user_sgpr_flat_scratch_init 0
		.amdhsa_user_sgpr_private_segment_size 0
		.amdhsa_uses_dynamic_stack 0
		.amdhsa_system_sgpr_private_segment_wavefront_offset 0
		.amdhsa_system_sgpr_workgroup_id_x 1
		.amdhsa_system_sgpr_workgroup_id_y 0
		.amdhsa_system_sgpr_workgroup_id_z 0
		.amdhsa_system_sgpr_workgroup_info 0
		.amdhsa_system_vgpr_workitem_id 0
		.amdhsa_next_free_vgpr 29
		.amdhsa_next_free_sgpr 61
		.amdhsa_reserve_vcc 1
		.amdhsa_reserve_flat_scratch 0
		.amdhsa_float_round_mode_32 0
		.amdhsa_float_round_mode_16_64 0
		.amdhsa_float_denorm_mode_32 3
		.amdhsa_float_denorm_mode_16_64 3
		.amdhsa_dx10_clamp 1
		.amdhsa_ieee_mode 1
		.amdhsa_fp16_overflow 0
		.amdhsa_exception_fp_ieee_invalid_op 0
		.amdhsa_exception_fp_denorm_src 0
		.amdhsa_exception_fp_ieee_div_zero 0
		.amdhsa_exception_fp_ieee_overflow 0
		.amdhsa_exception_fp_ieee_underflow 0
		.amdhsa_exception_fp_ieee_inexact 0
		.amdhsa_exception_int_div_zero 0
	.end_amdhsa_kernel
	.section	.text._ZN9rocsparseL20bsrxmvn_17_32_kernelILj31EfliaafEEvT2_20rocsparse_direction_NS_24const_host_device_scalarIT0_EES1_PKS1_PKT1_SA_S7_PKT3_PKT4_S5_PT5_21rocsparse_index_base_b,"axG",@progbits,_ZN9rocsparseL20bsrxmvn_17_32_kernelILj31EfliaafEEvT2_20rocsparse_direction_NS_24const_host_device_scalarIT0_EES1_PKS1_PKT1_SA_S7_PKT3_PKT4_S5_PT5_21rocsparse_index_base_b,comdat
.Lfunc_end270:
	.size	_ZN9rocsparseL20bsrxmvn_17_32_kernelILj31EfliaafEEvT2_20rocsparse_direction_NS_24const_host_device_scalarIT0_EES1_PKS1_PKT1_SA_S7_PKT3_PKT4_S5_PT5_21rocsparse_index_base_b, .Lfunc_end270-_ZN9rocsparseL20bsrxmvn_17_32_kernelILj31EfliaafEEvT2_20rocsparse_direction_NS_24const_host_device_scalarIT0_EES1_PKS1_PKT1_SA_S7_PKT3_PKT4_S5_PT5_21rocsparse_index_base_b
                                        ; -- End function
	.set _ZN9rocsparseL20bsrxmvn_17_32_kernelILj31EfliaafEEvT2_20rocsparse_direction_NS_24const_host_device_scalarIT0_EES1_PKS1_PKT1_SA_S7_PKT3_PKT4_S5_PT5_21rocsparse_index_base_b.num_vgpr, 15
	.set _ZN9rocsparseL20bsrxmvn_17_32_kernelILj31EfliaafEEvT2_20rocsparse_direction_NS_24const_host_device_scalarIT0_EES1_PKS1_PKT1_SA_S7_PKT3_PKT4_S5_PT5_21rocsparse_index_base_b.num_agpr, 0
	.set _ZN9rocsparseL20bsrxmvn_17_32_kernelILj31EfliaafEEvT2_20rocsparse_direction_NS_24const_host_device_scalarIT0_EES1_PKS1_PKT1_SA_S7_PKT3_PKT4_S5_PT5_21rocsparse_index_base_b.numbered_sgpr, 26
	.set _ZN9rocsparseL20bsrxmvn_17_32_kernelILj31EfliaafEEvT2_20rocsparse_direction_NS_24const_host_device_scalarIT0_EES1_PKS1_PKT1_SA_S7_PKT3_PKT4_S5_PT5_21rocsparse_index_base_b.num_named_barrier, 0
	.set _ZN9rocsparseL20bsrxmvn_17_32_kernelILj31EfliaafEEvT2_20rocsparse_direction_NS_24const_host_device_scalarIT0_EES1_PKS1_PKT1_SA_S7_PKT3_PKT4_S5_PT5_21rocsparse_index_base_b.private_seg_size, 0
	.set _ZN9rocsparseL20bsrxmvn_17_32_kernelILj31EfliaafEEvT2_20rocsparse_direction_NS_24const_host_device_scalarIT0_EES1_PKS1_PKT1_SA_S7_PKT3_PKT4_S5_PT5_21rocsparse_index_base_b.uses_vcc, 1
	.set _ZN9rocsparseL20bsrxmvn_17_32_kernelILj31EfliaafEEvT2_20rocsparse_direction_NS_24const_host_device_scalarIT0_EES1_PKS1_PKT1_SA_S7_PKT3_PKT4_S5_PT5_21rocsparse_index_base_b.uses_flat_scratch, 0
	.set _ZN9rocsparseL20bsrxmvn_17_32_kernelILj31EfliaafEEvT2_20rocsparse_direction_NS_24const_host_device_scalarIT0_EES1_PKS1_PKT1_SA_S7_PKT3_PKT4_S5_PT5_21rocsparse_index_base_b.has_dyn_sized_stack, 0
	.set _ZN9rocsparseL20bsrxmvn_17_32_kernelILj31EfliaafEEvT2_20rocsparse_direction_NS_24const_host_device_scalarIT0_EES1_PKS1_PKT1_SA_S7_PKT3_PKT4_S5_PT5_21rocsparse_index_base_b.has_recursion, 0
	.set _ZN9rocsparseL20bsrxmvn_17_32_kernelILj31EfliaafEEvT2_20rocsparse_direction_NS_24const_host_device_scalarIT0_EES1_PKS1_PKT1_SA_S7_PKT3_PKT4_S5_PT5_21rocsparse_index_base_b.has_indirect_call, 0
	.section	.AMDGPU.csdata,"",@progbits
; Kernel info:
; codeLenInByte = 1316
; TotalNumSgprs: 30
; NumVgprs: 15
; ScratchSize: 0
; MemoryBound: 0
; FloatMode: 240
; IeeeMode: 1
; LDSByteSize: 3844 bytes/workgroup (compile time only)
; SGPRBlocks: 8
; VGPRBlocks: 7
; NumSGPRsForWavesPerEU: 65
; NumVGPRsForWavesPerEU: 29
; Occupancy: 8
; WaveLimiterHint : 1
; COMPUTE_PGM_RSRC2:SCRATCH_EN: 0
; COMPUTE_PGM_RSRC2:USER_SGPR: 6
; COMPUTE_PGM_RSRC2:TRAP_HANDLER: 0
; COMPUTE_PGM_RSRC2:TGID_X_EN: 1
; COMPUTE_PGM_RSRC2:TGID_Y_EN: 0
; COMPUTE_PGM_RSRC2:TGID_Z_EN: 0
; COMPUTE_PGM_RSRC2:TIDIG_COMP_CNT: 0
	.section	.text._ZN9rocsparseL20bsrxmvn_17_32_kernelILj32EfliaafEEvT2_20rocsparse_direction_NS_24const_host_device_scalarIT0_EES1_PKS1_PKT1_SA_S7_PKT3_PKT4_S5_PT5_21rocsparse_index_base_b,"axG",@progbits,_ZN9rocsparseL20bsrxmvn_17_32_kernelILj32EfliaafEEvT2_20rocsparse_direction_NS_24const_host_device_scalarIT0_EES1_PKS1_PKT1_SA_S7_PKT3_PKT4_S5_PT5_21rocsparse_index_base_b,comdat
	.globl	_ZN9rocsparseL20bsrxmvn_17_32_kernelILj32EfliaafEEvT2_20rocsparse_direction_NS_24const_host_device_scalarIT0_EES1_PKS1_PKT1_SA_S7_PKT3_PKT4_S5_PT5_21rocsparse_index_base_b ; -- Begin function _ZN9rocsparseL20bsrxmvn_17_32_kernelILj32EfliaafEEvT2_20rocsparse_direction_NS_24const_host_device_scalarIT0_EES1_PKS1_PKT1_SA_S7_PKT3_PKT4_S5_PT5_21rocsparse_index_base_b
	.p2align	8
	.type	_ZN9rocsparseL20bsrxmvn_17_32_kernelILj32EfliaafEEvT2_20rocsparse_direction_NS_24const_host_device_scalarIT0_EES1_PKS1_PKT1_SA_S7_PKT3_PKT4_S5_PT5_21rocsparse_index_base_b,@function
_ZN9rocsparseL20bsrxmvn_17_32_kernelILj32EfliaafEEvT2_20rocsparse_direction_NS_24const_host_device_scalarIT0_EES1_PKS1_PKT1_SA_S7_PKT3_PKT4_S5_PT5_21rocsparse_index_base_b: ; @_ZN9rocsparseL20bsrxmvn_17_32_kernelILj32EfliaafEEvT2_20rocsparse_direction_NS_24const_host_device_scalarIT0_EES1_PKS1_PKT1_SA_S7_PKT3_PKT4_S5_PT5_21rocsparse_index_base_b
; %bb.0:
	s_load_dwordx2 s[12:13], s[4:5], 0x58
	s_load_dwordx2 s[10:11], s[4:5], 0x8
	;; [unrolled: 1-line block ×3, first 2 shown]
	s_waitcnt lgkmcnt(0)
	s_bitcmp1_b32 s13, 0
	s_cselect_b64 s[2:3], -1, 0
	s_xor_b64 s[0:1], s[2:3], -1
	s_and_b64 vcc, exec, s[2:3]
	s_cbranch_vccnz .LBB271_2
; %bb.1:
	s_load_dword s10, s[10:11], 0x0
.LBB271_2:
	s_andn2_b64 vcc, exec, s[0:1]
	s_cbranch_vccnz .LBB271_4
; %bb.3:
	s_load_dword s8, s[8:9], 0x0
.LBB271_4:
	s_waitcnt lgkmcnt(0)
	v_cmp_neq_f32_e64 s[0:1], s10, 0
	v_cmp_neq_f32_e64 s[2:3], s8, 1.0
	s_or_b64 s[0:1], s[0:1], s[2:3]
	s_andn2_b64 vcc, exec, s[0:1]
	s_cbranch_vccnz .LBB271_38
; %bb.5:
	s_load_dwordx4 s[0:3], s[4:5], 0x18
	s_load_dwordx2 s[16:17], s[4:5], 0x28
	s_waitcnt lgkmcnt(0)
	s_cmp_eq_u64 s[0:1], 0
	s_cbranch_scc1 .LBB271_7
; %bb.6:
	s_ashr_i32 s7, s6, 31
	s_lshl_b64 s[6:7], s[6:7], 2
	s_add_u32 s0, s0, s6
	s_addc_u32 s1, s1, s7
	s_load_dword s0, s[0:1], 0x0
	s_waitcnt lgkmcnt(0)
	s_sub_i32 s6, s0, s12
.LBB271_7:
	s_load_dword s7, s[4:5], 0x4
	v_and_b32_e32 v6, 31, v0
	v_mov_b32_e32 v5, 0
	s_waitcnt lgkmcnt(0)
	s_cmp_eq_u32 s7, 1
	s_cselect_b64 s[0:1], -1, 0
	s_cmp_lg_u32 s7, 1
	s_cselect_b64 s[14:15], -1, 0
	s_ashr_i32 s7, s6, 31
	s_lshl_b64 s[18:19], s[6:7], 3
	s_add_u32 s22, s2, s18
	s_addc_u32 s23, s3, s19
	s_add_u32 s2, s22, 8
	s_addc_u32 s3, s23, 0
	;; [unrolled: 2-line block ×3, first 2 shown]
	s_cmp_eq_u64 s[16:17], 0
	s_cselect_b32 s17, s3, s9
	s_cselect_b32 s16, s2, s7
	s_load_dwordx2 s[20:21], s[16:17], 0x0
	s_load_dwordx2 s[18:19], s[22:23], 0x0
	;; [unrolled: 1-line block ×3, first 2 shown]
	s_waitcnt lgkmcnt(0)
	v_mov_b32_e32 v1, s20
	v_mov_b32_e32 v2, s21
	v_cmp_ge_i64_e32 vcc, s[18:19], v[1:2]
	s_cbranch_vccnz .LBB271_10
; %bb.8:
	s_sub_u32 s20, s20, s12
	s_load_dwordx4 s[24:27], s[4:5], 0x30
	s_load_dwordx2 s[16:17], s[4:5], 0x40
	s_subb_u32 s21, s21, 0
	v_lshrrev_b32_e32 v1, 5, v0
	v_cndmask_b32_e64 v7, v6, v1, s[0:1]
	s_sub_u32 s0, s18, s12
	s_subb_u32 s1, s19, 0
	s_lshl_b64 s[4:5], s[0:1], 10
	s_waitcnt lgkmcnt(0)
	s_add_u32 s4, s26, s4
	s_mov_b32 s13, 0
	s_addc_u32 s5, s27, s5
	v_mov_b32_e32 v2, s5
	v_add_co_u32_e32 v1, vcc, s4, v0
	s_lshl_b64 s[4:5], s[18:19], 2
	s_lshl_b64 s[18:19], s[12:13], 2
	s_sub_u32 s4, s4, s18
	s_subb_u32 s5, s5, s19
	s_add_u32 s4, s24, s4
	v_mov_b32_e32 v3, s20
	v_mov_b32_e32 v5, 0
	v_addc_co_u32_e32 v2, vcc, 0, v2, vcc
	s_addc_u32 s5, s25, s5
	v_mov_b32_e32 v8, s17
	v_mov_b32_e32 v4, s21
.LBB271_9:                              ; =>This Inner Loop Header: Depth=1
	s_load_dword s7, s[4:5], 0x0
	global_load_sbyte v11, v[1:2], off
	s_waitcnt lgkmcnt(0)
	s_sub_i32 s7, s7, s12
	v_lshl_or_b32 v9, s7, 5, v7
	v_ashrrev_i32_e32 v10, 31, v9
	v_add_co_u32_e32 v9, vcc, s16, v9
	v_addc_co_u32_e32 v10, vcc, v8, v10, vcc
	global_load_sbyte v9, v[9:10], off
	v_add_co_u32_e32 v1, vcc, 0x400, v1
	s_add_u32 s0, s0, 1
	v_addc_co_u32_e32 v2, vcc, 0, v2, vcc
	s_addc_u32 s1, s1, 0
	v_cmp_lt_i64_e32 vcc, s[0:1], v[3:4]
	s_add_u32 s4, s4, 4
	s_addc_u32 s5, s5, 0
	s_and_b64 vcc, exec, vcc
	s_waitcnt vmcnt(1)
	v_cvt_f32_i32_e32 v10, v11
	s_waitcnt vmcnt(0)
	v_cvt_f32_i32_e32 v9, v9
	v_fmac_f32_e32 v5, v10, v9
	s_cbranch_vccnz .LBB271_9
.LBB271_10:
	v_lshlrev_b32_e32 v1, 2, v0
	s_and_b64 vcc, exec, s[14:15]
	ds_write_b32 v1, v5
	s_waitcnt lgkmcnt(0)
	s_barrier
	s_cbranch_vccz .LBB271_22
; %bb.11:
	v_cmp_gt_u32_e32 vcc, 16, v6
	s_and_saveexec_b64 s[0:1], vcc
	s_cbranch_execz .LBB271_13
; %bb.12:
	ds_read2_b32 v[2:3], v1 offset1:16
	s_waitcnt lgkmcnt(0)
	v_add_f32_e32 v2, v3, v2
	ds_write_b32 v1, v2
.LBB271_13:
	s_or_b64 exec, exec, s[0:1]
	v_cmp_gt_u32_e32 vcc, 8, v6
	s_waitcnt lgkmcnt(0)
	s_barrier
	s_and_saveexec_b64 s[0:1], vcc
	s_cbranch_execz .LBB271_15
; %bb.14:
	ds_read2_b32 v[2:3], v1 offset1:8
	s_waitcnt lgkmcnt(0)
	v_add_f32_e32 v2, v3, v2
	ds_write_b32 v1, v2
.LBB271_15:
	s_or_b64 exec, exec, s[0:1]
	v_cmp_gt_u32_e32 vcc, 4, v6
	s_waitcnt lgkmcnt(0)
	s_barrier
	;; [unrolled: 12-line block ×3, first 2 shown]
	s_and_saveexec_b64 s[0:1], vcc
	s_cbranch_execz .LBB271_19
; %bb.18:
	ds_read2_b32 v[2:3], v1 offset1:2
	s_waitcnt lgkmcnt(0)
	v_add_f32_e32 v2, v3, v2
	ds_write_b32 v1, v2
.LBB271_19:
	s_or_b64 exec, exec, s[0:1]
	v_cmp_gt_u32_e32 vcc, 32, v0
	v_mov_b32_e32 v2, v5
	s_waitcnt lgkmcnt(0)
	s_barrier
	s_and_saveexec_b64 s[0:1], vcc
	s_cbranch_execz .LBB271_21
; %bb.20:
	s_movk_i32 s4, 0x7c
	v_mad_u32_u24 v2, v0, s4, v1
	ds_read_b64 v[2:3], v2
	s_waitcnt lgkmcnt(0)
	v_add_f32_e32 v2, v2, v3
.LBB271_21:
	s_or_b64 exec, exec, s[0:1]
	s_branch .LBB271_34
.LBB271_22:
                                        ; implicit-def: $vgpr2
	s_cbranch_execz .LBB271_34
; %bb.23:
	s_movk_i32 s0, 0x200
	v_cmp_gt_u32_e32 vcc, s0, v0
	s_and_saveexec_b64 s[0:1], vcc
	s_cbranch_execz .LBB271_25
; %bb.24:
	ds_read2st64_b32 v[2:3], v1 offset1:8
	s_waitcnt lgkmcnt(0)
	v_add_f32_e32 v2, v3, v2
	ds_write_b32 v1, v2
.LBB271_25:
	s_or_b64 exec, exec, s[0:1]
	s_movk_i32 s0, 0x100
	v_cmp_gt_u32_e32 vcc, s0, v0
	s_waitcnt lgkmcnt(0)
	s_barrier
	s_and_saveexec_b64 s[0:1], vcc
	s_cbranch_execz .LBB271_27
; %bb.26:
	ds_read2st64_b32 v[2:3], v1 offset1:4
	s_waitcnt lgkmcnt(0)
	v_add_f32_e32 v2, v3, v2
	ds_write_b32 v1, v2
.LBB271_27:
	s_or_b64 exec, exec, s[0:1]
	s_movk_i32 s0, 0x80
	v_cmp_gt_u32_e32 vcc, s0, v0
	s_waitcnt lgkmcnt(0)
	s_barrier
	s_and_saveexec_b64 s[0:1], vcc
	s_cbranch_execz .LBB271_29
; %bb.28:
	ds_read2st64_b32 v[2:3], v1 offset1:2
	s_waitcnt lgkmcnt(0)
	v_add_f32_e32 v2, v3, v2
	ds_write_b32 v1, v2
.LBB271_29:
	s_or_b64 exec, exec, s[0:1]
	v_cmp_gt_u32_e32 vcc, 64, v0
	s_waitcnt lgkmcnt(0)
	s_barrier
	s_and_saveexec_b64 s[0:1], vcc
	s_cbranch_execz .LBB271_31
; %bb.30:
	ds_read2st64_b32 v[2:3], v1 offset1:1
	s_waitcnt lgkmcnt(0)
	v_add_f32_e32 v2, v3, v2
	ds_write_b32 v1, v2
.LBB271_31:
	s_or_b64 exec, exec, s[0:1]
	v_cmp_gt_u32_e32 vcc, 32, v0
	s_waitcnt lgkmcnt(0)
	s_and_saveexec_b64 s[0:1], vcc
	s_cbranch_execz .LBB271_33
; %bb.32:
	ds_read2_b32 v[1:2], v1 offset1:32
	s_waitcnt lgkmcnt(0)
	v_add_f32_e32 v5, v1, v2
.LBB271_33:
	s_or_b64 exec, exec, s[0:1]
	v_mov_b32_e32 v2, v5
.LBB271_34:
	v_cmp_gt_u32_e32 vcc, 32, v0
	s_and_saveexec_b64 s[0:1], vcc
	s_cbranch_execz .LBB271_38
; %bb.35:
	v_cmp_eq_f32_e64 s[0:1], s8, 0
	s_and_b64 vcc, exec, s[0:1]
	v_mul_f32_e32 v2, s10, v2
	v_lshl_or_b32 v0, s6, 5, v0
	s_cbranch_vccz .LBB271_39
; %bb.36:
	v_mov_b32_e32 v1, 0
	v_lshlrev_b64 v[3:4], 2, v[0:1]
	v_mov_b32_e32 v1, s3
	v_add_co_u32_e32 v3, vcc, s2, v3
	v_addc_co_u32_e32 v4, vcc, v1, v4, vcc
	global_store_dword v[3:4], v2, off
	s_cbranch_execnz .LBB271_38
.LBB271_37:
	v_mov_b32_e32 v1, 0
	v_lshlrev_b64 v[0:1], 2, v[0:1]
	v_mov_b32_e32 v3, s3
	v_add_co_u32_e32 v0, vcc, s2, v0
	v_addc_co_u32_e32 v1, vcc, v3, v1, vcc
	global_load_dword v3, v[0:1], off
	s_waitcnt vmcnt(0)
	v_fmac_f32_e32 v2, s8, v3
	global_store_dword v[0:1], v2, off
.LBB271_38:
	s_endpgm
.LBB271_39:
	s_branch .LBB271_37
	.section	.rodata,"a",@progbits
	.p2align	6, 0x0
	.amdhsa_kernel _ZN9rocsparseL20bsrxmvn_17_32_kernelILj32EfliaafEEvT2_20rocsparse_direction_NS_24const_host_device_scalarIT0_EES1_PKS1_PKT1_SA_S7_PKT3_PKT4_S5_PT5_21rocsparse_index_base_b
		.amdhsa_group_segment_fixed_size 4096
		.amdhsa_private_segment_fixed_size 0
		.amdhsa_kernarg_size 96
		.amdhsa_user_sgpr_count 6
		.amdhsa_user_sgpr_private_segment_buffer 1
		.amdhsa_user_sgpr_dispatch_ptr 0
		.amdhsa_user_sgpr_queue_ptr 0
		.amdhsa_user_sgpr_kernarg_segment_ptr 1
		.amdhsa_user_sgpr_dispatch_id 0
		.amdhsa_user_sgpr_flat_scratch_init 0
		.amdhsa_user_sgpr_private_segment_size 0
		.amdhsa_uses_dynamic_stack 0
		.amdhsa_system_sgpr_private_segment_wavefront_offset 0
		.amdhsa_system_sgpr_workgroup_id_x 1
		.amdhsa_system_sgpr_workgroup_id_y 0
		.amdhsa_system_sgpr_workgroup_id_z 0
		.amdhsa_system_sgpr_workgroup_info 0
		.amdhsa_system_vgpr_workitem_id 0
		.amdhsa_next_free_vgpr 29
		.amdhsa_next_free_sgpr 61
		.amdhsa_reserve_vcc 1
		.amdhsa_reserve_flat_scratch 0
		.amdhsa_float_round_mode_32 0
		.amdhsa_float_round_mode_16_64 0
		.amdhsa_float_denorm_mode_32 3
		.amdhsa_float_denorm_mode_16_64 3
		.amdhsa_dx10_clamp 1
		.amdhsa_ieee_mode 1
		.amdhsa_fp16_overflow 0
		.amdhsa_exception_fp_ieee_invalid_op 0
		.amdhsa_exception_fp_denorm_src 0
		.amdhsa_exception_fp_ieee_div_zero 0
		.amdhsa_exception_fp_ieee_overflow 0
		.amdhsa_exception_fp_ieee_underflow 0
		.amdhsa_exception_fp_ieee_inexact 0
		.amdhsa_exception_int_div_zero 0
	.end_amdhsa_kernel
	.section	.text._ZN9rocsparseL20bsrxmvn_17_32_kernelILj32EfliaafEEvT2_20rocsparse_direction_NS_24const_host_device_scalarIT0_EES1_PKS1_PKT1_SA_S7_PKT3_PKT4_S5_PT5_21rocsparse_index_base_b,"axG",@progbits,_ZN9rocsparseL20bsrxmvn_17_32_kernelILj32EfliaafEEvT2_20rocsparse_direction_NS_24const_host_device_scalarIT0_EES1_PKS1_PKT1_SA_S7_PKT3_PKT4_S5_PT5_21rocsparse_index_base_b,comdat
.Lfunc_end271:
	.size	_ZN9rocsparseL20bsrxmvn_17_32_kernelILj32EfliaafEEvT2_20rocsparse_direction_NS_24const_host_device_scalarIT0_EES1_PKS1_PKT1_SA_S7_PKT3_PKT4_S5_PT5_21rocsparse_index_base_b, .Lfunc_end271-_ZN9rocsparseL20bsrxmvn_17_32_kernelILj32EfliaafEEvT2_20rocsparse_direction_NS_24const_host_device_scalarIT0_EES1_PKS1_PKT1_SA_S7_PKT3_PKT4_S5_PT5_21rocsparse_index_base_b
                                        ; -- End function
	.set _ZN9rocsparseL20bsrxmvn_17_32_kernelILj32EfliaafEEvT2_20rocsparse_direction_NS_24const_host_device_scalarIT0_EES1_PKS1_PKT1_SA_S7_PKT3_PKT4_S5_PT5_21rocsparse_index_base_b.num_vgpr, 12
	.set _ZN9rocsparseL20bsrxmvn_17_32_kernelILj32EfliaafEEvT2_20rocsparse_direction_NS_24const_host_device_scalarIT0_EES1_PKS1_PKT1_SA_S7_PKT3_PKT4_S5_PT5_21rocsparse_index_base_b.num_agpr, 0
	.set _ZN9rocsparseL20bsrxmvn_17_32_kernelILj32EfliaafEEvT2_20rocsparse_direction_NS_24const_host_device_scalarIT0_EES1_PKS1_PKT1_SA_S7_PKT3_PKT4_S5_PT5_21rocsparse_index_base_b.numbered_sgpr, 28
	.set _ZN9rocsparseL20bsrxmvn_17_32_kernelILj32EfliaafEEvT2_20rocsparse_direction_NS_24const_host_device_scalarIT0_EES1_PKS1_PKT1_SA_S7_PKT3_PKT4_S5_PT5_21rocsparse_index_base_b.num_named_barrier, 0
	.set _ZN9rocsparseL20bsrxmvn_17_32_kernelILj32EfliaafEEvT2_20rocsparse_direction_NS_24const_host_device_scalarIT0_EES1_PKS1_PKT1_SA_S7_PKT3_PKT4_S5_PT5_21rocsparse_index_base_b.private_seg_size, 0
	.set _ZN9rocsparseL20bsrxmvn_17_32_kernelILj32EfliaafEEvT2_20rocsparse_direction_NS_24const_host_device_scalarIT0_EES1_PKS1_PKT1_SA_S7_PKT3_PKT4_S5_PT5_21rocsparse_index_base_b.uses_vcc, 1
	.set _ZN9rocsparseL20bsrxmvn_17_32_kernelILj32EfliaafEEvT2_20rocsparse_direction_NS_24const_host_device_scalarIT0_EES1_PKS1_PKT1_SA_S7_PKT3_PKT4_S5_PT5_21rocsparse_index_base_b.uses_flat_scratch, 0
	.set _ZN9rocsparseL20bsrxmvn_17_32_kernelILj32EfliaafEEvT2_20rocsparse_direction_NS_24const_host_device_scalarIT0_EES1_PKS1_PKT1_SA_S7_PKT3_PKT4_S5_PT5_21rocsparse_index_base_b.has_dyn_sized_stack, 0
	.set _ZN9rocsparseL20bsrxmvn_17_32_kernelILj32EfliaafEEvT2_20rocsparse_direction_NS_24const_host_device_scalarIT0_EES1_PKS1_PKT1_SA_S7_PKT3_PKT4_S5_PT5_21rocsparse_index_base_b.has_recursion, 0
	.set _ZN9rocsparseL20bsrxmvn_17_32_kernelILj32EfliaafEEvT2_20rocsparse_direction_NS_24const_host_device_scalarIT0_EES1_PKS1_PKT1_SA_S7_PKT3_PKT4_S5_PT5_21rocsparse_index_base_b.has_indirect_call, 0
	.section	.AMDGPU.csdata,"",@progbits
; Kernel info:
; codeLenInByte = 1160
; TotalNumSgprs: 32
; NumVgprs: 12
; ScratchSize: 0
; MemoryBound: 0
; FloatMode: 240
; IeeeMode: 1
; LDSByteSize: 4096 bytes/workgroup (compile time only)
; SGPRBlocks: 8
; VGPRBlocks: 7
; NumSGPRsForWavesPerEU: 65
; NumVGPRsForWavesPerEU: 29
; Occupancy: 8
; WaveLimiterHint : 1
; COMPUTE_PGM_RSRC2:SCRATCH_EN: 0
; COMPUTE_PGM_RSRC2:USER_SGPR: 6
; COMPUTE_PGM_RSRC2:TRAP_HANDLER: 0
; COMPUTE_PGM_RSRC2:TGID_X_EN: 1
; COMPUTE_PGM_RSRC2:TGID_Y_EN: 0
; COMPUTE_PGM_RSRC2:TGID_Z_EN: 0
; COMPUTE_PGM_RSRC2:TIDIG_COMP_CNT: 0
	.section	.text._ZN9rocsparseL20bsrxmvn_17_32_kernelILj17EfllaafEEvT2_20rocsparse_direction_NS_24const_host_device_scalarIT0_EES1_PKS1_PKT1_SA_S7_PKT3_PKT4_S5_PT5_21rocsparse_index_base_b,"axG",@progbits,_ZN9rocsparseL20bsrxmvn_17_32_kernelILj17EfllaafEEvT2_20rocsparse_direction_NS_24const_host_device_scalarIT0_EES1_PKS1_PKT1_SA_S7_PKT3_PKT4_S5_PT5_21rocsparse_index_base_b,comdat
	.globl	_ZN9rocsparseL20bsrxmvn_17_32_kernelILj17EfllaafEEvT2_20rocsparse_direction_NS_24const_host_device_scalarIT0_EES1_PKS1_PKT1_SA_S7_PKT3_PKT4_S5_PT5_21rocsparse_index_base_b ; -- Begin function _ZN9rocsparseL20bsrxmvn_17_32_kernelILj17EfllaafEEvT2_20rocsparse_direction_NS_24const_host_device_scalarIT0_EES1_PKS1_PKT1_SA_S7_PKT3_PKT4_S5_PT5_21rocsparse_index_base_b
	.p2align	8
	.type	_ZN9rocsparseL20bsrxmvn_17_32_kernelILj17EfllaafEEvT2_20rocsparse_direction_NS_24const_host_device_scalarIT0_EES1_PKS1_PKT1_SA_S7_PKT3_PKT4_S5_PT5_21rocsparse_index_base_b,@function
_ZN9rocsparseL20bsrxmvn_17_32_kernelILj17EfllaafEEvT2_20rocsparse_direction_NS_24const_host_device_scalarIT0_EES1_PKS1_PKT1_SA_S7_PKT3_PKT4_S5_PT5_21rocsparse_index_base_b: ; @_ZN9rocsparseL20bsrxmvn_17_32_kernelILj17EfllaafEEvT2_20rocsparse_direction_NS_24const_host_device_scalarIT0_EES1_PKS1_PKT1_SA_S7_PKT3_PKT4_S5_PT5_21rocsparse_index_base_b
; %bb.0:
	s_load_dwordx2 s[18:19], s[4:5], 0x60
	s_load_dwordx2 s[14:15], s[4:5], 0x10
	;; [unrolled: 1-line block ×3, first 2 shown]
	s_waitcnt lgkmcnt(0)
	s_bitcmp1_b32 s19, 0
	s_cselect_b64 s[2:3], -1, 0
	s_xor_b64 s[0:1], s[2:3], -1
	s_and_b64 vcc, exec, s[2:3]
	s_cbranch_vccnz .LBB272_2
; %bb.1:
	s_load_dword s14, s[14:15], 0x0
.LBB272_2:
	s_andn2_b64 vcc, exec, s[0:1]
	s_cbranch_vccnz .LBB272_4
; %bb.3:
	s_load_dword s12, s[12:13], 0x0
.LBB272_4:
	s_waitcnt lgkmcnt(0)
	v_cmp_neq_f32_e64 s[0:1], s14, 0
	v_cmp_neq_f32_e64 s[2:3], s12, 1.0
	s_or_b64 s[0:1], s[0:1], s[2:3]
	s_andn2_b64 vcc, exec, s[0:1]
	s_mov_b32 s7, 0
	s_cbranch_vccnz .LBB272_40
; %bb.5:
	s_load_dwordx4 s[0:3], s[4:5], 0x20
	s_load_dwordx2 s[8:9], s[4:5], 0x30
	s_waitcnt lgkmcnt(0)
	s_cmp_eq_u64 s[0:1], 0
	s_cbranch_scc1 .LBB272_7
; %bb.6:
	s_lshl_b64 s[6:7], s[6:7], 3
	s_add_u32 s0, s0, s6
	s_addc_u32 s1, s1, s7
	s_load_dwordx2 s[0:1], s[0:1], 0x0
	s_waitcnt lgkmcnt(0)
	s_sub_u32 s6, s0, s18
	s_subb_u32 s7, s1, 0
.LBB272_7:
	s_load_dword s10, s[4:5], 0x8
	s_load_dwordx2 s[16:17], s[4:5], 0x58
	v_mul_u32_u24_e32 v1, 0xf10, v0
	v_mov_b32_e32 v2, 17
	v_mul_lo_u16_sdwa v2, v1, v2 dst_sel:DWORD dst_unused:UNUSED_PAD src0_sel:WORD_1 src1_sel:DWORD
	s_waitcnt lgkmcnt(0)
	s_cmp_eq_u32 s10, 1
	s_cselect_b64 s[0:1], -1, 0
	s_cmp_lg_u32 s10, 1
	s_cselect_b64 s[20:21], -1, 0
	s_lshl_b64 s[10:11], s[6:7], 3
	s_add_u32 s24, s2, s10
	s_addc_u32 s25, s3, s11
	s_add_u32 s2, s24, 8
	s_addc_u32 s3, s25, 0
	;; [unrolled: 2-line block ×3, first 2 shown]
	s_cmp_eq_u64 s[8:9], 0
	s_cselect_b32 s9, s3, s11
	s_cselect_b32 s8, s2, s10
	s_load_dwordx2 s[2:3], s[8:9], 0x0
	s_load_dwordx2 s[22:23], s[24:25], 0x0
	v_sub_u16_e32 v8, v0, v2
	v_mov_b32_e32 v7, 0
	s_waitcnt lgkmcnt(0)
	v_mov_b32_e32 v2, s2
	v_mov_b32_e32 v3, s3
	v_cmp_ge_i64_e32 vcc, s[22:23], v[2:3]
	s_cbranch_vccnz .LBB272_12
; %bb.8:
	v_mov_b32_e32 v2, 31
	v_mul_lo_u16_sdwa v2, v1, v2 dst_sel:DWORD dst_unused:UNUSED_PAD src0_sel:WORD_1 src1_sel:DWORD
	s_load_dwordx4 s[8:11], s[4:5], 0x38
	s_load_dwordx2 s[24:25], s[4:5], 0x48
	v_lshrrev_b16_e32 v2, 9, v2
	s_sub_u32 s2, s2, s18
	v_mul_lo_u16_e32 v2, 17, v2
	s_subb_u32 s3, s3, 0
	v_sub_u16_sdwa v1, v1, v2 dst_sel:DWORD dst_unused:UNUSED_PAD src0_sel:WORD_1 src1_sel:DWORD
	s_sub_u32 s4, s22, s18
	v_and_b32_e32 v1, 0xff, v1
	s_subb_u32 s5, s23, 0
	v_cndmask_b32_e64 v1, v8, v1, s[0:1]
	s_mul_i32 s0, s5, 0x121
	s_mul_hi_u32 s1, s4, 0x121
	s_waitcnt lgkmcnt(0)
	v_mov_b32_e32 v2, s25
	v_add_co_u32_e32 v1, vcc, s24, v1
	s_add_i32 s1, s1, s0
	s_mul_i32 s0, s4, 0x121
	v_addc_co_u32_e32 v2, vcc, 0, v2, vcc
	s_add_u32 s0, s10, s0
	s_addc_u32 s1, s11, s1
	v_add_co_u32_e32 v3, vcc, s0, v0
	s_movk_i32 s0, 0xe3
	v_mov_b32_e32 v4, s1
	v_mul_u32_u24_sdwa v5, v0, s0 dst_sel:DWORD dst_unused:UNUSED_PAD src0_sel:WORD_0 src1_sel:DWORD
	v_addc_co_u32_e32 v4, vcc, 0, v4, vcc
	v_lshrrev_b32_e32 v9, 16, v5
	v_mov_b32_e32 v5, s23
	v_add_co_u32_e32 v6, vcc, s22, v9
	v_addc_co_u32_e32 v10, vcc, 0, v5, vcc
	v_subrev_co_u32_e32 v5, vcc, s18, v6
	v_subbrev_co_u32_e32 v6, vcc, 0, v10, vcc
	v_lshlrev_b64 v[5:6], 3, v[5:6]
	v_mov_b32_e32 v10, s9
	v_add_co_u32_e32 v5, vcc, s8, v5
	v_mov_b32_e32 v7, 0
	v_addc_co_u32_e32 v6, vcc, v10, v6, vcc
	s_branch .LBB272_10
.LBB272_9:                              ;   in Loop: Header=BB272_10 Depth=1
	s_or_b64 exec, exec, s[0:1]
	s_add_u32 s4, s4, 1
	v_mov_b32_e32 v11, s3
	s_addc_u32 s5, s5, 0
	v_mov_b32_e32 v10, s2
	v_cmp_lt_i64_e32 vcc, s[4:5], v[10:11]
	v_add_co_u32_e64 v5, s[0:1], 8, v5
	v_addc_co_u32_e64 v6, s[0:1], 0, v6, s[0:1]
	s_cbranch_vccz .LBB272_12
.LBB272_10:                             ; =>This Inner Loop Header: Depth=1
	v_mov_b32_e32 v11, s5
	v_add_co_u32_e32 v10, vcc, s4, v9
	v_addc_co_u32_e32 v11, vcc, 0, v11, vcc
	v_cmp_gt_i64_e32 vcc, s[2:3], v[10:11]
	s_and_saveexec_b64 s[0:1], vcc
	s_cbranch_execz .LBB272_9
; %bb.11:                               ;   in Loop: Header=BB272_10 Depth=1
	global_load_dwordx2 v[10:11], v[5:6], off
	s_waitcnt vmcnt(0)
	v_subrev_co_u32_e32 v10, vcc, s18, v10
	v_subbrev_co_u32_e32 v12, vcc, 0, v11, vcc
	v_mad_u64_u32 v[10:11], s[8:9], v10, 17, v[1:2]
	v_mad_u64_u32 v[11:12], s[8:9], v12, 17, v[11:12]
	global_load_sbyte v12, v[3:4], off
	s_nop 0
	global_load_sbyte v10, v[10:11], off
	v_add_co_u32_e32 v3, vcc, 0x121, v3
	v_addc_co_u32_e32 v4, vcc, 0, v4, vcc
	s_waitcnt vmcnt(1)
	v_cvt_f32_i32_e32 v11, v12
	s_waitcnt vmcnt(0)
	v_cvt_f32_i32_e32 v10, v10
	v_fmac_f32_e32 v7, v11, v10
	s_branch .LBB272_9
.LBB272_12:
	v_lshlrev_b32_e32 v1, 2, v0
	s_and_b64 vcc, exec, s[20:21]
	ds_write_b32 v1, v7
	s_waitcnt lgkmcnt(0)
	s_barrier
	s_cbranch_vccz .LBB272_24
; %bb.13:
	v_cmp_eq_u16_e32 vcc, 0, v8
	s_and_saveexec_b64 s[0:1], vcc
	s_cbranch_execz .LBB272_15
; %bb.14:
	ds_read2_b32 v[2:3], v1 offset1:16
	s_waitcnt lgkmcnt(0)
	v_add_f32_e32 v2, v3, v2
	ds_write_b32 v1, v2
.LBB272_15:
	s_or_b64 exec, exec, s[0:1]
	v_cmp_gt_u16_e32 vcc, 8, v8
	s_waitcnt lgkmcnt(0)
	s_barrier
	s_and_saveexec_b64 s[0:1], vcc
	s_cbranch_execz .LBB272_17
; %bb.16:
	ds_read2_b32 v[2:3], v1 offset1:8
	s_waitcnt lgkmcnt(0)
	v_add_f32_e32 v2, v3, v2
	ds_write_b32 v1, v2
.LBB272_17:
	s_or_b64 exec, exec, s[0:1]
	v_cmp_gt_u16_e32 vcc, 4, v8
	s_waitcnt lgkmcnt(0)
	s_barrier
	;; [unrolled: 12-line block ×3, first 2 shown]
	s_and_saveexec_b64 s[0:1], vcc
	s_cbranch_execz .LBB272_21
; %bb.20:
	ds_read2_b32 v[2:3], v1 offset1:2
	s_waitcnt lgkmcnt(0)
	v_add_f32_e32 v2, v3, v2
	ds_write_b32 v1, v2
.LBB272_21:
	s_or_b64 exec, exec, s[0:1]
	v_cmp_gt_u32_e32 vcc, 17, v0
	v_mov_b32_e32 v2, v7
	s_waitcnt lgkmcnt(0)
	s_barrier
	s_and_saveexec_b64 s[0:1], vcc
	s_cbranch_execz .LBB272_23
; %bb.22:
	v_lshl_add_u32 v2, v0, 6, v1
	ds_read2_b32 v[2:3], v2 offset1:1
	s_waitcnt lgkmcnt(0)
	v_add_f32_e32 v2, v2, v3
.LBB272_23:
	s_or_b64 exec, exec, s[0:1]
	v_cmp_gt_u32_e64 s[0:1], 17, v0
	s_branch .LBB272_36
.LBB272_24:
                                        ; implicit-def: $vgpr2
	v_cmp_gt_u32_e64 s[0:1], 17, v0
	s_cbranch_execz .LBB272_36
; %bb.25:
	s_and_saveexec_b64 s[2:3], s[0:1]
	s_cbranch_execz .LBB272_27
; %bb.26:
	ds_read_b32 v2, v1 offset:1088
	ds_read_b32 v3, v1
	s_waitcnt lgkmcnt(0)
	v_add_f32_e32 v2, v2, v3
	ds_write_b32 v1, v2
.LBB272_27:
	s_or_b64 exec, exec, s[2:3]
	s_movk_i32 s2, 0x88
	v_cmp_gt_u32_e32 vcc, s2, v0
	s_waitcnt lgkmcnt(0)
	s_barrier
	s_and_saveexec_b64 s[2:3], vcc
	s_cbranch_execz .LBB272_29
; %bb.28:
	ds_read2_b32 v[2:3], v1 offset1:136
	s_waitcnt lgkmcnt(0)
	v_add_f32_e32 v2, v3, v2
	ds_write_b32 v1, v2
.LBB272_29:
	s_or_b64 exec, exec, s[2:3]
	s_movk_i32 s2, 0x44
	v_cmp_gt_u32_e32 vcc, s2, v0
	s_waitcnt lgkmcnt(0)
	s_barrier
	s_and_saveexec_b64 s[2:3], vcc
	s_cbranch_execz .LBB272_31
; %bb.30:
	ds_read2_b32 v[2:3], v1 offset1:68
	s_waitcnt lgkmcnt(0)
	v_add_f32_e32 v2, v3, v2
	ds_write_b32 v1, v2
.LBB272_31:
	s_or_b64 exec, exec, s[2:3]
	v_cmp_gt_u32_e32 vcc, 34, v0
	s_waitcnt lgkmcnt(0)
	s_barrier
	s_and_saveexec_b64 s[2:3], vcc
	s_cbranch_execz .LBB272_33
; %bb.32:
	ds_read2_b32 v[2:3], v1 offset1:34
	s_waitcnt lgkmcnt(0)
	v_add_f32_e32 v2, v3, v2
	ds_write_b32 v1, v2
.LBB272_33:
	s_or_b64 exec, exec, s[2:3]
	s_waitcnt lgkmcnt(0)
	s_and_saveexec_b64 s[2:3], s[0:1]
	s_cbranch_execz .LBB272_35
; %bb.34:
	ds_read2_b32 v[2:3], v1 offset1:17
	s_waitcnt lgkmcnt(0)
	v_add_f32_e32 v7, v2, v3
.LBB272_35:
	s_or_b64 exec, exec, s[2:3]
	v_mov_b32_e32 v2, v7
.LBB272_36:
	v_cmp_gt_u32_e32 vcc, 17, v0
	s_and_saveexec_b64 s[0:1], vcc
	s_cbranch_execz .LBB272_40
; %bb.37:
	v_cmp_eq_f32_e64 s[0:1], s12, 0
	s_and_b64 vcc, exec, s[0:1]
	v_mul_f32_e32 v0, s14, v2
	s_mul_i32 s2, s7, 0x44
	s_mul_hi_u32 s3, s6, 0x44
	s_mul_i32 s4, s6, 0x44
	s_cbranch_vccz .LBB272_41
; %bb.38:
	s_add_i32 s1, s3, s2
	s_add_u32 s0, s16, s4
	s_addc_u32 s1, s17, s1
	global_store_dword v1, v0, s[0:1]
	s_cbranch_execnz .LBB272_40
.LBB272_39:
	s_add_i32 s3, s3, s2
	s_add_u32 s0, s16, s4
	s_addc_u32 s1, s17, s3
	global_load_dword v2, v1, s[0:1]
	s_waitcnt vmcnt(0)
	v_fmac_f32_e32 v0, s12, v2
	global_store_dword v1, v0, s[0:1]
.LBB272_40:
	s_endpgm
.LBB272_41:
	s_branch .LBB272_39
	.section	.rodata,"a",@progbits
	.p2align	6, 0x0
	.amdhsa_kernel _ZN9rocsparseL20bsrxmvn_17_32_kernelILj17EfllaafEEvT2_20rocsparse_direction_NS_24const_host_device_scalarIT0_EES1_PKS1_PKT1_SA_S7_PKT3_PKT4_S5_PT5_21rocsparse_index_base_b
		.amdhsa_group_segment_fixed_size 1156
		.amdhsa_private_segment_fixed_size 0
		.amdhsa_kernarg_size 104
		.amdhsa_user_sgpr_count 6
		.amdhsa_user_sgpr_private_segment_buffer 1
		.amdhsa_user_sgpr_dispatch_ptr 0
		.amdhsa_user_sgpr_queue_ptr 0
		.amdhsa_user_sgpr_kernarg_segment_ptr 1
		.amdhsa_user_sgpr_dispatch_id 0
		.amdhsa_user_sgpr_flat_scratch_init 0
		.amdhsa_user_sgpr_private_segment_size 0
		.amdhsa_uses_dynamic_stack 0
		.amdhsa_system_sgpr_private_segment_wavefront_offset 0
		.amdhsa_system_sgpr_workgroup_id_x 1
		.amdhsa_system_sgpr_workgroup_id_y 0
		.amdhsa_system_sgpr_workgroup_id_z 0
		.amdhsa_system_sgpr_workgroup_info 0
		.amdhsa_system_vgpr_workitem_id 0
		.amdhsa_next_free_vgpr 13
		.amdhsa_next_free_sgpr 26
		.amdhsa_reserve_vcc 1
		.amdhsa_reserve_flat_scratch 0
		.amdhsa_float_round_mode_32 0
		.amdhsa_float_round_mode_16_64 0
		.amdhsa_float_denorm_mode_32 3
		.amdhsa_float_denorm_mode_16_64 3
		.amdhsa_dx10_clamp 1
		.amdhsa_ieee_mode 1
		.amdhsa_fp16_overflow 0
		.amdhsa_exception_fp_ieee_invalid_op 0
		.amdhsa_exception_fp_denorm_src 0
		.amdhsa_exception_fp_ieee_div_zero 0
		.amdhsa_exception_fp_ieee_overflow 0
		.amdhsa_exception_fp_ieee_underflow 0
		.amdhsa_exception_fp_ieee_inexact 0
		.amdhsa_exception_int_div_zero 0
	.end_amdhsa_kernel
	.section	.text._ZN9rocsparseL20bsrxmvn_17_32_kernelILj17EfllaafEEvT2_20rocsparse_direction_NS_24const_host_device_scalarIT0_EES1_PKS1_PKT1_SA_S7_PKT3_PKT4_S5_PT5_21rocsparse_index_base_b,"axG",@progbits,_ZN9rocsparseL20bsrxmvn_17_32_kernelILj17EfllaafEEvT2_20rocsparse_direction_NS_24const_host_device_scalarIT0_EES1_PKS1_PKT1_SA_S7_PKT3_PKT4_S5_PT5_21rocsparse_index_base_b,comdat
.Lfunc_end272:
	.size	_ZN9rocsparseL20bsrxmvn_17_32_kernelILj17EfllaafEEvT2_20rocsparse_direction_NS_24const_host_device_scalarIT0_EES1_PKS1_PKT1_SA_S7_PKT3_PKT4_S5_PT5_21rocsparse_index_base_b, .Lfunc_end272-_ZN9rocsparseL20bsrxmvn_17_32_kernelILj17EfllaafEEvT2_20rocsparse_direction_NS_24const_host_device_scalarIT0_EES1_PKS1_PKT1_SA_S7_PKT3_PKT4_S5_PT5_21rocsparse_index_base_b
                                        ; -- End function
	.set _ZN9rocsparseL20bsrxmvn_17_32_kernelILj17EfllaafEEvT2_20rocsparse_direction_NS_24const_host_device_scalarIT0_EES1_PKS1_PKT1_SA_S7_PKT3_PKT4_S5_PT5_21rocsparse_index_base_b.num_vgpr, 13
	.set _ZN9rocsparseL20bsrxmvn_17_32_kernelILj17EfllaafEEvT2_20rocsparse_direction_NS_24const_host_device_scalarIT0_EES1_PKS1_PKT1_SA_S7_PKT3_PKT4_S5_PT5_21rocsparse_index_base_b.num_agpr, 0
	.set _ZN9rocsparseL20bsrxmvn_17_32_kernelILj17EfllaafEEvT2_20rocsparse_direction_NS_24const_host_device_scalarIT0_EES1_PKS1_PKT1_SA_S7_PKT3_PKT4_S5_PT5_21rocsparse_index_base_b.numbered_sgpr, 26
	.set _ZN9rocsparseL20bsrxmvn_17_32_kernelILj17EfllaafEEvT2_20rocsparse_direction_NS_24const_host_device_scalarIT0_EES1_PKS1_PKT1_SA_S7_PKT3_PKT4_S5_PT5_21rocsparse_index_base_b.num_named_barrier, 0
	.set _ZN9rocsparseL20bsrxmvn_17_32_kernelILj17EfllaafEEvT2_20rocsparse_direction_NS_24const_host_device_scalarIT0_EES1_PKS1_PKT1_SA_S7_PKT3_PKT4_S5_PT5_21rocsparse_index_base_b.private_seg_size, 0
	.set _ZN9rocsparseL20bsrxmvn_17_32_kernelILj17EfllaafEEvT2_20rocsparse_direction_NS_24const_host_device_scalarIT0_EES1_PKS1_PKT1_SA_S7_PKT3_PKT4_S5_PT5_21rocsparse_index_base_b.uses_vcc, 1
	.set _ZN9rocsparseL20bsrxmvn_17_32_kernelILj17EfllaafEEvT2_20rocsparse_direction_NS_24const_host_device_scalarIT0_EES1_PKS1_PKT1_SA_S7_PKT3_PKT4_S5_PT5_21rocsparse_index_base_b.uses_flat_scratch, 0
	.set _ZN9rocsparseL20bsrxmvn_17_32_kernelILj17EfllaafEEvT2_20rocsparse_direction_NS_24const_host_device_scalarIT0_EES1_PKS1_PKT1_SA_S7_PKT3_PKT4_S5_PT5_21rocsparse_index_base_b.has_dyn_sized_stack, 0
	.set _ZN9rocsparseL20bsrxmvn_17_32_kernelILj17EfllaafEEvT2_20rocsparse_direction_NS_24const_host_device_scalarIT0_EES1_PKS1_PKT1_SA_S7_PKT3_PKT4_S5_PT5_21rocsparse_index_base_b.has_recursion, 0
	.set _ZN9rocsparseL20bsrxmvn_17_32_kernelILj17EfllaafEEvT2_20rocsparse_direction_NS_24const_host_device_scalarIT0_EES1_PKS1_PKT1_SA_S7_PKT3_PKT4_S5_PT5_21rocsparse_index_base_b.has_indirect_call, 0
	.section	.AMDGPU.csdata,"",@progbits
; Kernel info:
; codeLenInByte = 1316
; TotalNumSgprs: 30
; NumVgprs: 13
; ScratchSize: 0
; MemoryBound: 0
; FloatMode: 240
; IeeeMode: 1
; LDSByteSize: 1156 bytes/workgroup (compile time only)
; SGPRBlocks: 3
; VGPRBlocks: 3
; NumSGPRsForWavesPerEU: 30
; NumVGPRsForWavesPerEU: 13
; Occupancy: 10
; WaveLimiterHint : 1
; COMPUTE_PGM_RSRC2:SCRATCH_EN: 0
; COMPUTE_PGM_RSRC2:USER_SGPR: 6
; COMPUTE_PGM_RSRC2:TRAP_HANDLER: 0
; COMPUTE_PGM_RSRC2:TGID_X_EN: 1
; COMPUTE_PGM_RSRC2:TGID_Y_EN: 0
; COMPUTE_PGM_RSRC2:TGID_Z_EN: 0
; COMPUTE_PGM_RSRC2:TIDIG_COMP_CNT: 0
	.section	.text._ZN9rocsparseL20bsrxmvn_17_32_kernelILj18EfllaafEEvT2_20rocsparse_direction_NS_24const_host_device_scalarIT0_EES1_PKS1_PKT1_SA_S7_PKT3_PKT4_S5_PT5_21rocsparse_index_base_b,"axG",@progbits,_ZN9rocsparseL20bsrxmvn_17_32_kernelILj18EfllaafEEvT2_20rocsparse_direction_NS_24const_host_device_scalarIT0_EES1_PKS1_PKT1_SA_S7_PKT3_PKT4_S5_PT5_21rocsparse_index_base_b,comdat
	.globl	_ZN9rocsparseL20bsrxmvn_17_32_kernelILj18EfllaafEEvT2_20rocsparse_direction_NS_24const_host_device_scalarIT0_EES1_PKS1_PKT1_SA_S7_PKT3_PKT4_S5_PT5_21rocsparse_index_base_b ; -- Begin function _ZN9rocsparseL20bsrxmvn_17_32_kernelILj18EfllaafEEvT2_20rocsparse_direction_NS_24const_host_device_scalarIT0_EES1_PKS1_PKT1_SA_S7_PKT3_PKT4_S5_PT5_21rocsparse_index_base_b
	.p2align	8
	.type	_ZN9rocsparseL20bsrxmvn_17_32_kernelILj18EfllaafEEvT2_20rocsparse_direction_NS_24const_host_device_scalarIT0_EES1_PKS1_PKT1_SA_S7_PKT3_PKT4_S5_PT5_21rocsparse_index_base_b,@function
_ZN9rocsparseL20bsrxmvn_17_32_kernelILj18EfllaafEEvT2_20rocsparse_direction_NS_24const_host_device_scalarIT0_EES1_PKS1_PKT1_SA_S7_PKT3_PKT4_S5_PT5_21rocsparse_index_base_b: ; @_ZN9rocsparseL20bsrxmvn_17_32_kernelILj18EfllaafEEvT2_20rocsparse_direction_NS_24const_host_device_scalarIT0_EES1_PKS1_PKT1_SA_S7_PKT3_PKT4_S5_PT5_21rocsparse_index_base_b
; %bb.0:
	s_load_dwordx2 s[18:19], s[4:5], 0x60
	s_load_dwordx2 s[14:15], s[4:5], 0x10
	s_load_dwordx2 s[12:13], s[4:5], 0x50
	s_waitcnt lgkmcnt(0)
	s_bitcmp1_b32 s19, 0
	s_cselect_b64 s[2:3], -1, 0
	s_xor_b64 s[0:1], s[2:3], -1
	s_and_b64 vcc, exec, s[2:3]
	s_cbranch_vccnz .LBB273_2
; %bb.1:
	s_load_dword s14, s[14:15], 0x0
.LBB273_2:
	s_andn2_b64 vcc, exec, s[0:1]
	s_cbranch_vccnz .LBB273_4
; %bb.3:
	s_load_dword s12, s[12:13], 0x0
.LBB273_4:
	s_waitcnt lgkmcnt(0)
	v_cmp_neq_f32_e64 s[0:1], s14, 0
	v_cmp_neq_f32_e64 s[2:3], s12, 1.0
	s_or_b64 s[0:1], s[0:1], s[2:3]
	s_andn2_b64 vcc, exec, s[0:1]
	s_mov_b32 s7, 0
	s_cbranch_vccnz .LBB273_40
; %bb.5:
	s_load_dwordx4 s[0:3], s[4:5], 0x20
	s_load_dwordx2 s[8:9], s[4:5], 0x30
	s_waitcnt lgkmcnt(0)
	s_cmp_eq_u64 s[0:1], 0
	s_cbranch_scc1 .LBB273_7
; %bb.6:
	s_lshl_b64 s[6:7], s[6:7], 3
	s_add_u32 s0, s0, s6
	s_addc_u32 s1, s1, s7
	s_load_dwordx2 s[0:1], s[0:1], 0x0
	s_waitcnt lgkmcnt(0)
	s_sub_u32 s6, s0, s18
	s_subb_u32 s7, s1, 0
.LBB273_7:
	s_load_dword s10, s[4:5], 0x8
	s_load_dwordx2 s[16:17], s[4:5], 0x58
	v_mul_u32_u24_e32 v1, 0xe39, v0
	v_mov_b32_e32 v2, 18
	v_mul_lo_u16_sdwa v3, v1, v2 dst_sel:DWORD dst_unused:UNUSED_PAD src0_sel:WORD_1 src1_sel:DWORD
	s_waitcnt lgkmcnt(0)
	s_cmp_eq_u32 s10, 1
	s_cselect_b64 s[0:1], -1, 0
	s_cmp_lg_u32 s10, 1
	s_cselect_b64 s[20:21], -1, 0
	s_lshl_b64 s[10:11], s[6:7], 3
	s_add_u32 s24, s2, s10
	s_addc_u32 s25, s3, s11
	s_add_u32 s2, s24, 8
	s_addc_u32 s3, s25, 0
	;; [unrolled: 2-line block ×3, first 2 shown]
	s_cmp_eq_u64 s[8:9], 0
	s_cselect_b32 s9, s3, s11
	s_cselect_b32 s8, s2, s10
	s_load_dwordx2 s[2:3], s[8:9], 0x0
	s_load_dwordx2 s[22:23], s[24:25], 0x0
	v_sub_u16_e32 v8, v0, v3
	v_mov_b32_e32 v7, 0
	s_waitcnt lgkmcnt(0)
	v_mov_b32_e32 v4, s3
	v_mov_b32_e32 v3, s2
	v_cmp_ge_i64_e32 vcc, s[22:23], v[3:4]
	s_cbranch_vccnz .LBB273_12
; %bb.8:
	v_mov_b32_e32 v3, 15
	s_load_dwordx4 s[8:11], s[4:5], 0x38
	s_load_dwordx2 s[24:25], s[4:5], 0x48
	v_mul_lo_u16_sdwa v3, v1, v3 dst_sel:DWORD dst_unused:UNUSED_PAD src0_sel:WORD_1 src1_sel:DWORD
	s_sub_u32 s2, s2, s18
	v_mul_lo_u16_sdwa v2, v3, v2 dst_sel:DWORD dst_unused:UNUSED_PAD src0_sel:BYTE_1 src1_sel:DWORD
	s_subb_u32 s3, s3, 0
	v_sub_u16_sdwa v1, v1, v2 dst_sel:DWORD dst_unused:UNUSED_PAD src0_sel:WORD_1 src1_sel:DWORD
	s_sub_u32 s4, s22, s18
	v_and_b32_e32 v1, 0xff, v1
	s_subb_u32 s5, s23, 0
	v_cndmask_b32_e64 v1, v8, v1, s[0:1]
	s_mul_i32 s0, s5, 0x144
	s_mul_hi_u32 s1, s4, 0x144
	s_waitcnt lgkmcnt(0)
	v_mov_b32_e32 v2, s25
	v_add_co_u32_e32 v1, vcc, s24, v1
	s_add_i32 s1, s1, s0
	s_mul_i32 s0, s4, 0x144
	v_addc_co_u32_e32 v2, vcc, 0, v2, vcc
	s_add_u32 s0, s10, s0
	s_addc_u32 s1, s11, s1
	v_add_co_u32_e32 v3, vcc, s0, v0
	s_movk_i32 s0, 0x195
	v_mov_b32_e32 v4, s1
	v_mul_u32_u24_sdwa v5, v0, s0 dst_sel:DWORD dst_unused:UNUSED_PAD src0_sel:WORD_0 src1_sel:DWORD
	v_addc_co_u32_e32 v4, vcc, 0, v4, vcc
	v_lshrrev_b32_e32 v9, 17, v5
	v_mov_b32_e32 v5, s23
	v_add_co_u32_e32 v6, vcc, s22, v9
	v_addc_co_u32_e32 v10, vcc, 0, v5, vcc
	v_subrev_co_u32_e32 v5, vcc, s18, v6
	v_subbrev_co_u32_e32 v6, vcc, 0, v10, vcc
	v_lshlrev_b64 v[5:6], 3, v[5:6]
	v_mov_b32_e32 v10, s9
	v_add_co_u32_e32 v5, vcc, s8, v5
	v_mov_b32_e32 v7, 0
	v_addc_co_u32_e32 v6, vcc, v10, v6, vcc
	s_branch .LBB273_10
.LBB273_9:                              ;   in Loop: Header=BB273_10 Depth=1
	s_or_b64 exec, exec, s[0:1]
	s_add_u32 s4, s4, 1
	v_mov_b32_e32 v11, s3
	s_addc_u32 s5, s5, 0
	v_mov_b32_e32 v10, s2
	v_cmp_lt_i64_e32 vcc, s[4:5], v[10:11]
	v_add_co_u32_e64 v5, s[0:1], 8, v5
	v_addc_co_u32_e64 v6, s[0:1], 0, v6, s[0:1]
	s_cbranch_vccz .LBB273_12
.LBB273_10:                             ; =>This Inner Loop Header: Depth=1
	v_mov_b32_e32 v11, s5
	v_add_co_u32_e32 v10, vcc, s4, v9
	v_addc_co_u32_e32 v11, vcc, 0, v11, vcc
	v_cmp_gt_i64_e32 vcc, s[2:3], v[10:11]
	s_and_saveexec_b64 s[0:1], vcc
	s_cbranch_execz .LBB273_9
; %bb.11:                               ;   in Loop: Header=BB273_10 Depth=1
	global_load_dwordx2 v[10:11], v[5:6], off
	s_waitcnt vmcnt(0)
	v_subrev_co_u32_e32 v10, vcc, s18, v10
	v_subbrev_co_u32_e32 v12, vcc, 0, v11, vcc
	v_mad_u64_u32 v[10:11], s[8:9], v10, 18, v[1:2]
	v_mad_u64_u32 v[11:12], s[8:9], v12, 18, v[11:12]
	global_load_sbyte v12, v[3:4], off
	s_nop 0
	global_load_sbyte v10, v[10:11], off
	v_add_co_u32_e32 v3, vcc, 0x144, v3
	v_addc_co_u32_e32 v4, vcc, 0, v4, vcc
	s_waitcnt vmcnt(1)
	v_cvt_f32_i32_e32 v11, v12
	s_waitcnt vmcnt(0)
	v_cvt_f32_i32_e32 v10, v10
	v_fmac_f32_e32 v7, v11, v10
	s_branch .LBB273_9
.LBB273_12:
	v_lshlrev_b32_e32 v1, 2, v0
	s_and_b64 vcc, exec, s[20:21]
	ds_write_b32 v1, v7
	s_waitcnt lgkmcnt(0)
	s_barrier
	s_cbranch_vccz .LBB273_24
; %bb.13:
	v_cmp_gt_u16_e32 vcc, 2, v8
	s_and_saveexec_b64 s[0:1], vcc
	s_cbranch_execz .LBB273_15
; %bb.14:
	ds_read2_b32 v[2:3], v1 offset1:16
	s_waitcnt lgkmcnt(0)
	v_add_f32_e32 v2, v3, v2
	ds_write_b32 v1, v2
.LBB273_15:
	s_or_b64 exec, exec, s[0:1]
	v_cmp_gt_u16_e64 s[0:1], 8, v8
	s_waitcnt lgkmcnt(0)
	s_barrier
	s_and_saveexec_b64 s[2:3], s[0:1]
	s_cbranch_execz .LBB273_17
; %bb.16:
	ds_read2_b32 v[2:3], v1 offset1:8
	s_waitcnt lgkmcnt(0)
	v_add_f32_e32 v2, v3, v2
	ds_write_b32 v1, v2
.LBB273_17:
	s_or_b64 exec, exec, s[2:3]
	v_cmp_gt_u16_e64 s[0:1], 4, v8
	s_waitcnt lgkmcnt(0)
	s_barrier
	s_and_saveexec_b64 s[2:3], s[0:1]
	s_cbranch_execz .LBB273_19
; %bb.18:
	ds_read2_b32 v[2:3], v1 offset1:4
	s_waitcnt lgkmcnt(0)
	v_add_f32_e32 v2, v3, v2
	ds_write_b32 v1, v2
.LBB273_19:
	s_or_b64 exec, exec, s[2:3]
	s_waitcnt lgkmcnt(0)
	s_barrier
	s_and_saveexec_b64 s[0:1], vcc
	s_cbranch_execz .LBB273_21
; %bb.20:
	ds_read2_b32 v[2:3], v1 offset1:2
	s_waitcnt lgkmcnt(0)
	v_add_f32_e32 v2, v3, v2
	ds_write_b32 v1, v2
.LBB273_21:
	s_or_b64 exec, exec, s[0:1]
	v_cmp_gt_u32_e32 vcc, 18, v0
	v_mov_b32_e32 v2, v7
	s_waitcnt lgkmcnt(0)
	s_barrier
	s_and_saveexec_b64 s[0:1], vcc
	s_cbranch_execz .LBB273_23
; %bb.22:
	s_movk_i32 s2, 0x44
	v_mad_u32_u24 v2, v0, s2, v1
	ds_read_b64 v[2:3], v2
	s_waitcnt lgkmcnt(0)
	v_add_f32_e32 v2, v2, v3
.LBB273_23:
	s_or_b64 exec, exec, s[0:1]
	s_branch .LBB273_36
.LBB273_24:
                                        ; implicit-def: $vgpr2
	s_cbranch_execz .LBB273_36
; %bb.25:
	v_cmp_gt_u32_e32 vcc, 36, v0
	s_and_saveexec_b64 s[0:1], vcc
	s_cbranch_execz .LBB273_27
; %bb.26:
	ds_read_b32 v2, v1 offset:1152
	ds_read_b32 v3, v1
	s_waitcnt lgkmcnt(0)
	v_add_f32_e32 v2, v2, v3
	ds_write_b32 v1, v2
.LBB273_27:
	s_or_b64 exec, exec, s[0:1]
	s_movk_i32 s0, 0x90
	v_cmp_gt_u32_e64 s[0:1], s0, v0
	s_waitcnt lgkmcnt(0)
	s_barrier
	s_and_saveexec_b64 s[2:3], s[0:1]
	s_cbranch_execz .LBB273_29
; %bb.28:
	ds_read2_b32 v[2:3], v1 offset1:144
	s_waitcnt lgkmcnt(0)
	v_add_f32_e32 v2, v3, v2
	ds_write_b32 v1, v2
.LBB273_29:
	s_or_b64 exec, exec, s[2:3]
	s_movk_i32 s0, 0x48
	v_cmp_gt_u32_e64 s[0:1], s0, v0
	s_waitcnt lgkmcnt(0)
	s_barrier
	s_and_saveexec_b64 s[2:3], s[0:1]
	s_cbranch_execz .LBB273_31
; %bb.30:
	ds_read2_b32 v[2:3], v1 offset1:72
	s_waitcnt lgkmcnt(0)
	v_add_f32_e32 v2, v3, v2
	ds_write_b32 v1, v2
.LBB273_31:
	s_or_b64 exec, exec, s[2:3]
	s_waitcnt lgkmcnt(0)
	s_barrier
	s_and_saveexec_b64 s[0:1], vcc
	s_cbranch_execz .LBB273_33
; %bb.32:
	ds_read2_b32 v[2:3], v1 offset1:36
	s_waitcnt lgkmcnt(0)
	v_add_f32_e32 v2, v3, v2
	ds_write_b32 v1, v2
.LBB273_33:
	s_or_b64 exec, exec, s[0:1]
	v_cmp_gt_u32_e32 vcc, 18, v0
	s_waitcnt lgkmcnt(0)
	s_and_saveexec_b64 s[0:1], vcc
	s_cbranch_execz .LBB273_35
; %bb.34:
	ds_read2_b32 v[2:3], v1 offset1:18
	s_waitcnt lgkmcnt(0)
	v_add_f32_e32 v7, v2, v3
.LBB273_35:
	s_or_b64 exec, exec, s[0:1]
	v_mov_b32_e32 v2, v7
.LBB273_36:
	v_cmp_gt_u32_e32 vcc, 18, v0
	s_and_saveexec_b64 s[0:1], vcc
	s_cbranch_execz .LBB273_40
; %bb.37:
	v_cmp_eq_f32_e64 s[0:1], s12, 0
	s_and_b64 vcc, exec, s[0:1]
	v_mul_f32_e32 v0, s14, v2
	s_mul_i32 s2, s7, 0x48
	s_mul_hi_u32 s3, s6, 0x48
	s_mul_i32 s4, s6, 0x48
	s_cbranch_vccz .LBB273_41
; %bb.38:
	s_add_i32 s1, s3, s2
	s_add_u32 s0, s16, s4
	s_addc_u32 s1, s17, s1
	global_store_dword v1, v0, s[0:1]
	s_cbranch_execnz .LBB273_40
.LBB273_39:
	s_add_i32 s3, s3, s2
	s_add_u32 s0, s16, s4
	s_addc_u32 s1, s17, s3
	global_load_dword v2, v1, s[0:1]
	s_waitcnt vmcnt(0)
	v_fmac_f32_e32 v0, s12, v2
	global_store_dword v1, v0, s[0:1]
.LBB273_40:
	s_endpgm
.LBB273_41:
	s_branch .LBB273_39
	.section	.rodata,"a",@progbits
	.p2align	6, 0x0
	.amdhsa_kernel _ZN9rocsparseL20bsrxmvn_17_32_kernelILj18EfllaafEEvT2_20rocsparse_direction_NS_24const_host_device_scalarIT0_EES1_PKS1_PKT1_SA_S7_PKT3_PKT4_S5_PT5_21rocsparse_index_base_b
		.amdhsa_group_segment_fixed_size 1296
		.amdhsa_private_segment_fixed_size 0
		.amdhsa_kernarg_size 104
		.amdhsa_user_sgpr_count 6
		.amdhsa_user_sgpr_private_segment_buffer 1
		.amdhsa_user_sgpr_dispatch_ptr 0
		.amdhsa_user_sgpr_queue_ptr 0
		.amdhsa_user_sgpr_kernarg_segment_ptr 1
		.amdhsa_user_sgpr_dispatch_id 0
		.amdhsa_user_sgpr_flat_scratch_init 0
		.amdhsa_user_sgpr_private_segment_size 0
		.amdhsa_uses_dynamic_stack 0
		.amdhsa_system_sgpr_private_segment_wavefront_offset 0
		.amdhsa_system_sgpr_workgroup_id_x 1
		.amdhsa_system_sgpr_workgroup_id_y 0
		.amdhsa_system_sgpr_workgroup_id_z 0
		.amdhsa_system_sgpr_workgroup_info 0
		.amdhsa_system_vgpr_workitem_id 0
		.amdhsa_next_free_vgpr 13
		.amdhsa_next_free_sgpr 26
		.amdhsa_reserve_vcc 1
		.amdhsa_reserve_flat_scratch 0
		.amdhsa_float_round_mode_32 0
		.amdhsa_float_round_mode_16_64 0
		.amdhsa_float_denorm_mode_32 3
		.amdhsa_float_denorm_mode_16_64 3
		.amdhsa_dx10_clamp 1
		.amdhsa_ieee_mode 1
		.amdhsa_fp16_overflow 0
		.amdhsa_exception_fp_ieee_invalid_op 0
		.amdhsa_exception_fp_denorm_src 0
		.amdhsa_exception_fp_ieee_div_zero 0
		.amdhsa_exception_fp_ieee_overflow 0
		.amdhsa_exception_fp_ieee_underflow 0
		.amdhsa_exception_fp_ieee_inexact 0
		.amdhsa_exception_int_div_zero 0
	.end_amdhsa_kernel
	.section	.text._ZN9rocsparseL20bsrxmvn_17_32_kernelILj18EfllaafEEvT2_20rocsparse_direction_NS_24const_host_device_scalarIT0_EES1_PKS1_PKT1_SA_S7_PKT3_PKT4_S5_PT5_21rocsparse_index_base_b,"axG",@progbits,_ZN9rocsparseL20bsrxmvn_17_32_kernelILj18EfllaafEEvT2_20rocsparse_direction_NS_24const_host_device_scalarIT0_EES1_PKS1_PKT1_SA_S7_PKT3_PKT4_S5_PT5_21rocsparse_index_base_b,comdat
.Lfunc_end273:
	.size	_ZN9rocsparseL20bsrxmvn_17_32_kernelILj18EfllaafEEvT2_20rocsparse_direction_NS_24const_host_device_scalarIT0_EES1_PKS1_PKT1_SA_S7_PKT3_PKT4_S5_PT5_21rocsparse_index_base_b, .Lfunc_end273-_ZN9rocsparseL20bsrxmvn_17_32_kernelILj18EfllaafEEvT2_20rocsparse_direction_NS_24const_host_device_scalarIT0_EES1_PKS1_PKT1_SA_S7_PKT3_PKT4_S5_PT5_21rocsparse_index_base_b
                                        ; -- End function
	.set _ZN9rocsparseL20bsrxmvn_17_32_kernelILj18EfllaafEEvT2_20rocsparse_direction_NS_24const_host_device_scalarIT0_EES1_PKS1_PKT1_SA_S7_PKT3_PKT4_S5_PT5_21rocsparse_index_base_b.num_vgpr, 13
	.set _ZN9rocsparseL20bsrxmvn_17_32_kernelILj18EfllaafEEvT2_20rocsparse_direction_NS_24const_host_device_scalarIT0_EES1_PKS1_PKT1_SA_S7_PKT3_PKT4_S5_PT5_21rocsparse_index_base_b.num_agpr, 0
	.set _ZN9rocsparseL20bsrxmvn_17_32_kernelILj18EfllaafEEvT2_20rocsparse_direction_NS_24const_host_device_scalarIT0_EES1_PKS1_PKT1_SA_S7_PKT3_PKT4_S5_PT5_21rocsparse_index_base_b.numbered_sgpr, 26
	.set _ZN9rocsparseL20bsrxmvn_17_32_kernelILj18EfllaafEEvT2_20rocsparse_direction_NS_24const_host_device_scalarIT0_EES1_PKS1_PKT1_SA_S7_PKT3_PKT4_S5_PT5_21rocsparse_index_base_b.num_named_barrier, 0
	.set _ZN9rocsparseL20bsrxmvn_17_32_kernelILj18EfllaafEEvT2_20rocsparse_direction_NS_24const_host_device_scalarIT0_EES1_PKS1_PKT1_SA_S7_PKT3_PKT4_S5_PT5_21rocsparse_index_base_b.private_seg_size, 0
	.set _ZN9rocsparseL20bsrxmvn_17_32_kernelILj18EfllaafEEvT2_20rocsparse_direction_NS_24const_host_device_scalarIT0_EES1_PKS1_PKT1_SA_S7_PKT3_PKT4_S5_PT5_21rocsparse_index_base_b.uses_vcc, 1
	.set _ZN9rocsparseL20bsrxmvn_17_32_kernelILj18EfllaafEEvT2_20rocsparse_direction_NS_24const_host_device_scalarIT0_EES1_PKS1_PKT1_SA_S7_PKT3_PKT4_S5_PT5_21rocsparse_index_base_b.uses_flat_scratch, 0
	.set _ZN9rocsparseL20bsrxmvn_17_32_kernelILj18EfllaafEEvT2_20rocsparse_direction_NS_24const_host_device_scalarIT0_EES1_PKS1_PKT1_SA_S7_PKT3_PKT4_S5_PT5_21rocsparse_index_base_b.has_dyn_sized_stack, 0
	.set _ZN9rocsparseL20bsrxmvn_17_32_kernelILj18EfllaafEEvT2_20rocsparse_direction_NS_24const_host_device_scalarIT0_EES1_PKS1_PKT1_SA_S7_PKT3_PKT4_S5_PT5_21rocsparse_index_base_b.has_recursion, 0
	.set _ZN9rocsparseL20bsrxmvn_17_32_kernelILj18EfllaafEEvT2_20rocsparse_direction_NS_24const_host_device_scalarIT0_EES1_PKS1_PKT1_SA_S7_PKT3_PKT4_S5_PT5_21rocsparse_index_base_b.has_indirect_call, 0
	.section	.AMDGPU.csdata,"",@progbits
; Kernel info:
; codeLenInByte = 1320
; TotalNumSgprs: 30
; NumVgprs: 13
; ScratchSize: 0
; MemoryBound: 0
; FloatMode: 240
; IeeeMode: 1
; LDSByteSize: 1296 bytes/workgroup (compile time only)
; SGPRBlocks: 3
; VGPRBlocks: 3
; NumSGPRsForWavesPerEU: 30
; NumVGPRsForWavesPerEU: 13
; Occupancy: 10
; WaveLimiterHint : 1
; COMPUTE_PGM_RSRC2:SCRATCH_EN: 0
; COMPUTE_PGM_RSRC2:USER_SGPR: 6
; COMPUTE_PGM_RSRC2:TRAP_HANDLER: 0
; COMPUTE_PGM_RSRC2:TGID_X_EN: 1
; COMPUTE_PGM_RSRC2:TGID_Y_EN: 0
; COMPUTE_PGM_RSRC2:TGID_Z_EN: 0
; COMPUTE_PGM_RSRC2:TIDIG_COMP_CNT: 0
	.section	.text._ZN9rocsparseL20bsrxmvn_17_32_kernelILj19EfllaafEEvT2_20rocsparse_direction_NS_24const_host_device_scalarIT0_EES1_PKS1_PKT1_SA_S7_PKT3_PKT4_S5_PT5_21rocsparse_index_base_b,"axG",@progbits,_ZN9rocsparseL20bsrxmvn_17_32_kernelILj19EfllaafEEvT2_20rocsparse_direction_NS_24const_host_device_scalarIT0_EES1_PKS1_PKT1_SA_S7_PKT3_PKT4_S5_PT5_21rocsparse_index_base_b,comdat
	.globl	_ZN9rocsparseL20bsrxmvn_17_32_kernelILj19EfllaafEEvT2_20rocsparse_direction_NS_24const_host_device_scalarIT0_EES1_PKS1_PKT1_SA_S7_PKT3_PKT4_S5_PT5_21rocsparse_index_base_b ; -- Begin function _ZN9rocsparseL20bsrxmvn_17_32_kernelILj19EfllaafEEvT2_20rocsparse_direction_NS_24const_host_device_scalarIT0_EES1_PKS1_PKT1_SA_S7_PKT3_PKT4_S5_PT5_21rocsparse_index_base_b
	.p2align	8
	.type	_ZN9rocsparseL20bsrxmvn_17_32_kernelILj19EfllaafEEvT2_20rocsparse_direction_NS_24const_host_device_scalarIT0_EES1_PKS1_PKT1_SA_S7_PKT3_PKT4_S5_PT5_21rocsparse_index_base_b,@function
_ZN9rocsparseL20bsrxmvn_17_32_kernelILj19EfllaafEEvT2_20rocsparse_direction_NS_24const_host_device_scalarIT0_EES1_PKS1_PKT1_SA_S7_PKT3_PKT4_S5_PT5_21rocsparse_index_base_b: ; @_ZN9rocsparseL20bsrxmvn_17_32_kernelILj19EfllaafEEvT2_20rocsparse_direction_NS_24const_host_device_scalarIT0_EES1_PKS1_PKT1_SA_S7_PKT3_PKT4_S5_PT5_21rocsparse_index_base_b
; %bb.0:
	s_load_dwordx2 s[18:19], s[4:5], 0x60
	s_load_dwordx2 s[14:15], s[4:5], 0x10
	;; [unrolled: 1-line block ×3, first 2 shown]
	s_waitcnt lgkmcnt(0)
	s_bitcmp1_b32 s19, 0
	s_cselect_b64 s[2:3], -1, 0
	s_xor_b64 s[0:1], s[2:3], -1
	s_and_b64 vcc, exec, s[2:3]
	s_cbranch_vccnz .LBB274_2
; %bb.1:
	s_load_dword s14, s[14:15], 0x0
.LBB274_2:
	s_andn2_b64 vcc, exec, s[0:1]
	s_cbranch_vccnz .LBB274_4
; %bb.3:
	s_load_dword s12, s[12:13], 0x0
.LBB274_4:
	s_waitcnt lgkmcnt(0)
	v_cmp_neq_f32_e64 s[0:1], s14, 0
	v_cmp_neq_f32_e64 s[2:3], s12, 1.0
	s_or_b64 s[0:1], s[0:1], s[2:3]
	s_andn2_b64 vcc, exec, s[0:1]
	s_mov_b32 s7, 0
	s_cbranch_vccnz .LBB274_40
; %bb.5:
	s_load_dwordx4 s[0:3], s[4:5], 0x20
	s_load_dwordx2 s[8:9], s[4:5], 0x30
	s_waitcnt lgkmcnt(0)
	s_cmp_eq_u64 s[0:1], 0
	s_cbranch_scc1 .LBB274_7
; %bb.6:
	s_lshl_b64 s[6:7], s[6:7], 3
	s_add_u32 s0, s0, s6
	s_addc_u32 s1, s1, s7
	s_load_dwordx2 s[0:1], s[0:1], 0x0
	s_waitcnt lgkmcnt(0)
	s_sub_u32 s6, s0, s18
	s_subb_u32 s7, s1, 0
.LBB274_7:
	s_load_dword s10, s[4:5], 0x8
	s_load_dwordx2 s[16:17], s[4:5], 0x58
	v_mul_u32_u24_e32 v1, 0xd7a, v0
	v_mov_b32_e32 v2, 19
	v_mul_lo_u16_sdwa v3, v1, v2 dst_sel:DWORD dst_unused:UNUSED_PAD src0_sel:WORD_1 src1_sel:DWORD
	s_waitcnt lgkmcnt(0)
	s_cmp_eq_u32 s10, 1
	s_cselect_b64 s[0:1], -1, 0
	s_cmp_lg_u32 s10, 1
	s_cselect_b64 s[20:21], -1, 0
	s_lshl_b64 s[10:11], s[6:7], 3
	s_add_u32 s24, s2, s10
	s_addc_u32 s25, s3, s11
	s_add_u32 s2, s24, 8
	s_addc_u32 s3, s25, 0
	;; [unrolled: 2-line block ×3, first 2 shown]
	s_cmp_eq_u64 s[8:9], 0
	s_cselect_b32 s9, s3, s11
	s_cselect_b32 s8, s2, s10
	s_load_dwordx2 s[2:3], s[8:9], 0x0
	s_load_dwordx2 s[22:23], s[24:25], 0x0
	v_sub_u16_e32 v8, v0, v3
	v_mov_b32_e32 v7, 0
	s_waitcnt lgkmcnt(0)
	v_mov_b32_e32 v4, s3
	v_mov_b32_e32 v3, s2
	v_cmp_ge_i64_e32 vcc, s[22:23], v[3:4]
	s_cbranch_vccnz .LBB274_12
; %bb.8:
	v_mov_b32_e32 v3, 14
	s_load_dwordx4 s[8:11], s[4:5], 0x38
	s_load_dwordx2 s[24:25], s[4:5], 0x48
	v_mul_lo_u16_sdwa v3, v1, v3 dst_sel:DWORD dst_unused:UNUSED_PAD src0_sel:WORD_1 src1_sel:DWORD
	s_sub_u32 s2, s2, s18
	v_mul_lo_u16_sdwa v2, v3, v2 dst_sel:DWORD dst_unused:UNUSED_PAD src0_sel:BYTE_1 src1_sel:DWORD
	s_subb_u32 s3, s3, 0
	v_sub_u16_sdwa v1, v1, v2 dst_sel:DWORD dst_unused:UNUSED_PAD src0_sel:WORD_1 src1_sel:DWORD
	s_sub_u32 s4, s22, s18
	v_and_b32_e32 v1, 0xff, v1
	s_subb_u32 s5, s23, 0
	v_cndmask_b32_e64 v1, v8, v1, s[0:1]
	s_mul_i32 s0, s5, 0x169
	s_mul_hi_u32 s1, s4, 0x169
	s_waitcnt lgkmcnt(0)
	v_mov_b32_e32 v2, s25
	v_add_co_u32_e32 v1, vcc, s24, v1
	s_add_i32 s1, s1, s0
	s_mul_i32 s0, s4, 0x169
	v_addc_co_u32_e32 v2, vcc, 0, v2, vcc
	s_add_u32 s0, s10, s0
	s_addc_u32 s1, s11, s1
	v_add_co_u32_e32 v3, vcc, s0, v0
	s_movk_i32 s0, 0xb6
	v_mov_b32_e32 v4, s1
	v_mul_u32_u24_sdwa v5, v0, s0 dst_sel:DWORD dst_unused:UNUSED_PAD src0_sel:WORD_0 src1_sel:DWORD
	v_addc_co_u32_e32 v4, vcc, 0, v4, vcc
	v_lshrrev_b32_e32 v9, 16, v5
	v_mov_b32_e32 v5, s23
	v_add_co_u32_e32 v6, vcc, s22, v9
	v_addc_co_u32_e32 v10, vcc, 0, v5, vcc
	v_subrev_co_u32_e32 v5, vcc, s18, v6
	v_subbrev_co_u32_e32 v6, vcc, 0, v10, vcc
	v_lshlrev_b64 v[5:6], 3, v[5:6]
	v_mov_b32_e32 v10, s9
	v_add_co_u32_e32 v5, vcc, s8, v5
	v_mov_b32_e32 v7, 0
	v_addc_co_u32_e32 v6, vcc, v10, v6, vcc
	s_branch .LBB274_10
.LBB274_9:                              ;   in Loop: Header=BB274_10 Depth=1
	s_or_b64 exec, exec, s[0:1]
	s_add_u32 s4, s4, 1
	v_mov_b32_e32 v11, s3
	s_addc_u32 s5, s5, 0
	v_mov_b32_e32 v10, s2
	v_cmp_lt_i64_e32 vcc, s[4:5], v[10:11]
	v_add_co_u32_e64 v5, s[0:1], 8, v5
	v_addc_co_u32_e64 v6, s[0:1], 0, v6, s[0:1]
	s_cbranch_vccz .LBB274_12
.LBB274_10:                             ; =>This Inner Loop Header: Depth=1
	v_mov_b32_e32 v11, s5
	v_add_co_u32_e32 v10, vcc, s4, v9
	v_addc_co_u32_e32 v11, vcc, 0, v11, vcc
	v_cmp_gt_i64_e32 vcc, s[2:3], v[10:11]
	s_and_saveexec_b64 s[0:1], vcc
	s_cbranch_execz .LBB274_9
; %bb.11:                               ;   in Loop: Header=BB274_10 Depth=1
	global_load_dwordx2 v[10:11], v[5:6], off
	s_waitcnt vmcnt(0)
	v_subrev_co_u32_e32 v10, vcc, s18, v10
	v_subbrev_co_u32_e32 v12, vcc, 0, v11, vcc
	v_mad_u64_u32 v[10:11], s[8:9], v10, 19, v[1:2]
	v_mad_u64_u32 v[11:12], s[8:9], v12, 19, v[11:12]
	global_load_sbyte v12, v[3:4], off
	s_nop 0
	global_load_sbyte v10, v[10:11], off
	v_add_co_u32_e32 v3, vcc, 0x169, v3
	v_addc_co_u32_e32 v4, vcc, 0, v4, vcc
	s_waitcnt vmcnt(1)
	v_cvt_f32_i32_e32 v11, v12
	s_waitcnt vmcnt(0)
	v_cvt_f32_i32_e32 v10, v10
	v_fmac_f32_e32 v7, v11, v10
	s_branch .LBB274_9
.LBB274_12:
	v_lshlrev_b32_e32 v1, 2, v0
	s_and_b64 vcc, exec, s[20:21]
	ds_write_b32 v1, v7
	s_waitcnt lgkmcnt(0)
	s_barrier
	s_cbranch_vccz .LBB274_24
; %bb.13:
	v_cmp_gt_u16_e32 vcc, 3, v8
	s_and_saveexec_b64 s[0:1], vcc
	s_cbranch_execz .LBB274_15
; %bb.14:
	ds_read2_b32 v[2:3], v1 offset1:16
	s_waitcnt lgkmcnt(0)
	v_add_f32_e32 v2, v3, v2
	ds_write_b32 v1, v2
.LBB274_15:
	s_or_b64 exec, exec, s[0:1]
	v_cmp_gt_u16_e32 vcc, 8, v8
	s_waitcnt lgkmcnt(0)
	s_barrier
	s_and_saveexec_b64 s[0:1], vcc
	s_cbranch_execz .LBB274_17
; %bb.16:
	ds_read2_b32 v[2:3], v1 offset1:8
	s_waitcnt lgkmcnt(0)
	v_add_f32_e32 v2, v3, v2
	ds_write_b32 v1, v2
.LBB274_17:
	s_or_b64 exec, exec, s[0:1]
	v_cmp_gt_u16_e32 vcc, 4, v8
	s_waitcnt lgkmcnt(0)
	s_barrier
	;; [unrolled: 12-line block ×3, first 2 shown]
	s_and_saveexec_b64 s[0:1], vcc
	s_cbranch_execz .LBB274_21
; %bb.20:
	ds_read2_b32 v[2:3], v1 offset1:2
	s_waitcnt lgkmcnt(0)
	v_add_f32_e32 v2, v3, v2
	ds_write_b32 v1, v2
.LBB274_21:
	s_or_b64 exec, exec, s[0:1]
	v_cmp_gt_u32_e32 vcc, 19, v0
	v_mov_b32_e32 v2, v7
	s_waitcnt lgkmcnt(0)
	s_barrier
	s_and_saveexec_b64 s[0:1], vcc
	s_cbranch_execz .LBB274_23
; %bb.22:
	s_movk_i32 s2, 0x48
	v_mad_u32_u24 v2, v0, s2, v1
	ds_read2_b32 v[2:3], v2 offset1:1
	s_waitcnt lgkmcnt(0)
	v_add_f32_e32 v2, v2, v3
.LBB274_23:
	s_or_b64 exec, exec, s[0:1]
	s_branch .LBB274_36
.LBB274_24:
                                        ; implicit-def: $vgpr2
	s_cbranch_execz .LBB274_36
; %bb.25:
	v_cmp_gt_u32_e32 vcc, 57, v0
	s_and_saveexec_b64 s[0:1], vcc
	s_cbranch_execz .LBB274_27
; %bb.26:
	ds_read_b32 v2, v1 offset:1216
	ds_read_b32 v3, v1
	s_waitcnt lgkmcnt(0)
	v_add_f32_e32 v2, v2, v3
	ds_write_b32 v1, v2
.LBB274_27:
	s_or_b64 exec, exec, s[0:1]
	s_movk_i32 s0, 0x98
	v_cmp_gt_u32_e32 vcc, s0, v0
	s_waitcnt lgkmcnt(0)
	s_barrier
	s_and_saveexec_b64 s[0:1], vcc
	s_cbranch_execz .LBB274_29
; %bb.28:
	ds_read2_b32 v[2:3], v1 offset1:152
	s_waitcnt lgkmcnt(0)
	v_add_f32_e32 v2, v3, v2
	ds_write_b32 v1, v2
.LBB274_29:
	s_or_b64 exec, exec, s[0:1]
	s_movk_i32 s0, 0x4c
	v_cmp_gt_u32_e32 vcc, s0, v0
	s_waitcnt lgkmcnt(0)
	s_barrier
	s_and_saveexec_b64 s[0:1], vcc
	s_cbranch_execz .LBB274_31
; %bb.30:
	ds_read2_b32 v[2:3], v1 offset1:76
	s_waitcnt lgkmcnt(0)
	v_add_f32_e32 v2, v3, v2
	ds_write_b32 v1, v2
.LBB274_31:
	s_or_b64 exec, exec, s[0:1]
	v_cmp_gt_u32_e32 vcc, 38, v0
	s_waitcnt lgkmcnt(0)
	s_barrier
	s_and_saveexec_b64 s[0:1], vcc
	s_cbranch_execz .LBB274_33
; %bb.32:
	ds_read2_b32 v[2:3], v1 offset1:38
	s_waitcnt lgkmcnt(0)
	v_add_f32_e32 v2, v3, v2
	ds_write_b32 v1, v2
.LBB274_33:
	s_or_b64 exec, exec, s[0:1]
	v_cmp_gt_u32_e32 vcc, 19, v0
	s_waitcnt lgkmcnt(0)
	s_and_saveexec_b64 s[0:1], vcc
	s_cbranch_execz .LBB274_35
; %bb.34:
	ds_read2_b32 v[2:3], v1 offset1:19
	s_waitcnt lgkmcnt(0)
	v_add_f32_e32 v7, v2, v3
.LBB274_35:
	s_or_b64 exec, exec, s[0:1]
	v_mov_b32_e32 v2, v7
.LBB274_36:
	v_cmp_gt_u32_e32 vcc, 19, v0
	s_and_saveexec_b64 s[0:1], vcc
	s_cbranch_execz .LBB274_40
; %bb.37:
	v_cmp_eq_f32_e64 s[0:1], s12, 0
	s_and_b64 vcc, exec, s[0:1]
	v_mul_f32_e32 v0, s14, v2
	s_mul_i32 s2, s7, 0x4c
	s_mul_hi_u32 s3, s6, 0x4c
	s_mul_i32 s4, s6, 0x4c
	s_cbranch_vccz .LBB274_41
; %bb.38:
	s_add_i32 s1, s3, s2
	s_add_u32 s0, s16, s4
	s_addc_u32 s1, s17, s1
	global_store_dword v1, v0, s[0:1]
	s_cbranch_execnz .LBB274_40
.LBB274_39:
	s_add_i32 s3, s3, s2
	s_add_u32 s0, s16, s4
	s_addc_u32 s1, s17, s3
	global_load_dword v2, v1, s[0:1]
	s_waitcnt vmcnt(0)
	v_fmac_f32_e32 v0, s12, v2
	global_store_dword v1, v0, s[0:1]
.LBB274_40:
	s_endpgm
.LBB274_41:
	s_branch .LBB274_39
	.section	.rodata,"a",@progbits
	.p2align	6, 0x0
	.amdhsa_kernel _ZN9rocsparseL20bsrxmvn_17_32_kernelILj19EfllaafEEvT2_20rocsparse_direction_NS_24const_host_device_scalarIT0_EES1_PKS1_PKT1_SA_S7_PKT3_PKT4_S5_PT5_21rocsparse_index_base_b
		.amdhsa_group_segment_fixed_size 1444
		.amdhsa_private_segment_fixed_size 0
		.amdhsa_kernarg_size 104
		.amdhsa_user_sgpr_count 6
		.amdhsa_user_sgpr_private_segment_buffer 1
		.amdhsa_user_sgpr_dispatch_ptr 0
		.amdhsa_user_sgpr_queue_ptr 0
		.amdhsa_user_sgpr_kernarg_segment_ptr 1
		.amdhsa_user_sgpr_dispatch_id 0
		.amdhsa_user_sgpr_flat_scratch_init 0
		.amdhsa_user_sgpr_private_segment_size 0
		.amdhsa_uses_dynamic_stack 0
		.amdhsa_system_sgpr_private_segment_wavefront_offset 0
		.amdhsa_system_sgpr_workgroup_id_x 1
		.amdhsa_system_sgpr_workgroup_id_y 0
		.amdhsa_system_sgpr_workgroup_id_z 0
		.amdhsa_system_sgpr_workgroup_info 0
		.amdhsa_system_vgpr_workitem_id 0
		.amdhsa_next_free_vgpr 13
		.amdhsa_next_free_sgpr 26
		.amdhsa_reserve_vcc 1
		.amdhsa_reserve_flat_scratch 0
		.amdhsa_float_round_mode_32 0
		.amdhsa_float_round_mode_16_64 0
		.amdhsa_float_denorm_mode_32 3
		.amdhsa_float_denorm_mode_16_64 3
		.amdhsa_dx10_clamp 1
		.amdhsa_ieee_mode 1
		.amdhsa_fp16_overflow 0
		.amdhsa_exception_fp_ieee_invalid_op 0
		.amdhsa_exception_fp_denorm_src 0
		.amdhsa_exception_fp_ieee_div_zero 0
		.amdhsa_exception_fp_ieee_overflow 0
		.amdhsa_exception_fp_ieee_underflow 0
		.amdhsa_exception_fp_ieee_inexact 0
		.amdhsa_exception_int_div_zero 0
	.end_amdhsa_kernel
	.section	.text._ZN9rocsparseL20bsrxmvn_17_32_kernelILj19EfllaafEEvT2_20rocsparse_direction_NS_24const_host_device_scalarIT0_EES1_PKS1_PKT1_SA_S7_PKT3_PKT4_S5_PT5_21rocsparse_index_base_b,"axG",@progbits,_ZN9rocsparseL20bsrxmvn_17_32_kernelILj19EfllaafEEvT2_20rocsparse_direction_NS_24const_host_device_scalarIT0_EES1_PKS1_PKT1_SA_S7_PKT3_PKT4_S5_PT5_21rocsparse_index_base_b,comdat
.Lfunc_end274:
	.size	_ZN9rocsparseL20bsrxmvn_17_32_kernelILj19EfllaafEEvT2_20rocsparse_direction_NS_24const_host_device_scalarIT0_EES1_PKS1_PKT1_SA_S7_PKT3_PKT4_S5_PT5_21rocsparse_index_base_b, .Lfunc_end274-_ZN9rocsparseL20bsrxmvn_17_32_kernelILj19EfllaafEEvT2_20rocsparse_direction_NS_24const_host_device_scalarIT0_EES1_PKS1_PKT1_SA_S7_PKT3_PKT4_S5_PT5_21rocsparse_index_base_b
                                        ; -- End function
	.set _ZN9rocsparseL20bsrxmvn_17_32_kernelILj19EfllaafEEvT2_20rocsparse_direction_NS_24const_host_device_scalarIT0_EES1_PKS1_PKT1_SA_S7_PKT3_PKT4_S5_PT5_21rocsparse_index_base_b.num_vgpr, 13
	.set _ZN9rocsparseL20bsrxmvn_17_32_kernelILj19EfllaafEEvT2_20rocsparse_direction_NS_24const_host_device_scalarIT0_EES1_PKS1_PKT1_SA_S7_PKT3_PKT4_S5_PT5_21rocsparse_index_base_b.num_agpr, 0
	.set _ZN9rocsparseL20bsrxmvn_17_32_kernelILj19EfllaafEEvT2_20rocsparse_direction_NS_24const_host_device_scalarIT0_EES1_PKS1_PKT1_SA_S7_PKT3_PKT4_S5_PT5_21rocsparse_index_base_b.numbered_sgpr, 26
	.set _ZN9rocsparseL20bsrxmvn_17_32_kernelILj19EfllaafEEvT2_20rocsparse_direction_NS_24const_host_device_scalarIT0_EES1_PKS1_PKT1_SA_S7_PKT3_PKT4_S5_PT5_21rocsparse_index_base_b.num_named_barrier, 0
	.set _ZN9rocsparseL20bsrxmvn_17_32_kernelILj19EfllaafEEvT2_20rocsparse_direction_NS_24const_host_device_scalarIT0_EES1_PKS1_PKT1_SA_S7_PKT3_PKT4_S5_PT5_21rocsparse_index_base_b.private_seg_size, 0
	.set _ZN9rocsparseL20bsrxmvn_17_32_kernelILj19EfllaafEEvT2_20rocsparse_direction_NS_24const_host_device_scalarIT0_EES1_PKS1_PKT1_SA_S7_PKT3_PKT4_S5_PT5_21rocsparse_index_base_b.uses_vcc, 1
	.set _ZN9rocsparseL20bsrxmvn_17_32_kernelILj19EfllaafEEvT2_20rocsparse_direction_NS_24const_host_device_scalarIT0_EES1_PKS1_PKT1_SA_S7_PKT3_PKT4_S5_PT5_21rocsparse_index_base_b.uses_flat_scratch, 0
	.set _ZN9rocsparseL20bsrxmvn_17_32_kernelILj19EfllaafEEvT2_20rocsparse_direction_NS_24const_host_device_scalarIT0_EES1_PKS1_PKT1_SA_S7_PKT3_PKT4_S5_PT5_21rocsparse_index_base_b.has_dyn_sized_stack, 0
	.set _ZN9rocsparseL20bsrxmvn_17_32_kernelILj19EfllaafEEvT2_20rocsparse_direction_NS_24const_host_device_scalarIT0_EES1_PKS1_PKT1_SA_S7_PKT3_PKT4_S5_PT5_21rocsparse_index_base_b.has_recursion, 0
	.set _ZN9rocsparseL20bsrxmvn_17_32_kernelILj19EfllaafEEvT2_20rocsparse_direction_NS_24const_host_device_scalarIT0_EES1_PKS1_PKT1_SA_S7_PKT3_PKT4_S5_PT5_21rocsparse_index_base_b.has_indirect_call, 0
	.section	.AMDGPU.csdata,"",@progbits
; Kernel info:
; codeLenInByte = 1312
; TotalNumSgprs: 30
; NumVgprs: 13
; ScratchSize: 0
; MemoryBound: 0
; FloatMode: 240
; IeeeMode: 1
; LDSByteSize: 1444 bytes/workgroup (compile time only)
; SGPRBlocks: 3
; VGPRBlocks: 3
; NumSGPRsForWavesPerEU: 30
; NumVGPRsForWavesPerEU: 13
; Occupancy: 10
; WaveLimiterHint : 1
; COMPUTE_PGM_RSRC2:SCRATCH_EN: 0
; COMPUTE_PGM_RSRC2:USER_SGPR: 6
; COMPUTE_PGM_RSRC2:TRAP_HANDLER: 0
; COMPUTE_PGM_RSRC2:TGID_X_EN: 1
; COMPUTE_PGM_RSRC2:TGID_Y_EN: 0
; COMPUTE_PGM_RSRC2:TGID_Z_EN: 0
; COMPUTE_PGM_RSRC2:TIDIG_COMP_CNT: 0
	.section	.text._ZN9rocsparseL20bsrxmvn_17_32_kernelILj20EfllaafEEvT2_20rocsparse_direction_NS_24const_host_device_scalarIT0_EES1_PKS1_PKT1_SA_S7_PKT3_PKT4_S5_PT5_21rocsparse_index_base_b,"axG",@progbits,_ZN9rocsparseL20bsrxmvn_17_32_kernelILj20EfllaafEEvT2_20rocsparse_direction_NS_24const_host_device_scalarIT0_EES1_PKS1_PKT1_SA_S7_PKT3_PKT4_S5_PT5_21rocsparse_index_base_b,comdat
	.globl	_ZN9rocsparseL20bsrxmvn_17_32_kernelILj20EfllaafEEvT2_20rocsparse_direction_NS_24const_host_device_scalarIT0_EES1_PKS1_PKT1_SA_S7_PKT3_PKT4_S5_PT5_21rocsparse_index_base_b ; -- Begin function _ZN9rocsparseL20bsrxmvn_17_32_kernelILj20EfllaafEEvT2_20rocsparse_direction_NS_24const_host_device_scalarIT0_EES1_PKS1_PKT1_SA_S7_PKT3_PKT4_S5_PT5_21rocsparse_index_base_b
	.p2align	8
	.type	_ZN9rocsparseL20bsrxmvn_17_32_kernelILj20EfllaafEEvT2_20rocsparse_direction_NS_24const_host_device_scalarIT0_EES1_PKS1_PKT1_SA_S7_PKT3_PKT4_S5_PT5_21rocsparse_index_base_b,@function
_ZN9rocsparseL20bsrxmvn_17_32_kernelILj20EfllaafEEvT2_20rocsparse_direction_NS_24const_host_device_scalarIT0_EES1_PKS1_PKT1_SA_S7_PKT3_PKT4_S5_PT5_21rocsparse_index_base_b: ; @_ZN9rocsparseL20bsrxmvn_17_32_kernelILj20EfllaafEEvT2_20rocsparse_direction_NS_24const_host_device_scalarIT0_EES1_PKS1_PKT1_SA_S7_PKT3_PKT4_S5_PT5_21rocsparse_index_base_b
; %bb.0:
	s_load_dwordx2 s[18:19], s[4:5], 0x60
	s_load_dwordx2 s[14:15], s[4:5], 0x10
	;; [unrolled: 1-line block ×3, first 2 shown]
	s_waitcnt lgkmcnt(0)
	s_bitcmp1_b32 s19, 0
	s_cselect_b64 s[2:3], -1, 0
	s_xor_b64 s[0:1], s[2:3], -1
	s_and_b64 vcc, exec, s[2:3]
	s_cbranch_vccnz .LBB275_2
; %bb.1:
	s_load_dword s14, s[14:15], 0x0
.LBB275_2:
	s_andn2_b64 vcc, exec, s[0:1]
	s_cbranch_vccnz .LBB275_4
; %bb.3:
	s_load_dword s12, s[12:13], 0x0
.LBB275_4:
	s_waitcnt lgkmcnt(0)
	v_cmp_neq_f32_e64 s[0:1], s14, 0
	v_cmp_neq_f32_e64 s[2:3], s12, 1.0
	s_or_b64 s[0:1], s[0:1], s[2:3]
	s_andn2_b64 vcc, exec, s[0:1]
	s_mov_b32 s7, 0
	s_cbranch_vccnz .LBB275_40
; %bb.5:
	s_load_dwordx4 s[0:3], s[4:5], 0x20
	s_load_dwordx2 s[8:9], s[4:5], 0x30
	s_waitcnt lgkmcnt(0)
	s_cmp_eq_u64 s[0:1], 0
	s_cbranch_scc1 .LBB275_7
; %bb.6:
	s_lshl_b64 s[6:7], s[6:7], 3
	s_add_u32 s0, s0, s6
	s_addc_u32 s1, s1, s7
	s_load_dwordx2 s[0:1], s[0:1], 0x0
	s_waitcnt lgkmcnt(0)
	s_sub_u32 s6, s0, s18
	s_subb_u32 s7, s1, 0
.LBB275_7:
	s_load_dword s10, s[4:5], 0x8
	s_load_dwordx2 s[16:17], s[4:5], 0x58
	v_mul_u32_u24_e32 v1, 0xccd, v0
	v_mov_b32_e32 v2, 20
	v_mul_lo_u16_sdwa v3, v1, v2 dst_sel:DWORD dst_unused:UNUSED_PAD src0_sel:WORD_1 src1_sel:DWORD
	s_waitcnt lgkmcnt(0)
	s_cmp_eq_u32 s10, 1
	s_cselect_b64 s[0:1], -1, 0
	s_cmp_lg_u32 s10, 1
	s_cselect_b64 s[20:21], -1, 0
	s_lshl_b64 s[10:11], s[6:7], 3
	s_add_u32 s24, s2, s10
	s_addc_u32 s25, s3, s11
	s_add_u32 s2, s24, 8
	s_addc_u32 s3, s25, 0
	;; [unrolled: 2-line block ×3, first 2 shown]
	s_cmp_eq_u64 s[8:9], 0
	s_cselect_b32 s9, s3, s11
	s_cselect_b32 s8, s2, s10
	s_load_dwordx2 s[2:3], s[8:9], 0x0
	s_load_dwordx2 s[22:23], s[24:25], 0x0
	v_sub_u16_e32 v8, v0, v3
	v_mov_b32_e32 v7, 0
	s_waitcnt lgkmcnt(0)
	v_mov_b32_e32 v4, s3
	v_mov_b32_e32 v3, s2
	v_cmp_ge_i64_e32 vcc, s[22:23], v[3:4]
	s_cbranch_vccnz .LBB275_12
; %bb.8:
	v_mov_b32_e32 v3, 13
	s_load_dwordx4 s[8:11], s[4:5], 0x38
	s_load_dwordx2 s[24:25], s[4:5], 0x48
	v_mul_lo_u16_sdwa v3, v1, v3 dst_sel:DWORD dst_unused:UNUSED_PAD src0_sel:WORD_1 src1_sel:DWORD
	s_sub_u32 s2, s2, s18
	v_mul_lo_u16_sdwa v2, v3, v2 dst_sel:DWORD dst_unused:UNUSED_PAD src0_sel:BYTE_1 src1_sel:DWORD
	s_subb_u32 s3, s3, 0
	v_sub_u16_sdwa v1, v1, v2 dst_sel:DWORD dst_unused:UNUSED_PAD src0_sel:WORD_1 src1_sel:DWORD
	s_sub_u32 s4, s22, s18
	v_and_b32_e32 v1, 0xff, v1
	s_subb_u32 s5, s23, 0
	v_cndmask_b32_e64 v1, v8, v1, s[0:1]
	s_mul_i32 s0, s5, 0x190
	s_mul_hi_u32 s1, s4, 0x190
	s_waitcnt lgkmcnt(0)
	v_mov_b32_e32 v2, s25
	v_add_co_u32_e32 v1, vcc, s24, v1
	s_add_i32 s1, s1, s0
	s_mul_i32 s0, s4, 0x190
	v_addc_co_u32_e32 v2, vcc, 0, v2, vcc
	s_add_u32 s0, s10, s0
	s_addc_u32 s1, s11, s1
	v_add_co_u32_e32 v3, vcc, s0, v0
	s_movk_i32 s0, 0xa4
	v_mov_b32_e32 v4, s1
	v_mul_u32_u24_sdwa v5, v0, s0 dst_sel:DWORD dst_unused:UNUSED_PAD src0_sel:WORD_0 src1_sel:DWORD
	v_addc_co_u32_e32 v4, vcc, 0, v4, vcc
	v_lshrrev_b32_e32 v9, 16, v5
	v_mov_b32_e32 v5, s23
	v_add_co_u32_e32 v6, vcc, s22, v9
	v_addc_co_u32_e32 v10, vcc, 0, v5, vcc
	v_subrev_co_u32_e32 v5, vcc, s18, v6
	v_subbrev_co_u32_e32 v6, vcc, 0, v10, vcc
	v_lshlrev_b64 v[5:6], 3, v[5:6]
	v_mov_b32_e32 v10, s9
	v_add_co_u32_e32 v5, vcc, s8, v5
	v_mov_b32_e32 v7, 0
	v_addc_co_u32_e32 v6, vcc, v10, v6, vcc
	s_branch .LBB275_10
.LBB275_9:                              ;   in Loop: Header=BB275_10 Depth=1
	s_or_b64 exec, exec, s[0:1]
	s_add_u32 s4, s4, 1
	v_mov_b32_e32 v11, s3
	s_addc_u32 s5, s5, 0
	v_mov_b32_e32 v10, s2
	v_cmp_lt_i64_e32 vcc, s[4:5], v[10:11]
	v_add_co_u32_e64 v5, s[0:1], 8, v5
	v_addc_co_u32_e64 v6, s[0:1], 0, v6, s[0:1]
	s_cbranch_vccz .LBB275_12
.LBB275_10:                             ; =>This Inner Loop Header: Depth=1
	v_mov_b32_e32 v11, s5
	v_add_co_u32_e32 v10, vcc, s4, v9
	v_addc_co_u32_e32 v11, vcc, 0, v11, vcc
	v_cmp_gt_i64_e32 vcc, s[2:3], v[10:11]
	s_and_saveexec_b64 s[0:1], vcc
	s_cbranch_execz .LBB275_9
; %bb.11:                               ;   in Loop: Header=BB275_10 Depth=1
	global_load_dwordx2 v[10:11], v[5:6], off
	s_waitcnt vmcnt(0)
	v_subrev_co_u32_e32 v10, vcc, s18, v10
	v_subbrev_co_u32_e32 v12, vcc, 0, v11, vcc
	v_mad_u64_u32 v[10:11], s[8:9], v10, 20, v[1:2]
	v_mad_u64_u32 v[11:12], s[8:9], v12, 20, v[11:12]
	global_load_sbyte v12, v[3:4], off
	s_nop 0
	global_load_sbyte v10, v[10:11], off
	v_add_co_u32_e32 v3, vcc, 0x190, v3
	v_addc_co_u32_e32 v4, vcc, 0, v4, vcc
	s_waitcnt vmcnt(1)
	v_cvt_f32_i32_e32 v11, v12
	s_waitcnt vmcnt(0)
	v_cvt_f32_i32_e32 v10, v10
	v_fmac_f32_e32 v7, v11, v10
	s_branch .LBB275_9
.LBB275_12:
	v_lshlrev_b32_e32 v1, 2, v0
	s_and_b64 vcc, exec, s[20:21]
	ds_write_b32 v1, v7
	s_waitcnt lgkmcnt(0)
	s_barrier
	s_cbranch_vccz .LBB275_24
; %bb.13:
	v_cmp_gt_u16_e32 vcc, 4, v8
	s_and_saveexec_b64 s[0:1], vcc
	s_cbranch_execz .LBB275_15
; %bb.14:
	ds_read2_b32 v[2:3], v1 offset1:16
	s_waitcnt lgkmcnt(0)
	v_add_f32_e32 v2, v3, v2
	ds_write_b32 v1, v2
.LBB275_15:
	s_or_b64 exec, exec, s[0:1]
	v_cmp_gt_u16_e64 s[0:1], 8, v8
	s_waitcnt lgkmcnt(0)
	s_barrier
	s_and_saveexec_b64 s[2:3], s[0:1]
	s_cbranch_execz .LBB275_17
; %bb.16:
	ds_read2_b32 v[2:3], v1 offset1:8
	s_waitcnt lgkmcnt(0)
	v_add_f32_e32 v2, v3, v2
	ds_write_b32 v1, v2
.LBB275_17:
	s_or_b64 exec, exec, s[2:3]
	s_waitcnt lgkmcnt(0)
	s_barrier
	s_and_saveexec_b64 s[0:1], vcc
	s_cbranch_execz .LBB275_19
; %bb.18:
	ds_read2_b32 v[2:3], v1 offset1:4
	s_waitcnt lgkmcnt(0)
	v_add_f32_e32 v2, v3, v2
	ds_write_b32 v1, v2
.LBB275_19:
	s_or_b64 exec, exec, s[0:1]
	v_cmp_gt_u16_e32 vcc, 2, v8
	s_waitcnt lgkmcnt(0)
	s_barrier
	s_and_saveexec_b64 s[0:1], vcc
	s_cbranch_execz .LBB275_21
; %bb.20:
	ds_read2_b32 v[2:3], v1 offset1:2
	s_waitcnt lgkmcnt(0)
	v_add_f32_e32 v2, v3, v2
	ds_write_b32 v1, v2
.LBB275_21:
	s_or_b64 exec, exec, s[0:1]
	v_cmp_gt_u32_e32 vcc, 20, v0
	v_mov_b32_e32 v2, v7
	s_waitcnt lgkmcnt(0)
	s_barrier
	s_and_saveexec_b64 s[0:1], vcc
	s_cbranch_execz .LBB275_23
; %bb.22:
	s_movk_i32 s2, 0x4c
	v_mad_u32_u24 v2, v0, s2, v1
	ds_read_b64 v[2:3], v2
	s_waitcnt lgkmcnt(0)
	v_add_f32_e32 v2, v2, v3
.LBB275_23:
	s_or_b64 exec, exec, s[0:1]
	s_branch .LBB275_36
.LBB275_24:
                                        ; implicit-def: $vgpr2
	s_cbranch_execz .LBB275_36
; %bb.25:
	s_movk_i32 s0, 0x50
	v_cmp_gt_u32_e32 vcc, s0, v0
	s_and_saveexec_b64 s[0:1], vcc
	s_cbranch_execz .LBB275_27
; %bb.26:
	ds_read2st64_b32 v[2:3], v1 offset1:5
	s_waitcnt lgkmcnt(0)
	v_add_f32_e32 v2, v3, v2
	ds_write_b32 v1, v2
.LBB275_27:
	s_or_b64 exec, exec, s[0:1]
	s_movk_i32 s0, 0xa0
	v_cmp_gt_u32_e64 s[0:1], s0, v0
	s_waitcnt lgkmcnt(0)
	s_barrier
	s_and_saveexec_b64 s[2:3], s[0:1]
	s_cbranch_execz .LBB275_29
; %bb.28:
	ds_read2_b32 v[2:3], v1 offset1:160
	s_waitcnt lgkmcnt(0)
	v_add_f32_e32 v2, v3, v2
	ds_write_b32 v1, v2
.LBB275_29:
	s_or_b64 exec, exec, s[2:3]
	s_waitcnt lgkmcnt(0)
	s_barrier
	s_and_saveexec_b64 s[0:1], vcc
	s_cbranch_execz .LBB275_31
; %bb.30:
	ds_read2_b32 v[2:3], v1 offset1:80
	s_waitcnt lgkmcnt(0)
	v_add_f32_e32 v2, v3, v2
	ds_write_b32 v1, v2
.LBB275_31:
	s_or_b64 exec, exec, s[0:1]
	v_cmp_gt_u32_e32 vcc, 40, v0
	s_waitcnt lgkmcnt(0)
	s_barrier
	s_and_saveexec_b64 s[0:1], vcc
	s_cbranch_execz .LBB275_33
; %bb.32:
	ds_read2_b32 v[2:3], v1 offset1:40
	s_waitcnt lgkmcnt(0)
	v_add_f32_e32 v2, v3, v2
	ds_write_b32 v1, v2
.LBB275_33:
	s_or_b64 exec, exec, s[0:1]
	v_cmp_gt_u32_e32 vcc, 20, v0
	s_waitcnt lgkmcnt(0)
	s_and_saveexec_b64 s[0:1], vcc
	s_cbranch_execz .LBB275_35
; %bb.34:
	ds_read2_b32 v[2:3], v1 offset1:20
	s_waitcnt lgkmcnt(0)
	v_add_f32_e32 v7, v2, v3
.LBB275_35:
	s_or_b64 exec, exec, s[0:1]
	v_mov_b32_e32 v2, v7
.LBB275_36:
	v_cmp_gt_u32_e32 vcc, 20, v0
	s_and_saveexec_b64 s[0:1], vcc
	s_cbranch_execz .LBB275_40
; %bb.37:
	v_cmp_eq_f32_e64 s[0:1], s12, 0
	s_and_b64 vcc, exec, s[0:1]
	v_mul_f32_e32 v0, s14, v2
	s_mul_i32 s2, s7, 0x50
	s_mul_hi_u32 s3, s6, 0x50
	s_mul_i32 s4, s6, 0x50
	s_cbranch_vccz .LBB275_41
; %bb.38:
	s_add_i32 s1, s3, s2
	s_add_u32 s0, s16, s4
	s_addc_u32 s1, s17, s1
	global_store_dword v1, v0, s[0:1]
	s_cbranch_execnz .LBB275_40
.LBB275_39:
	s_add_i32 s3, s3, s2
	s_add_u32 s0, s16, s4
	s_addc_u32 s1, s17, s3
	global_load_dword v2, v1, s[0:1]
	s_waitcnt vmcnt(0)
	v_fmac_f32_e32 v0, s12, v2
	global_store_dword v1, v0, s[0:1]
.LBB275_40:
	s_endpgm
.LBB275_41:
	s_branch .LBB275_39
	.section	.rodata,"a",@progbits
	.p2align	6, 0x0
	.amdhsa_kernel _ZN9rocsparseL20bsrxmvn_17_32_kernelILj20EfllaafEEvT2_20rocsparse_direction_NS_24const_host_device_scalarIT0_EES1_PKS1_PKT1_SA_S7_PKT3_PKT4_S5_PT5_21rocsparse_index_base_b
		.amdhsa_group_segment_fixed_size 1600
		.amdhsa_private_segment_fixed_size 0
		.amdhsa_kernarg_size 104
		.amdhsa_user_sgpr_count 6
		.amdhsa_user_sgpr_private_segment_buffer 1
		.amdhsa_user_sgpr_dispatch_ptr 0
		.amdhsa_user_sgpr_queue_ptr 0
		.amdhsa_user_sgpr_kernarg_segment_ptr 1
		.amdhsa_user_sgpr_dispatch_id 0
		.amdhsa_user_sgpr_flat_scratch_init 0
		.amdhsa_user_sgpr_private_segment_size 0
		.amdhsa_uses_dynamic_stack 0
		.amdhsa_system_sgpr_private_segment_wavefront_offset 0
		.amdhsa_system_sgpr_workgroup_id_x 1
		.amdhsa_system_sgpr_workgroup_id_y 0
		.amdhsa_system_sgpr_workgroup_id_z 0
		.amdhsa_system_sgpr_workgroup_info 0
		.amdhsa_system_vgpr_workitem_id 0
		.amdhsa_next_free_vgpr 13
		.amdhsa_next_free_sgpr 26
		.amdhsa_reserve_vcc 1
		.amdhsa_reserve_flat_scratch 0
		.amdhsa_float_round_mode_32 0
		.amdhsa_float_round_mode_16_64 0
		.amdhsa_float_denorm_mode_32 3
		.amdhsa_float_denorm_mode_16_64 3
		.amdhsa_dx10_clamp 1
		.amdhsa_ieee_mode 1
		.amdhsa_fp16_overflow 0
		.amdhsa_exception_fp_ieee_invalid_op 0
		.amdhsa_exception_fp_denorm_src 0
		.amdhsa_exception_fp_ieee_div_zero 0
		.amdhsa_exception_fp_ieee_overflow 0
		.amdhsa_exception_fp_ieee_underflow 0
		.amdhsa_exception_fp_ieee_inexact 0
		.amdhsa_exception_int_div_zero 0
	.end_amdhsa_kernel
	.section	.text._ZN9rocsparseL20bsrxmvn_17_32_kernelILj20EfllaafEEvT2_20rocsparse_direction_NS_24const_host_device_scalarIT0_EES1_PKS1_PKT1_SA_S7_PKT3_PKT4_S5_PT5_21rocsparse_index_base_b,"axG",@progbits,_ZN9rocsparseL20bsrxmvn_17_32_kernelILj20EfllaafEEvT2_20rocsparse_direction_NS_24const_host_device_scalarIT0_EES1_PKS1_PKT1_SA_S7_PKT3_PKT4_S5_PT5_21rocsparse_index_base_b,comdat
.Lfunc_end275:
	.size	_ZN9rocsparseL20bsrxmvn_17_32_kernelILj20EfllaafEEvT2_20rocsparse_direction_NS_24const_host_device_scalarIT0_EES1_PKS1_PKT1_SA_S7_PKT3_PKT4_S5_PT5_21rocsparse_index_base_b, .Lfunc_end275-_ZN9rocsparseL20bsrxmvn_17_32_kernelILj20EfllaafEEvT2_20rocsparse_direction_NS_24const_host_device_scalarIT0_EES1_PKS1_PKT1_SA_S7_PKT3_PKT4_S5_PT5_21rocsparse_index_base_b
                                        ; -- End function
	.set _ZN9rocsparseL20bsrxmvn_17_32_kernelILj20EfllaafEEvT2_20rocsparse_direction_NS_24const_host_device_scalarIT0_EES1_PKS1_PKT1_SA_S7_PKT3_PKT4_S5_PT5_21rocsparse_index_base_b.num_vgpr, 13
	.set _ZN9rocsparseL20bsrxmvn_17_32_kernelILj20EfllaafEEvT2_20rocsparse_direction_NS_24const_host_device_scalarIT0_EES1_PKS1_PKT1_SA_S7_PKT3_PKT4_S5_PT5_21rocsparse_index_base_b.num_agpr, 0
	.set _ZN9rocsparseL20bsrxmvn_17_32_kernelILj20EfllaafEEvT2_20rocsparse_direction_NS_24const_host_device_scalarIT0_EES1_PKS1_PKT1_SA_S7_PKT3_PKT4_S5_PT5_21rocsparse_index_base_b.numbered_sgpr, 26
	.set _ZN9rocsparseL20bsrxmvn_17_32_kernelILj20EfllaafEEvT2_20rocsparse_direction_NS_24const_host_device_scalarIT0_EES1_PKS1_PKT1_SA_S7_PKT3_PKT4_S5_PT5_21rocsparse_index_base_b.num_named_barrier, 0
	.set _ZN9rocsparseL20bsrxmvn_17_32_kernelILj20EfllaafEEvT2_20rocsparse_direction_NS_24const_host_device_scalarIT0_EES1_PKS1_PKT1_SA_S7_PKT3_PKT4_S5_PT5_21rocsparse_index_base_b.private_seg_size, 0
	.set _ZN9rocsparseL20bsrxmvn_17_32_kernelILj20EfllaafEEvT2_20rocsparse_direction_NS_24const_host_device_scalarIT0_EES1_PKS1_PKT1_SA_S7_PKT3_PKT4_S5_PT5_21rocsparse_index_base_b.uses_vcc, 1
	.set _ZN9rocsparseL20bsrxmvn_17_32_kernelILj20EfllaafEEvT2_20rocsparse_direction_NS_24const_host_device_scalarIT0_EES1_PKS1_PKT1_SA_S7_PKT3_PKT4_S5_PT5_21rocsparse_index_base_b.uses_flat_scratch, 0
	.set _ZN9rocsparseL20bsrxmvn_17_32_kernelILj20EfllaafEEvT2_20rocsparse_direction_NS_24const_host_device_scalarIT0_EES1_PKS1_PKT1_SA_S7_PKT3_PKT4_S5_PT5_21rocsparse_index_base_b.has_dyn_sized_stack, 0
	.set _ZN9rocsparseL20bsrxmvn_17_32_kernelILj20EfllaafEEvT2_20rocsparse_direction_NS_24const_host_device_scalarIT0_EES1_PKS1_PKT1_SA_S7_PKT3_PKT4_S5_PT5_21rocsparse_index_base_b.has_recursion, 0
	.set _ZN9rocsparseL20bsrxmvn_17_32_kernelILj20EfllaafEEvT2_20rocsparse_direction_NS_24const_host_device_scalarIT0_EES1_PKS1_PKT1_SA_S7_PKT3_PKT4_S5_PT5_21rocsparse_index_base_b.has_indirect_call, 0
	.section	.AMDGPU.csdata,"",@progbits
; Kernel info:
; codeLenInByte = 1304
; TotalNumSgprs: 30
; NumVgprs: 13
; ScratchSize: 0
; MemoryBound: 0
; FloatMode: 240
; IeeeMode: 1
; LDSByteSize: 1600 bytes/workgroup (compile time only)
; SGPRBlocks: 3
; VGPRBlocks: 3
; NumSGPRsForWavesPerEU: 30
; NumVGPRsForWavesPerEU: 13
; Occupancy: 10
; WaveLimiterHint : 1
; COMPUTE_PGM_RSRC2:SCRATCH_EN: 0
; COMPUTE_PGM_RSRC2:USER_SGPR: 6
; COMPUTE_PGM_RSRC2:TRAP_HANDLER: 0
; COMPUTE_PGM_RSRC2:TGID_X_EN: 1
; COMPUTE_PGM_RSRC2:TGID_Y_EN: 0
; COMPUTE_PGM_RSRC2:TGID_Z_EN: 0
; COMPUTE_PGM_RSRC2:TIDIG_COMP_CNT: 0
	.section	.text._ZN9rocsparseL20bsrxmvn_17_32_kernelILj21EfllaafEEvT2_20rocsparse_direction_NS_24const_host_device_scalarIT0_EES1_PKS1_PKT1_SA_S7_PKT3_PKT4_S5_PT5_21rocsparse_index_base_b,"axG",@progbits,_ZN9rocsparseL20bsrxmvn_17_32_kernelILj21EfllaafEEvT2_20rocsparse_direction_NS_24const_host_device_scalarIT0_EES1_PKS1_PKT1_SA_S7_PKT3_PKT4_S5_PT5_21rocsparse_index_base_b,comdat
	.globl	_ZN9rocsparseL20bsrxmvn_17_32_kernelILj21EfllaafEEvT2_20rocsparse_direction_NS_24const_host_device_scalarIT0_EES1_PKS1_PKT1_SA_S7_PKT3_PKT4_S5_PT5_21rocsparse_index_base_b ; -- Begin function _ZN9rocsparseL20bsrxmvn_17_32_kernelILj21EfllaafEEvT2_20rocsparse_direction_NS_24const_host_device_scalarIT0_EES1_PKS1_PKT1_SA_S7_PKT3_PKT4_S5_PT5_21rocsparse_index_base_b
	.p2align	8
	.type	_ZN9rocsparseL20bsrxmvn_17_32_kernelILj21EfllaafEEvT2_20rocsparse_direction_NS_24const_host_device_scalarIT0_EES1_PKS1_PKT1_SA_S7_PKT3_PKT4_S5_PT5_21rocsparse_index_base_b,@function
_ZN9rocsparseL20bsrxmvn_17_32_kernelILj21EfllaafEEvT2_20rocsparse_direction_NS_24const_host_device_scalarIT0_EES1_PKS1_PKT1_SA_S7_PKT3_PKT4_S5_PT5_21rocsparse_index_base_b: ; @_ZN9rocsparseL20bsrxmvn_17_32_kernelILj21EfllaafEEvT2_20rocsparse_direction_NS_24const_host_device_scalarIT0_EES1_PKS1_PKT1_SA_S7_PKT3_PKT4_S5_PT5_21rocsparse_index_base_b
; %bb.0:
	s_load_dwordx2 s[18:19], s[4:5], 0x60
	s_load_dwordx2 s[14:15], s[4:5], 0x10
	;; [unrolled: 1-line block ×3, first 2 shown]
	s_waitcnt lgkmcnt(0)
	s_bitcmp1_b32 s19, 0
	s_cselect_b64 s[2:3], -1, 0
	s_xor_b64 s[0:1], s[2:3], -1
	s_and_b64 vcc, exec, s[2:3]
	s_cbranch_vccnz .LBB276_2
; %bb.1:
	s_load_dword s14, s[14:15], 0x0
.LBB276_2:
	s_andn2_b64 vcc, exec, s[0:1]
	s_cbranch_vccnz .LBB276_4
; %bb.3:
	s_load_dword s12, s[12:13], 0x0
.LBB276_4:
	s_waitcnt lgkmcnt(0)
	v_cmp_neq_f32_e64 s[0:1], s14, 0
	v_cmp_neq_f32_e64 s[2:3], s12, 1.0
	s_or_b64 s[0:1], s[0:1], s[2:3]
	s_andn2_b64 vcc, exec, s[0:1]
	s_mov_b32 s7, 0
	s_cbranch_vccnz .LBB276_40
; %bb.5:
	s_load_dwordx4 s[0:3], s[4:5], 0x20
	s_load_dwordx2 s[8:9], s[4:5], 0x30
	s_waitcnt lgkmcnt(0)
	s_cmp_eq_u64 s[0:1], 0
	s_cbranch_scc1 .LBB276_7
; %bb.6:
	s_lshl_b64 s[6:7], s[6:7], 3
	s_add_u32 s0, s0, s6
	s_addc_u32 s1, s1, s7
	s_load_dwordx2 s[0:1], s[0:1], 0x0
	s_waitcnt lgkmcnt(0)
	s_sub_u32 s6, s0, s18
	s_subb_u32 s7, s1, 0
.LBB276_7:
	s_load_dword s10, s[4:5], 0x8
	s_load_dwordx2 s[16:17], s[4:5], 0x58
	v_mul_u32_u24_e32 v1, 0xc31, v0
	v_mov_b32_e32 v2, 21
	v_mul_lo_u16_sdwa v2, v1, v2 dst_sel:DWORD dst_unused:UNUSED_PAD src0_sel:WORD_1 src1_sel:DWORD
	s_waitcnt lgkmcnt(0)
	s_cmp_eq_u32 s10, 1
	s_cselect_b64 s[0:1], -1, 0
	s_cmp_lg_u32 s10, 1
	s_cselect_b64 s[20:21], -1, 0
	s_lshl_b64 s[10:11], s[6:7], 3
	s_add_u32 s24, s2, s10
	s_addc_u32 s25, s3, s11
	s_add_u32 s2, s24, 8
	s_addc_u32 s3, s25, 0
	;; [unrolled: 2-line block ×3, first 2 shown]
	s_cmp_eq_u64 s[8:9], 0
	s_cselect_b32 s9, s3, s11
	s_cselect_b32 s8, s2, s10
	s_load_dwordx2 s[2:3], s[8:9], 0x0
	s_load_dwordx2 s[22:23], s[24:25], 0x0
	v_sub_u16_e32 v8, v0, v2
	v_mov_b32_e32 v7, 0
	s_waitcnt lgkmcnt(0)
	v_mov_b32_e32 v2, s2
	v_mov_b32_e32 v3, s3
	v_cmp_ge_i64_e32 vcc, s[22:23], v[2:3]
	s_cbranch_vccnz .LBB276_12
; %bb.8:
	v_mov_b32_e32 v2, 25
	v_mul_lo_u16_sdwa v2, v1, v2 dst_sel:DWORD dst_unused:UNUSED_PAD src0_sel:WORD_1 src1_sel:DWORD
	s_load_dwordx4 s[8:11], s[4:5], 0x38
	s_load_dwordx2 s[24:25], s[4:5], 0x48
	v_lshrrev_b16_e32 v2, 9, v2
	s_sub_u32 s2, s2, s18
	v_mul_lo_u16_e32 v2, 21, v2
	s_subb_u32 s3, s3, 0
	v_sub_u16_sdwa v1, v1, v2 dst_sel:DWORD dst_unused:UNUSED_PAD src0_sel:WORD_1 src1_sel:DWORD
	s_sub_u32 s4, s22, s18
	v_and_b32_e32 v1, 0xff, v1
	s_subb_u32 s5, s23, 0
	v_cndmask_b32_e64 v1, v8, v1, s[0:1]
	s_mul_i32 s0, s5, 0x1b9
	s_mul_hi_u32 s1, s4, 0x1b9
	s_waitcnt lgkmcnt(0)
	v_mov_b32_e32 v2, s25
	v_add_co_u32_e32 v1, vcc, s24, v1
	s_add_i32 s1, s1, s0
	s_mul_i32 s0, s4, 0x1b9
	v_addc_co_u32_e32 v2, vcc, 0, v2, vcc
	s_add_u32 s0, s10, s0
	s_addc_u32 s1, s11, s1
	v_add_co_u32_e32 v3, vcc, s0, v0
	s_movk_i32 s0, 0x253
	v_mov_b32_e32 v4, s1
	v_mul_u32_u24_sdwa v5, v0, s0 dst_sel:DWORD dst_unused:UNUSED_PAD src0_sel:WORD_0 src1_sel:DWORD
	v_addc_co_u32_e32 v4, vcc, 0, v4, vcc
	v_lshrrev_b32_e32 v9, 18, v5
	v_mov_b32_e32 v5, s23
	v_add_co_u32_e32 v6, vcc, s22, v9
	v_addc_co_u32_e32 v10, vcc, 0, v5, vcc
	v_subrev_co_u32_e32 v5, vcc, s18, v6
	v_subbrev_co_u32_e32 v6, vcc, 0, v10, vcc
	v_lshlrev_b64 v[5:6], 3, v[5:6]
	v_mov_b32_e32 v10, s9
	v_add_co_u32_e32 v5, vcc, s8, v5
	v_mov_b32_e32 v7, 0
	v_addc_co_u32_e32 v6, vcc, v10, v6, vcc
	s_branch .LBB276_10
.LBB276_9:                              ;   in Loop: Header=BB276_10 Depth=1
	s_or_b64 exec, exec, s[0:1]
	s_add_u32 s4, s4, 1
	v_mov_b32_e32 v11, s3
	s_addc_u32 s5, s5, 0
	v_mov_b32_e32 v10, s2
	v_cmp_lt_i64_e32 vcc, s[4:5], v[10:11]
	v_add_co_u32_e64 v5, s[0:1], 8, v5
	v_addc_co_u32_e64 v6, s[0:1], 0, v6, s[0:1]
	s_cbranch_vccz .LBB276_12
.LBB276_10:                             ; =>This Inner Loop Header: Depth=1
	v_mov_b32_e32 v11, s5
	v_add_co_u32_e32 v10, vcc, s4, v9
	v_addc_co_u32_e32 v11, vcc, 0, v11, vcc
	v_cmp_gt_i64_e32 vcc, s[2:3], v[10:11]
	s_and_saveexec_b64 s[0:1], vcc
	s_cbranch_execz .LBB276_9
; %bb.11:                               ;   in Loop: Header=BB276_10 Depth=1
	global_load_dwordx2 v[10:11], v[5:6], off
	s_waitcnt vmcnt(0)
	v_subrev_co_u32_e32 v10, vcc, s18, v10
	v_subbrev_co_u32_e32 v12, vcc, 0, v11, vcc
	v_mad_u64_u32 v[10:11], s[8:9], v10, 21, v[1:2]
	v_mad_u64_u32 v[11:12], s[8:9], v12, 21, v[11:12]
	global_load_sbyte v12, v[3:4], off
	s_nop 0
	global_load_sbyte v10, v[10:11], off
	v_add_co_u32_e32 v3, vcc, 0x1b9, v3
	v_addc_co_u32_e32 v4, vcc, 0, v4, vcc
	s_waitcnt vmcnt(1)
	v_cvt_f32_i32_e32 v11, v12
	s_waitcnt vmcnt(0)
	v_cvt_f32_i32_e32 v10, v10
	v_fmac_f32_e32 v7, v11, v10
	s_branch .LBB276_9
.LBB276_12:
	v_lshlrev_b32_e32 v1, 2, v0
	s_and_b64 vcc, exec, s[20:21]
	ds_write_b32 v1, v7
	s_waitcnt lgkmcnt(0)
	s_barrier
	s_cbranch_vccz .LBB276_24
; %bb.13:
	v_cmp_gt_u16_e32 vcc, 5, v8
	s_and_saveexec_b64 s[0:1], vcc
	s_cbranch_execz .LBB276_15
; %bb.14:
	ds_read2_b32 v[2:3], v1 offset1:16
	s_waitcnt lgkmcnt(0)
	v_add_f32_e32 v2, v3, v2
	ds_write_b32 v1, v2
.LBB276_15:
	s_or_b64 exec, exec, s[0:1]
	v_cmp_gt_u16_e32 vcc, 8, v8
	s_waitcnt lgkmcnt(0)
	s_barrier
	s_and_saveexec_b64 s[0:1], vcc
	s_cbranch_execz .LBB276_17
; %bb.16:
	ds_read2_b32 v[2:3], v1 offset1:8
	s_waitcnt lgkmcnt(0)
	v_add_f32_e32 v2, v3, v2
	ds_write_b32 v1, v2
.LBB276_17:
	s_or_b64 exec, exec, s[0:1]
	v_cmp_gt_u16_e32 vcc, 4, v8
	s_waitcnt lgkmcnt(0)
	s_barrier
	;; [unrolled: 12-line block ×3, first 2 shown]
	s_and_saveexec_b64 s[0:1], vcc
	s_cbranch_execz .LBB276_21
; %bb.20:
	ds_read2_b32 v[2:3], v1 offset1:2
	s_waitcnt lgkmcnt(0)
	v_add_f32_e32 v2, v3, v2
	ds_write_b32 v1, v2
.LBB276_21:
	s_or_b64 exec, exec, s[0:1]
	v_cmp_gt_u32_e32 vcc, 21, v0
	v_mov_b32_e32 v2, v7
	s_waitcnt lgkmcnt(0)
	s_barrier
	s_and_saveexec_b64 s[0:1], vcc
	s_cbranch_execz .LBB276_23
; %bb.22:
	s_movk_i32 s2, 0x50
	v_mad_u32_u24 v2, v0, s2, v1
	ds_read2_b32 v[2:3], v2 offset1:1
	s_waitcnt lgkmcnt(0)
	v_add_f32_e32 v2, v2, v3
.LBB276_23:
	s_or_b64 exec, exec, s[0:1]
	s_branch .LBB276_36
.LBB276_24:
                                        ; implicit-def: $vgpr2
	s_cbranch_execz .LBB276_36
; %bb.25:
	s_movk_i32 s0, 0x69
	v_cmp_gt_u32_e32 vcc, s0, v0
	s_and_saveexec_b64 s[0:1], vcc
	s_cbranch_execz .LBB276_27
; %bb.26:
	ds_read_b32 v2, v1 offset:1344
	ds_read_b32 v3, v1
	s_waitcnt lgkmcnt(0)
	v_add_f32_e32 v2, v2, v3
	ds_write_b32 v1, v2
.LBB276_27:
	s_or_b64 exec, exec, s[0:1]
	s_movk_i32 s0, 0xa8
	v_cmp_gt_u32_e32 vcc, s0, v0
	s_waitcnt lgkmcnt(0)
	s_barrier
	s_and_saveexec_b64 s[0:1], vcc
	s_cbranch_execz .LBB276_29
; %bb.28:
	ds_read2_b32 v[2:3], v1 offset1:168
	s_waitcnt lgkmcnt(0)
	v_add_f32_e32 v2, v3, v2
	ds_write_b32 v1, v2
.LBB276_29:
	s_or_b64 exec, exec, s[0:1]
	s_movk_i32 s0, 0x54
	v_cmp_gt_u32_e32 vcc, s0, v0
	s_waitcnt lgkmcnt(0)
	s_barrier
	s_and_saveexec_b64 s[0:1], vcc
	s_cbranch_execz .LBB276_31
; %bb.30:
	ds_read2_b32 v[2:3], v1 offset1:84
	s_waitcnt lgkmcnt(0)
	v_add_f32_e32 v2, v3, v2
	ds_write_b32 v1, v2
.LBB276_31:
	s_or_b64 exec, exec, s[0:1]
	v_cmp_gt_u32_e32 vcc, 42, v0
	s_waitcnt lgkmcnt(0)
	s_barrier
	s_and_saveexec_b64 s[0:1], vcc
	s_cbranch_execz .LBB276_33
; %bb.32:
	ds_read2_b32 v[2:3], v1 offset1:42
	s_waitcnt lgkmcnt(0)
	v_add_f32_e32 v2, v3, v2
	ds_write_b32 v1, v2
.LBB276_33:
	s_or_b64 exec, exec, s[0:1]
	v_cmp_gt_u32_e32 vcc, 21, v0
	s_waitcnt lgkmcnt(0)
	s_and_saveexec_b64 s[0:1], vcc
	s_cbranch_execz .LBB276_35
; %bb.34:
	ds_read2_b32 v[2:3], v1 offset1:21
	s_waitcnt lgkmcnt(0)
	v_add_f32_e32 v7, v2, v3
.LBB276_35:
	s_or_b64 exec, exec, s[0:1]
	v_mov_b32_e32 v2, v7
.LBB276_36:
	v_cmp_gt_u32_e32 vcc, 21, v0
	s_and_saveexec_b64 s[0:1], vcc
	s_cbranch_execz .LBB276_40
; %bb.37:
	v_cmp_eq_f32_e64 s[0:1], s12, 0
	s_and_b64 vcc, exec, s[0:1]
	v_mul_f32_e32 v0, s14, v2
	s_mul_i32 s2, s7, 0x54
	s_mul_hi_u32 s3, s6, 0x54
	s_mul_i32 s4, s6, 0x54
	s_cbranch_vccz .LBB276_41
; %bb.38:
	s_add_i32 s1, s3, s2
	s_add_u32 s0, s16, s4
	s_addc_u32 s1, s17, s1
	global_store_dword v1, v0, s[0:1]
	s_cbranch_execnz .LBB276_40
.LBB276_39:
	s_add_i32 s3, s3, s2
	s_add_u32 s0, s16, s4
	s_addc_u32 s1, s17, s3
	global_load_dword v2, v1, s[0:1]
	s_waitcnt vmcnt(0)
	v_fmac_f32_e32 v0, s12, v2
	global_store_dword v1, v0, s[0:1]
.LBB276_40:
	s_endpgm
.LBB276_41:
	s_branch .LBB276_39
	.section	.rodata,"a",@progbits
	.p2align	6, 0x0
	.amdhsa_kernel _ZN9rocsparseL20bsrxmvn_17_32_kernelILj21EfllaafEEvT2_20rocsparse_direction_NS_24const_host_device_scalarIT0_EES1_PKS1_PKT1_SA_S7_PKT3_PKT4_S5_PT5_21rocsparse_index_base_b
		.amdhsa_group_segment_fixed_size 1764
		.amdhsa_private_segment_fixed_size 0
		.amdhsa_kernarg_size 104
		.amdhsa_user_sgpr_count 6
		.amdhsa_user_sgpr_private_segment_buffer 1
		.amdhsa_user_sgpr_dispatch_ptr 0
		.amdhsa_user_sgpr_queue_ptr 0
		.amdhsa_user_sgpr_kernarg_segment_ptr 1
		.amdhsa_user_sgpr_dispatch_id 0
		.amdhsa_user_sgpr_flat_scratch_init 0
		.amdhsa_user_sgpr_private_segment_size 0
		.amdhsa_uses_dynamic_stack 0
		.amdhsa_system_sgpr_private_segment_wavefront_offset 0
		.amdhsa_system_sgpr_workgroup_id_x 1
		.amdhsa_system_sgpr_workgroup_id_y 0
		.amdhsa_system_sgpr_workgroup_id_z 0
		.amdhsa_system_sgpr_workgroup_info 0
		.amdhsa_system_vgpr_workitem_id 0
		.amdhsa_next_free_vgpr 13
		.amdhsa_next_free_sgpr 26
		.amdhsa_reserve_vcc 1
		.amdhsa_reserve_flat_scratch 0
		.amdhsa_float_round_mode_32 0
		.amdhsa_float_round_mode_16_64 0
		.amdhsa_float_denorm_mode_32 3
		.amdhsa_float_denorm_mode_16_64 3
		.amdhsa_dx10_clamp 1
		.amdhsa_ieee_mode 1
		.amdhsa_fp16_overflow 0
		.amdhsa_exception_fp_ieee_invalid_op 0
		.amdhsa_exception_fp_denorm_src 0
		.amdhsa_exception_fp_ieee_div_zero 0
		.amdhsa_exception_fp_ieee_overflow 0
		.amdhsa_exception_fp_ieee_underflow 0
		.amdhsa_exception_fp_ieee_inexact 0
		.amdhsa_exception_int_div_zero 0
	.end_amdhsa_kernel
	.section	.text._ZN9rocsparseL20bsrxmvn_17_32_kernelILj21EfllaafEEvT2_20rocsparse_direction_NS_24const_host_device_scalarIT0_EES1_PKS1_PKT1_SA_S7_PKT3_PKT4_S5_PT5_21rocsparse_index_base_b,"axG",@progbits,_ZN9rocsparseL20bsrxmvn_17_32_kernelILj21EfllaafEEvT2_20rocsparse_direction_NS_24const_host_device_scalarIT0_EES1_PKS1_PKT1_SA_S7_PKT3_PKT4_S5_PT5_21rocsparse_index_base_b,comdat
.Lfunc_end276:
	.size	_ZN9rocsparseL20bsrxmvn_17_32_kernelILj21EfllaafEEvT2_20rocsparse_direction_NS_24const_host_device_scalarIT0_EES1_PKS1_PKT1_SA_S7_PKT3_PKT4_S5_PT5_21rocsparse_index_base_b, .Lfunc_end276-_ZN9rocsparseL20bsrxmvn_17_32_kernelILj21EfllaafEEvT2_20rocsparse_direction_NS_24const_host_device_scalarIT0_EES1_PKS1_PKT1_SA_S7_PKT3_PKT4_S5_PT5_21rocsparse_index_base_b
                                        ; -- End function
	.set _ZN9rocsparseL20bsrxmvn_17_32_kernelILj21EfllaafEEvT2_20rocsparse_direction_NS_24const_host_device_scalarIT0_EES1_PKS1_PKT1_SA_S7_PKT3_PKT4_S5_PT5_21rocsparse_index_base_b.num_vgpr, 13
	.set _ZN9rocsparseL20bsrxmvn_17_32_kernelILj21EfllaafEEvT2_20rocsparse_direction_NS_24const_host_device_scalarIT0_EES1_PKS1_PKT1_SA_S7_PKT3_PKT4_S5_PT5_21rocsparse_index_base_b.num_agpr, 0
	.set _ZN9rocsparseL20bsrxmvn_17_32_kernelILj21EfllaafEEvT2_20rocsparse_direction_NS_24const_host_device_scalarIT0_EES1_PKS1_PKT1_SA_S7_PKT3_PKT4_S5_PT5_21rocsparse_index_base_b.numbered_sgpr, 26
	.set _ZN9rocsparseL20bsrxmvn_17_32_kernelILj21EfllaafEEvT2_20rocsparse_direction_NS_24const_host_device_scalarIT0_EES1_PKS1_PKT1_SA_S7_PKT3_PKT4_S5_PT5_21rocsparse_index_base_b.num_named_barrier, 0
	.set _ZN9rocsparseL20bsrxmvn_17_32_kernelILj21EfllaafEEvT2_20rocsparse_direction_NS_24const_host_device_scalarIT0_EES1_PKS1_PKT1_SA_S7_PKT3_PKT4_S5_PT5_21rocsparse_index_base_b.private_seg_size, 0
	.set _ZN9rocsparseL20bsrxmvn_17_32_kernelILj21EfllaafEEvT2_20rocsparse_direction_NS_24const_host_device_scalarIT0_EES1_PKS1_PKT1_SA_S7_PKT3_PKT4_S5_PT5_21rocsparse_index_base_b.uses_vcc, 1
	.set _ZN9rocsparseL20bsrxmvn_17_32_kernelILj21EfllaafEEvT2_20rocsparse_direction_NS_24const_host_device_scalarIT0_EES1_PKS1_PKT1_SA_S7_PKT3_PKT4_S5_PT5_21rocsparse_index_base_b.uses_flat_scratch, 0
	.set _ZN9rocsparseL20bsrxmvn_17_32_kernelILj21EfllaafEEvT2_20rocsparse_direction_NS_24const_host_device_scalarIT0_EES1_PKS1_PKT1_SA_S7_PKT3_PKT4_S5_PT5_21rocsparse_index_base_b.has_dyn_sized_stack, 0
	.set _ZN9rocsparseL20bsrxmvn_17_32_kernelILj21EfllaafEEvT2_20rocsparse_direction_NS_24const_host_device_scalarIT0_EES1_PKS1_PKT1_SA_S7_PKT3_PKT4_S5_PT5_21rocsparse_index_base_b.has_recursion, 0
	.set _ZN9rocsparseL20bsrxmvn_17_32_kernelILj21EfllaafEEvT2_20rocsparse_direction_NS_24const_host_device_scalarIT0_EES1_PKS1_PKT1_SA_S7_PKT3_PKT4_S5_PT5_21rocsparse_index_base_b.has_indirect_call, 0
	.section	.AMDGPU.csdata,"",@progbits
; Kernel info:
; codeLenInByte = 1316
; TotalNumSgprs: 30
; NumVgprs: 13
; ScratchSize: 0
; MemoryBound: 0
; FloatMode: 240
; IeeeMode: 1
; LDSByteSize: 1764 bytes/workgroup (compile time only)
; SGPRBlocks: 3
; VGPRBlocks: 3
; NumSGPRsForWavesPerEU: 30
; NumVGPRsForWavesPerEU: 13
; Occupancy: 10
; WaveLimiterHint : 1
; COMPUTE_PGM_RSRC2:SCRATCH_EN: 0
; COMPUTE_PGM_RSRC2:USER_SGPR: 6
; COMPUTE_PGM_RSRC2:TRAP_HANDLER: 0
; COMPUTE_PGM_RSRC2:TGID_X_EN: 1
; COMPUTE_PGM_RSRC2:TGID_Y_EN: 0
; COMPUTE_PGM_RSRC2:TGID_Z_EN: 0
; COMPUTE_PGM_RSRC2:TIDIG_COMP_CNT: 0
	.section	.text._ZN9rocsparseL20bsrxmvn_17_32_kernelILj22EfllaafEEvT2_20rocsparse_direction_NS_24const_host_device_scalarIT0_EES1_PKS1_PKT1_SA_S7_PKT3_PKT4_S5_PT5_21rocsparse_index_base_b,"axG",@progbits,_ZN9rocsparseL20bsrxmvn_17_32_kernelILj22EfllaafEEvT2_20rocsparse_direction_NS_24const_host_device_scalarIT0_EES1_PKS1_PKT1_SA_S7_PKT3_PKT4_S5_PT5_21rocsparse_index_base_b,comdat
	.globl	_ZN9rocsparseL20bsrxmvn_17_32_kernelILj22EfllaafEEvT2_20rocsparse_direction_NS_24const_host_device_scalarIT0_EES1_PKS1_PKT1_SA_S7_PKT3_PKT4_S5_PT5_21rocsparse_index_base_b ; -- Begin function _ZN9rocsparseL20bsrxmvn_17_32_kernelILj22EfllaafEEvT2_20rocsparse_direction_NS_24const_host_device_scalarIT0_EES1_PKS1_PKT1_SA_S7_PKT3_PKT4_S5_PT5_21rocsparse_index_base_b
	.p2align	8
	.type	_ZN9rocsparseL20bsrxmvn_17_32_kernelILj22EfllaafEEvT2_20rocsparse_direction_NS_24const_host_device_scalarIT0_EES1_PKS1_PKT1_SA_S7_PKT3_PKT4_S5_PT5_21rocsparse_index_base_b,@function
_ZN9rocsparseL20bsrxmvn_17_32_kernelILj22EfllaafEEvT2_20rocsparse_direction_NS_24const_host_device_scalarIT0_EES1_PKS1_PKT1_SA_S7_PKT3_PKT4_S5_PT5_21rocsparse_index_base_b: ; @_ZN9rocsparseL20bsrxmvn_17_32_kernelILj22EfllaafEEvT2_20rocsparse_direction_NS_24const_host_device_scalarIT0_EES1_PKS1_PKT1_SA_S7_PKT3_PKT4_S5_PT5_21rocsparse_index_base_b
; %bb.0:
	s_load_dwordx2 s[18:19], s[4:5], 0x60
	s_load_dwordx2 s[14:15], s[4:5], 0x10
	;; [unrolled: 1-line block ×3, first 2 shown]
	s_waitcnt lgkmcnt(0)
	s_bitcmp1_b32 s19, 0
	s_cselect_b64 s[2:3], -1, 0
	s_xor_b64 s[0:1], s[2:3], -1
	s_and_b64 vcc, exec, s[2:3]
	s_cbranch_vccnz .LBB277_2
; %bb.1:
	s_load_dword s14, s[14:15], 0x0
.LBB277_2:
	s_andn2_b64 vcc, exec, s[0:1]
	s_cbranch_vccnz .LBB277_4
; %bb.3:
	s_load_dword s12, s[12:13], 0x0
.LBB277_4:
	s_waitcnt lgkmcnt(0)
	v_cmp_neq_f32_e64 s[0:1], s14, 0
	v_cmp_neq_f32_e64 s[2:3], s12, 1.0
	s_or_b64 s[0:1], s[0:1], s[2:3]
	s_andn2_b64 vcc, exec, s[0:1]
	s_mov_b32 s7, 0
	s_cbranch_vccnz .LBB277_40
; %bb.5:
	s_load_dwordx4 s[0:3], s[4:5], 0x20
	s_load_dwordx2 s[8:9], s[4:5], 0x30
	s_waitcnt lgkmcnt(0)
	s_cmp_eq_u64 s[0:1], 0
	s_cbranch_scc1 .LBB277_7
; %bb.6:
	s_lshl_b64 s[6:7], s[6:7], 3
	s_add_u32 s0, s0, s6
	s_addc_u32 s1, s1, s7
	s_load_dwordx2 s[0:1], s[0:1], 0x0
	s_waitcnt lgkmcnt(0)
	s_sub_u32 s6, s0, s18
	s_subb_u32 s7, s1, 0
.LBB277_7:
	s_load_dword s10, s[4:5], 0x8
	s_load_dwordx2 s[16:17], s[4:5], 0x58
	v_mul_u32_u24_e32 v1, 0xba3, v0
	v_mov_b32_e32 v2, 22
	v_mul_lo_u16_sdwa v3, v1, v2 dst_sel:DWORD dst_unused:UNUSED_PAD src0_sel:WORD_1 src1_sel:DWORD
	s_waitcnt lgkmcnt(0)
	s_cmp_eq_u32 s10, 1
	s_cselect_b64 s[0:1], -1, 0
	s_cmp_lg_u32 s10, 1
	s_cselect_b64 s[20:21], -1, 0
	s_lshl_b64 s[10:11], s[6:7], 3
	s_add_u32 s24, s2, s10
	s_addc_u32 s25, s3, s11
	s_add_u32 s2, s24, 8
	s_addc_u32 s3, s25, 0
	;; [unrolled: 2-line block ×3, first 2 shown]
	s_cmp_eq_u64 s[8:9], 0
	s_cselect_b32 s9, s3, s11
	s_cselect_b32 s8, s2, s10
	s_load_dwordx2 s[2:3], s[8:9], 0x0
	s_load_dwordx2 s[22:23], s[24:25], 0x0
	v_sub_u16_e32 v8, v0, v3
	v_mov_b32_e32 v7, 0
	s_waitcnt lgkmcnt(0)
	v_mov_b32_e32 v4, s3
	v_mov_b32_e32 v3, s2
	v_cmp_ge_i64_e32 vcc, s[22:23], v[3:4]
	s_cbranch_vccnz .LBB277_12
; %bb.8:
	v_mov_b32_e32 v3, 12
	s_load_dwordx4 s[8:11], s[4:5], 0x38
	s_load_dwordx2 s[24:25], s[4:5], 0x48
	v_mul_lo_u16_sdwa v3, v1, v3 dst_sel:DWORD dst_unused:UNUSED_PAD src0_sel:WORD_1 src1_sel:DWORD
	s_sub_u32 s2, s2, s18
	v_mul_lo_u16_sdwa v2, v3, v2 dst_sel:DWORD dst_unused:UNUSED_PAD src0_sel:BYTE_1 src1_sel:DWORD
	s_subb_u32 s3, s3, 0
	v_sub_u16_sdwa v1, v1, v2 dst_sel:DWORD dst_unused:UNUSED_PAD src0_sel:WORD_1 src1_sel:DWORD
	s_sub_u32 s4, s22, s18
	v_and_b32_e32 v1, 0xff, v1
	s_subb_u32 s5, s23, 0
	v_cndmask_b32_e64 v1, v8, v1, s[0:1]
	s_mul_i32 s0, s5, 0x1e4
	s_mul_hi_u32 s1, s4, 0x1e4
	s_waitcnt lgkmcnt(0)
	v_mov_b32_e32 v2, s25
	v_add_co_u32_e32 v1, vcc, s24, v1
	s_add_i32 s1, s1, s0
	s_mul_i32 s0, s4, 0x1e4
	v_addc_co_u32_e32 v2, vcc, 0, v2, vcc
	s_add_u32 s0, s10, s0
	s_addc_u32 s1, s11, s1
	v_add_co_u32_e32 v3, vcc, s0, v0
	s_movk_i32 s0, 0x10f
	v_mov_b32_e32 v4, s1
	v_mul_u32_u24_sdwa v5, v0, s0 dst_sel:DWORD dst_unused:UNUSED_PAD src0_sel:WORD_0 src1_sel:DWORD
	v_addc_co_u32_e32 v4, vcc, 0, v4, vcc
	v_lshrrev_b32_e32 v9, 17, v5
	v_mov_b32_e32 v5, s23
	v_add_co_u32_e32 v6, vcc, s22, v9
	v_addc_co_u32_e32 v10, vcc, 0, v5, vcc
	v_subrev_co_u32_e32 v5, vcc, s18, v6
	v_subbrev_co_u32_e32 v6, vcc, 0, v10, vcc
	v_lshlrev_b64 v[5:6], 3, v[5:6]
	v_mov_b32_e32 v10, s9
	v_add_co_u32_e32 v5, vcc, s8, v5
	v_mov_b32_e32 v7, 0
	v_addc_co_u32_e32 v6, vcc, v10, v6, vcc
	s_branch .LBB277_10
.LBB277_9:                              ;   in Loop: Header=BB277_10 Depth=1
	s_or_b64 exec, exec, s[0:1]
	s_add_u32 s4, s4, 1
	v_mov_b32_e32 v11, s3
	s_addc_u32 s5, s5, 0
	v_mov_b32_e32 v10, s2
	v_cmp_lt_i64_e32 vcc, s[4:5], v[10:11]
	v_add_co_u32_e64 v5, s[0:1], 8, v5
	v_addc_co_u32_e64 v6, s[0:1], 0, v6, s[0:1]
	s_cbranch_vccz .LBB277_12
.LBB277_10:                             ; =>This Inner Loop Header: Depth=1
	v_mov_b32_e32 v11, s5
	v_add_co_u32_e32 v10, vcc, s4, v9
	v_addc_co_u32_e32 v11, vcc, 0, v11, vcc
	v_cmp_gt_i64_e32 vcc, s[2:3], v[10:11]
	s_and_saveexec_b64 s[0:1], vcc
	s_cbranch_execz .LBB277_9
; %bb.11:                               ;   in Loop: Header=BB277_10 Depth=1
	global_load_dwordx2 v[10:11], v[5:6], off
	s_waitcnt vmcnt(0)
	v_subrev_co_u32_e32 v10, vcc, s18, v10
	v_subbrev_co_u32_e32 v12, vcc, 0, v11, vcc
	v_mad_u64_u32 v[10:11], s[8:9], v10, 22, v[1:2]
	v_mad_u64_u32 v[11:12], s[8:9], v12, 22, v[11:12]
	global_load_sbyte v12, v[3:4], off
	s_nop 0
	global_load_sbyte v10, v[10:11], off
	v_add_co_u32_e32 v3, vcc, 0x1e4, v3
	v_addc_co_u32_e32 v4, vcc, 0, v4, vcc
	s_waitcnt vmcnt(1)
	v_cvt_f32_i32_e32 v11, v12
	s_waitcnt vmcnt(0)
	v_cvt_f32_i32_e32 v10, v10
	v_fmac_f32_e32 v7, v11, v10
	s_branch .LBB277_9
.LBB277_12:
	v_lshlrev_b32_e32 v1, 2, v0
	s_and_b64 vcc, exec, s[20:21]
	ds_write_b32 v1, v7
	s_waitcnt lgkmcnt(0)
	s_barrier
	s_cbranch_vccz .LBB277_24
; %bb.13:
	v_cmp_gt_u16_e32 vcc, 6, v8
	s_and_saveexec_b64 s[0:1], vcc
	s_cbranch_execz .LBB277_15
; %bb.14:
	ds_read2_b32 v[2:3], v1 offset1:16
	s_waitcnt lgkmcnt(0)
	v_add_f32_e32 v2, v3, v2
	ds_write_b32 v1, v2
.LBB277_15:
	s_or_b64 exec, exec, s[0:1]
	v_cmp_gt_u16_e32 vcc, 8, v8
	s_waitcnt lgkmcnt(0)
	s_barrier
	s_and_saveexec_b64 s[0:1], vcc
	s_cbranch_execz .LBB277_17
; %bb.16:
	ds_read2_b32 v[2:3], v1 offset1:8
	s_waitcnt lgkmcnt(0)
	v_add_f32_e32 v2, v3, v2
	ds_write_b32 v1, v2
.LBB277_17:
	s_or_b64 exec, exec, s[0:1]
	v_cmp_gt_u16_e32 vcc, 4, v8
	s_waitcnt lgkmcnt(0)
	s_barrier
	;; [unrolled: 12-line block ×3, first 2 shown]
	s_and_saveexec_b64 s[0:1], vcc
	s_cbranch_execz .LBB277_21
; %bb.20:
	ds_read2_b32 v[2:3], v1 offset1:2
	s_waitcnt lgkmcnt(0)
	v_add_f32_e32 v2, v3, v2
	ds_write_b32 v1, v2
.LBB277_21:
	s_or_b64 exec, exec, s[0:1]
	v_cmp_gt_u32_e32 vcc, 22, v0
	v_mov_b32_e32 v2, v7
	s_waitcnt lgkmcnt(0)
	s_barrier
	s_and_saveexec_b64 s[0:1], vcc
	s_cbranch_execz .LBB277_23
; %bb.22:
	s_movk_i32 s2, 0x54
	v_mad_u32_u24 v2, v0, s2, v1
	ds_read_b64 v[2:3], v2
	s_waitcnt lgkmcnt(0)
	v_add_f32_e32 v2, v2, v3
.LBB277_23:
	s_or_b64 exec, exec, s[0:1]
	s_branch .LBB277_36
.LBB277_24:
                                        ; implicit-def: $vgpr2
	s_cbranch_execz .LBB277_36
; %bb.25:
	s_movk_i32 s0, 0x84
	v_cmp_gt_u32_e32 vcc, s0, v0
	s_and_saveexec_b64 s[0:1], vcc
	s_cbranch_execz .LBB277_27
; %bb.26:
	ds_read_b32 v2, v1 offset:1408
	ds_read_b32 v3, v1
	s_waitcnt lgkmcnt(0)
	v_add_f32_e32 v2, v2, v3
	ds_write_b32 v1, v2
.LBB277_27:
	s_or_b64 exec, exec, s[0:1]
	s_movk_i32 s0, 0xb0
	v_cmp_gt_u32_e32 vcc, s0, v0
	s_waitcnt lgkmcnt(0)
	s_barrier
	s_and_saveexec_b64 s[0:1], vcc
	s_cbranch_execz .LBB277_29
; %bb.28:
	ds_read2_b32 v[2:3], v1 offset1:176
	s_waitcnt lgkmcnt(0)
	v_add_f32_e32 v2, v3, v2
	ds_write_b32 v1, v2
.LBB277_29:
	s_or_b64 exec, exec, s[0:1]
	s_movk_i32 s0, 0x58
	v_cmp_gt_u32_e32 vcc, s0, v0
	s_waitcnt lgkmcnt(0)
	s_barrier
	s_and_saveexec_b64 s[0:1], vcc
	s_cbranch_execz .LBB277_31
; %bb.30:
	ds_read2_b32 v[2:3], v1 offset1:88
	s_waitcnt lgkmcnt(0)
	v_add_f32_e32 v2, v3, v2
	ds_write_b32 v1, v2
.LBB277_31:
	s_or_b64 exec, exec, s[0:1]
	v_cmp_gt_u32_e32 vcc, 44, v0
	s_waitcnt lgkmcnt(0)
	s_barrier
	s_and_saveexec_b64 s[0:1], vcc
	s_cbranch_execz .LBB277_33
; %bb.32:
	ds_read2_b32 v[2:3], v1 offset1:44
	s_waitcnt lgkmcnt(0)
	v_add_f32_e32 v2, v3, v2
	ds_write_b32 v1, v2
.LBB277_33:
	s_or_b64 exec, exec, s[0:1]
	v_cmp_gt_u32_e32 vcc, 22, v0
	s_waitcnt lgkmcnt(0)
	s_and_saveexec_b64 s[0:1], vcc
	s_cbranch_execz .LBB277_35
; %bb.34:
	ds_read2_b32 v[2:3], v1 offset1:22
	s_waitcnt lgkmcnt(0)
	v_add_f32_e32 v7, v2, v3
.LBB277_35:
	s_or_b64 exec, exec, s[0:1]
	v_mov_b32_e32 v2, v7
.LBB277_36:
	v_cmp_gt_u32_e32 vcc, 22, v0
	s_and_saveexec_b64 s[0:1], vcc
	s_cbranch_execz .LBB277_40
; %bb.37:
	v_cmp_eq_f32_e64 s[0:1], s12, 0
	s_and_b64 vcc, exec, s[0:1]
	v_mul_f32_e32 v0, s14, v2
	s_mul_i32 s2, s7, 0x58
	s_mul_hi_u32 s3, s6, 0x58
	s_mul_i32 s4, s6, 0x58
	s_cbranch_vccz .LBB277_41
; %bb.38:
	s_add_i32 s1, s3, s2
	s_add_u32 s0, s16, s4
	s_addc_u32 s1, s17, s1
	global_store_dword v1, v0, s[0:1]
	s_cbranch_execnz .LBB277_40
.LBB277_39:
	s_add_i32 s3, s3, s2
	s_add_u32 s0, s16, s4
	s_addc_u32 s1, s17, s3
	global_load_dword v2, v1, s[0:1]
	s_waitcnt vmcnt(0)
	v_fmac_f32_e32 v0, s12, v2
	global_store_dword v1, v0, s[0:1]
.LBB277_40:
	s_endpgm
.LBB277_41:
	s_branch .LBB277_39
	.section	.rodata,"a",@progbits
	.p2align	6, 0x0
	.amdhsa_kernel _ZN9rocsparseL20bsrxmvn_17_32_kernelILj22EfllaafEEvT2_20rocsparse_direction_NS_24const_host_device_scalarIT0_EES1_PKS1_PKT1_SA_S7_PKT3_PKT4_S5_PT5_21rocsparse_index_base_b
		.amdhsa_group_segment_fixed_size 1936
		.amdhsa_private_segment_fixed_size 0
		.amdhsa_kernarg_size 104
		.amdhsa_user_sgpr_count 6
		.amdhsa_user_sgpr_private_segment_buffer 1
		.amdhsa_user_sgpr_dispatch_ptr 0
		.amdhsa_user_sgpr_queue_ptr 0
		.amdhsa_user_sgpr_kernarg_segment_ptr 1
		.amdhsa_user_sgpr_dispatch_id 0
		.amdhsa_user_sgpr_flat_scratch_init 0
		.amdhsa_user_sgpr_private_segment_size 0
		.amdhsa_uses_dynamic_stack 0
		.amdhsa_system_sgpr_private_segment_wavefront_offset 0
		.amdhsa_system_sgpr_workgroup_id_x 1
		.amdhsa_system_sgpr_workgroup_id_y 0
		.amdhsa_system_sgpr_workgroup_id_z 0
		.amdhsa_system_sgpr_workgroup_info 0
		.amdhsa_system_vgpr_workitem_id 0
		.amdhsa_next_free_vgpr 13
		.amdhsa_next_free_sgpr 26
		.amdhsa_reserve_vcc 1
		.amdhsa_reserve_flat_scratch 0
		.amdhsa_float_round_mode_32 0
		.amdhsa_float_round_mode_16_64 0
		.amdhsa_float_denorm_mode_32 3
		.amdhsa_float_denorm_mode_16_64 3
		.amdhsa_dx10_clamp 1
		.amdhsa_ieee_mode 1
		.amdhsa_fp16_overflow 0
		.amdhsa_exception_fp_ieee_invalid_op 0
		.amdhsa_exception_fp_denorm_src 0
		.amdhsa_exception_fp_ieee_div_zero 0
		.amdhsa_exception_fp_ieee_overflow 0
		.amdhsa_exception_fp_ieee_underflow 0
		.amdhsa_exception_fp_ieee_inexact 0
		.amdhsa_exception_int_div_zero 0
	.end_amdhsa_kernel
	.section	.text._ZN9rocsparseL20bsrxmvn_17_32_kernelILj22EfllaafEEvT2_20rocsparse_direction_NS_24const_host_device_scalarIT0_EES1_PKS1_PKT1_SA_S7_PKT3_PKT4_S5_PT5_21rocsparse_index_base_b,"axG",@progbits,_ZN9rocsparseL20bsrxmvn_17_32_kernelILj22EfllaafEEvT2_20rocsparse_direction_NS_24const_host_device_scalarIT0_EES1_PKS1_PKT1_SA_S7_PKT3_PKT4_S5_PT5_21rocsparse_index_base_b,comdat
.Lfunc_end277:
	.size	_ZN9rocsparseL20bsrxmvn_17_32_kernelILj22EfllaafEEvT2_20rocsparse_direction_NS_24const_host_device_scalarIT0_EES1_PKS1_PKT1_SA_S7_PKT3_PKT4_S5_PT5_21rocsparse_index_base_b, .Lfunc_end277-_ZN9rocsparseL20bsrxmvn_17_32_kernelILj22EfllaafEEvT2_20rocsparse_direction_NS_24const_host_device_scalarIT0_EES1_PKS1_PKT1_SA_S7_PKT3_PKT4_S5_PT5_21rocsparse_index_base_b
                                        ; -- End function
	.set _ZN9rocsparseL20bsrxmvn_17_32_kernelILj22EfllaafEEvT2_20rocsparse_direction_NS_24const_host_device_scalarIT0_EES1_PKS1_PKT1_SA_S7_PKT3_PKT4_S5_PT5_21rocsparse_index_base_b.num_vgpr, 13
	.set _ZN9rocsparseL20bsrxmvn_17_32_kernelILj22EfllaafEEvT2_20rocsparse_direction_NS_24const_host_device_scalarIT0_EES1_PKS1_PKT1_SA_S7_PKT3_PKT4_S5_PT5_21rocsparse_index_base_b.num_agpr, 0
	.set _ZN9rocsparseL20bsrxmvn_17_32_kernelILj22EfllaafEEvT2_20rocsparse_direction_NS_24const_host_device_scalarIT0_EES1_PKS1_PKT1_SA_S7_PKT3_PKT4_S5_PT5_21rocsparse_index_base_b.numbered_sgpr, 26
	.set _ZN9rocsparseL20bsrxmvn_17_32_kernelILj22EfllaafEEvT2_20rocsparse_direction_NS_24const_host_device_scalarIT0_EES1_PKS1_PKT1_SA_S7_PKT3_PKT4_S5_PT5_21rocsparse_index_base_b.num_named_barrier, 0
	.set _ZN9rocsparseL20bsrxmvn_17_32_kernelILj22EfllaafEEvT2_20rocsparse_direction_NS_24const_host_device_scalarIT0_EES1_PKS1_PKT1_SA_S7_PKT3_PKT4_S5_PT5_21rocsparse_index_base_b.private_seg_size, 0
	.set _ZN9rocsparseL20bsrxmvn_17_32_kernelILj22EfllaafEEvT2_20rocsparse_direction_NS_24const_host_device_scalarIT0_EES1_PKS1_PKT1_SA_S7_PKT3_PKT4_S5_PT5_21rocsparse_index_base_b.uses_vcc, 1
	.set _ZN9rocsparseL20bsrxmvn_17_32_kernelILj22EfllaafEEvT2_20rocsparse_direction_NS_24const_host_device_scalarIT0_EES1_PKS1_PKT1_SA_S7_PKT3_PKT4_S5_PT5_21rocsparse_index_base_b.uses_flat_scratch, 0
	.set _ZN9rocsparseL20bsrxmvn_17_32_kernelILj22EfllaafEEvT2_20rocsparse_direction_NS_24const_host_device_scalarIT0_EES1_PKS1_PKT1_SA_S7_PKT3_PKT4_S5_PT5_21rocsparse_index_base_b.has_dyn_sized_stack, 0
	.set _ZN9rocsparseL20bsrxmvn_17_32_kernelILj22EfllaafEEvT2_20rocsparse_direction_NS_24const_host_device_scalarIT0_EES1_PKS1_PKT1_SA_S7_PKT3_PKT4_S5_PT5_21rocsparse_index_base_b.has_recursion, 0
	.set _ZN9rocsparseL20bsrxmvn_17_32_kernelILj22EfllaafEEvT2_20rocsparse_direction_NS_24const_host_device_scalarIT0_EES1_PKS1_PKT1_SA_S7_PKT3_PKT4_S5_PT5_21rocsparse_index_base_b.has_indirect_call, 0
	.section	.AMDGPU.csdata,"",@progbits
; Kernel info:
; codeLenInByte = 1316
; TotalNumSgprs: 30
; NumVgprs: 13
; ScratchSize: 0
; MemoryBound: 0
; FloatMode: 240
; IeeeMode: 1
; LDSByteSize: 1936 bytes/workgroup (compile time only)
; SGPRBlocks: 3
; VGPRBlocks: 3
; NumSGPRsForWavesPerEU: 30
; NumVGPRsForWavesPerEU: 13
; Occupancy: 10
; WaveLimiterHint : 1
; COMPUTE_PGM_RSRC2:SCRATCH_EN: 0
; COMPUTE_PGM_RSRC2:USER_SGPR: 6
; COMPUTE_PGM_RSRC2:TRAP_HANDLER: 0
; COMPUTE_PGM_RSRC2:TGID_X_EN: 1
; COMPUTE_PGM_RSRC2:TGID_Y_EN: 0
; COMPUTE_PGM_RSRC2:TGID_Z_EN: 0
; COMPUTE_PGM_RSRC2:TIDIG_COMP_CNT: 0
	.section	.text._ZN9rocsparseL20bsrxmvn_17_32_kernelILj23EfllaafEEvT2_20rocsparse_direction_NS_24const_host_device_scalarIT0_EES1_PKS1_PKT1_SA_S7_PKT3_PKT4_S5_PT5_21rocsparse_index_base_b,"axG",@progbits,_ZN9rocsparseL20bsrxmvn_17_32_kernelILj23EfllaafEEvT2_20rocsparse_direction_NS_24const_host_device_scalarIT0_EES1_PKS1_PKT1_SA_S7_PKT3_PKT4_S5_PT5_21rocsparse_index_base_b,comdat
	.globl	_ZN9rocsparseL20bsrxmvn_17_32_kernelILj23EfllaafEEvT2_20rocsparse_direction_NS_24const_host_device_scalarIT0_EES1_PKS1_PKT1_SA_S7_PKT3_PKT4_S5_PT5_21rocsparse_index_base_b ; -- Begin function _ZN9rocsparseL20bsrxmvn_17_32_kernelILj23EfllaafEEvT2_20rocsparse_direction_NS_24const_host_device_scalarIT0_EES1_PKS1_PKT1_SA_S7_PKT3_PKT4_S5_PT5_21rocsparse_index_base_b
	.p2align	8
	.type	_ZN9rocsparseL20bsrxmvn_17_32_kernelILj23EfllaafEEvT2_20rocsparse_direction_NS_24const_host_device_scalarIT0_EES1_PKS1_PKT1_SA_S7_PKT3_PKT4_S5_PT5_21rocsparse_index_base_b,@function
_ZN9rocsparseL20bsrxmvn_17_32_kernelILj23EfllaafEEvT2_20rocsparse_direction_NS_24const_host_device_scalarIT0_EES1_PKS1_PKT1_SA_S7_PKT3_PKT4_S5_PT5_21rocsparse_index_base_b: ; @_ZN9rocsparseL20bsrxmvn_17_32_kernelILj23EfllaafEEvT2_20rocsparse_direction_NS_24const_host_device_scalarIT0_EES1_PKS1_PKT1_SA_S7_PKT3_PKT4_S5_PT5_21rocsparse_index_base_b
; %bb.0:
	s_load_dwordx2 s[18:19], s[4:5], 0x60
	s_load_dwordx2 s[14:15], s[4:5], 0x10
	;; [unrolled: 1-line block ×3, first 2 shown]
	s_waitcnt lgkmcnt(0)
	s_bitcmp1_b32 s19, 0
	s_cselect_b64 s[2:3], -1, 0
	s_xor_b64 s[0:1], s[2:3], -1
	s_and_b64 vcc, exec, s[2:3]
	s_cbranch_vccnz .LBB278_2
; %bb.1:
	s_load_dword s14, s[14:15], 0x0
.LBB278_2:
	s_andn2_b64 vcc, exec, s[0:1]
	s_cbranch_vccnz .LBB278_4
; %bb.3:
	s_load_dword s12, s[12:13], 0x0
.LBB278_4:
	s_waitcnt lgkmcnt(0)
	v_cmp_neq_f32_e64 s[0:1], s14, 0
	v_cmp_neq_f32_e64 s[2:3], s12, 1.0
	s_or_b64 s[0:1], s[0:1], s[2:3]
	s_andn2_b64 vcc, exec, s[0:1]
	s_mov_b32 s7, 0
	s_cbranch_vccnz .LBB278_40
; %bb.5:
	s_load_dwordx4 s[0:3], s[4:5], 0x20
	s_load_dwordx2 s[8:9], s[4:5], 0x30
	s_waitcnt lgkmcnt(0)
	s_cmp_eq_u64 s[0:1], 0
	s_cbranch_scc1 .LBB278_7
; %bb.6:
	s_lshl_b64 s[6:7], s[6:7], 3
	s_add_u32 s0, s0, s6
	s_addc_u32 s1, s1, s7
	s_load_dwordx2 s[0:1], s[0:1], 0x0
	s_waitcnt lgkmcnt(0)
	s_sub_u32 s6, s0, s18
	s_subb_u32 s7, s1, 0
.LBB278_7:
	s_load_dword s10, s[4:5], 0x8
	s_load_dwordx2 s[16:17], s[4:5], 0x58
	v_mul_u32_u24_e32 v1, 0xb22, v0
	v_mov_b32_e32 v2, 23
	v_mul_lo_u16_sdwa v2, v1, v2 dst_sel:DWORD dst_unused:UNUSED_PAD src0_sel:WORD_1 src1_sel:DWORD
	s_waitcnt lgkmcnt(0)
	s_cmp_eq_u32 s10, 1
	s_cselect_b64 s[0:1], -1, 0
	s_cmp_lg_u32 s10, 1
	s_cselect_b64 s[20:21], -1, 0
	s_lshl_b64 s[10:11], s[6:7], 3
	s_add_u32 s24, s2, s10
	s_addc_u32 s25, s3, s11
	s_add_u32 s2, s24, 8
	s_addc_u32 s3, s25, 0
	;; [unrolled: 2-line block ×3, first 2 shown]
	s_cmp_eq_u64 s[8:9], 0
	s_cselect_b32 s9, s3, s11
	s_cselect_b32 s8, s2, s10
	s_load_dwordx2 s[2:3], s[8:9], 0x0
	s_load_dwordx2 s[22:23], s[24:25], 0x0
	v_sub_u16_e32 v8, v0, v2
	v_mov_b32_e32 v7, 0
	s_waitcnt lgkmcnt(0)
	v_mov_b32_e32 v2, s2
	v_mov_b32_e32 v3, s3
	v_cmp_ge_i64_e32 vcc, s[22:23], v[2:3]
	s_cbranch_vccnz .LBB278_12
; %bb.8:
	s_load_dwordx4 s[8:11], s[4:5], 0x38
	s_load_dwordx2 s[24:25], s[4:5], 0x48
	s_mov_b32 s4, 0xffff
	s_sub_u32 s2, s2, s18
	s_movk_i32 s5, 0x211
	v_and_b32_sdwa v1, s4, v1 dst_sel:DWORD dst_unused:UNUSED_PAD src0_sel:DWORD src1_sel:WORD_1
	s_subb_u32 s3, s3, 0
	v_subrev_u32_e32 v2, 23, v1
	v_cmp_gt_u32_e32 vcc, s5, v0
	s_sub_u32 s4, s22, s18
	v_cndmask_b32_e32 v1, v2, v1, vcc
	s_subb_u32 s5, s23, 0
	v_cndmask_b32_e64 v1, v8, v1, s[0:1]
	s_mul_i32 s0, s5, 0x211
	s_mul_hi_u32 s1, s4, 0x211
	s_add_i32 s1, s1, s0
	s_mul_i32 s0, s4, 0x211
	s_waitcnt lgkmcnt(0)
	v_mov_b32_e32 v2, s25
	v_add_co_u32_e32 v1, vcc, s24, v1
	s_add_u32 s0, s10, s0
	v_addc_co_u32_e32 v2, vcc, 0, v2, vcc
	s_addc_u32 s1, s11, s1
	v_mov_b32_e32 v4, s1
	v_add_co_u32_e32 v3, vcc, s0, v0
	v_addc_co_u32_e32 v4, vcc, 0, v4, vcc
	s_movk_i32 s0, 0x210
	v_cmp_lt_u32_e32 vcc, s0, v0
	v_cndmask_b32_e64 v9, 0, 1, vcc
	v_mov_b32_e32 v5, s23
	v_add_co_u32_e32 v6, vcc, s22, v9
	v_addc_co_u32_e32 v10, vcc, 0, v5, vcc
	v_subrev_co_u32_e32 v5, vcc, s18, v6
	v_subbrev_co_u32_e32 v6, vcc, 0, v10, vcc
	v_lshlrev_b64 v[5:6], 3, v[5:6]
	v_mov_b32_e32 v10, s9
	v_add_co_u32_e32 v5, vcc, s8, v5
	v_mov_b32_e32 v7, 0
	v_addc_co_u32_e32 v6, vcc, v10, v6, vcc
	s_branch .LBB278_10
.LBB278_9:                              ;   in Loop: Header=BB278_10 Depth=1
	s_or_b64 exec, exec, s[0:1]
	s_add_u32 s4, s4, 1
	v_mov_b32_e32 v11, s3
	s_addc_u32 s5, s5, 0
	v_mov_b32_e32 v10, s2
	v_cmp_lt_i64_e32 vcc, s[4:5], v[10:11]
	v_add_co_u32_e64 v5, s[0:1], 8, v5
	v_addc_co_u32_e64 v6, s[0:1], 0, v6, s[0:1]
	s_cbranch_vccz .LBB278_12
.LBB278_10:                             ; =>This Inner Loop Header: Depth=1
	v_mov_b32_e32 v11, s5
	v_add_co_u32_e32 v10, vcc, s4, v9
	v_addc_co_u32_e32 v11, vcc, 0, v11, vcc
	v_cmp_gt_i64_e32 vcc, s[2:3], v[10:11]
	s_and_saveexec_b64 s[0:1], vcc
	s_cbranch_execz .LBB278_9
; %bb.11:                               ;   in Loop: Header=BB278_10 Depth=1
	global_load_dwordx2 v[10:11], v[5:6], off
	s_waitcnt vmcnt(0)
	v_subrev_co_u32_e32 v10, vcc, s18, v10
	v_subbrev_co_u32_e32 v12, vcc, 0, v11, vcc
	v_mad_u64_u32 v[10:11], s[8:9], v10, 23, v[1:2]
	v_mad_u64_u32 v[11:12], s[8:9], v12, 23, v[11:12]
	global_load_sbyte v12, v[3:4], off
	s_nop 0
	global_load_sbyte v10, v[10:11], off
	v_add_co_u32_e32 v3, vcc, 0x211, v3
	v_addc_co_u32_e32 v4, vcc, 0, v4, vcc
	s_waitcnt vmcnt(1)
	v_cvt_f32_i32_e32 v11, v12
	s_waitcnt vmcnt(0)
	v_cvt_f32_i32_e32 v10, v10
	v_fmac_f32_e32 v7, v11, v10
	s_branch .LBB278_9
.LBB278_12:
	v_lshlrev_b32_e32 v1, 2, v0
	s_and_b64 vcc, exec, s[20:21]
	ds_write_b32 v1, v7
	s_waitcnt lgkmcnt(0)
	s_barrier
	s_cbranch_vccz .LBB278_24
; %bb.13:
	v_cmp_gt_u16_e32 vcc, 7, v8
	s_and_saveexec_b64 s[0:1], vcc
	s_cbranch_execz .LBB278_15
; %bb.14:
	ds_read2_b32 v[2:3], v1 offset1:16
	s_waitcnt lgkmcnt(0)
	v_add_f32_e32 v2, v3, v2
	ds_write_b32 v1, v2
.LBB278_15:
	s_or_b64 exec, exec, s[0:1]
	v_cmp_gt_u16_e32 vcc, 8, v8
	s_waitcnt lgkmcnt(0)
	s_barrier
	s_and_saveexec_b64 s[0:1], vcc
	s_cbranch_execz .LBB278_17
; %bb.16:
	ds_read2_b32 v[2:3], v1 offset1:8
	s_waitcnt lgkmcnt(0)
	v_add_f32_e32 v2, v3, v2
	ds_write_b32 v1, v2
.LBB278_17:
	s_or_b64 exec, exec, s[0:1]
	v_cmp_gt_u16_e32 vcc, 4, v8
	s_waitcnt lgkmcnt(0)
	s_barrier
	;; [unrolled: 12-line block ×3, first 2 shown]
	s_and_saveexec_b64 s[0:1], vcc
	s_cbranch_execz .LBB278_21
; %bb.20:
	ds_read2_b32 v[2:3], v1 offset1:2
	s_waitcnt lgkmcnt(0)
	v_add_f32_e32 v2, v3, v2
	ds_write_b32 v1, v2
.LBB278_21:
	s_or_b64 exec, exec, s[0:1]
	v_cmp_gt_u32_e32 vcc, 23, v0
	v_mov_b32_e32 v2, v7
	s_waitcnt lgkmcnt(0)
	s_barrier
	s_and_saveexec_b64 s[0:1], vcc
	s_cbranch_execz .LBB278_23
; %bb.22:
	s_movk_i32 s2, 0x58
	v_mad_u32_u24 v2, v0, s2, v1
	ds_read2_b32 v[2:3], v2 offset1:1
	s_waitcnt lgkmcnt(0)
	v_add_f32_e32 v2, v2, v3
.LBB278_23:
	s_or_b64 exec, exec, s[0:1]
	s_branch .LBB278_36
.LBB278_24:
                                        ; implicit-def: $vgpr2
	s_cbranch_execz .LBB278_36
; %bb.25:
	s_movk_i32 s0, 0xa1
	v_cmp_gt_u32_e32 vcc, s0, v0
	s_and_saveexec_b64 s[0:1], vcc
	s_cbranch_execz .LBB278_27
; %bb.26:
	ds_read_b32 v2, v1 offset:1472
	ds_read_b32 v3, v1
	s_waitcnt lgkmcnt(0)
	v_add_f32_e32 v2, v2, v3
	ds_write_b32 v1, v2
.LBB278_27:
	s_or_b64 exec, exec, s[0:1]
	s_movk_i32 s0, 0xb8
	v_cmp_gt_u32_e32 vcc, s0, v0
	s_waitcnt lgkmcnt(0)
	s_barrier
	s_and_saveexec_b64 s[0:1], vcc
	s_cbranch_execz .LBB278_29
; %bb.28:
	ds_read2_b32 v[2:3], v1 offset1:184
	s_waitcnt lgkmcnt(0)
	v_add_f32_e32 v2, v3, v2
	ds_write_b32 v1, v2
.LBB278_29:
	s_or_b64 exec, exec, s[0:1]
	s_movk_i32 s0, 0x5c
	v_cmp_gt_u32_e32 vcc, s0, v0
	s_waitcnt lgkmcnt(0)
	s_barrier
	s_and_saveexec_b64 s[0:1], vcc
	s_cbranch_execz .LBB278_31
; %bb.30:
	ds_read2_b32 v[2:3], v1 offset1:92
	s_waitcnt lgkmcnt(0)
	v_add_f32_e32 v2, v3, v2
	ds_write_b32 v1, v2
.LBB278_31:
	s_or_b64 exec, exec, s[0:1]
	v_cmp_gt_u32_e32 vcc, 46, v0
	s_waitcnt lgkmcnt(0)
	s_barrier
	s_and_saveexec_b64 s[0:1], vcc
	s_cbranch_execz .LBB278_33
; %bb.32:
	ds_read2_b32 v[2:3], v1 offset1:46
	s_waitcnt lgkmcnt(0)
	v_add_f32_e32 v2, v3, v2
	ds_write_b32 v1, v2
.LBB278_33:
	s_or_b64 exec, exec, s[0:1]
	v_cmp_gt_u32_e32 vcc, 23, v0
	s_waitcnt lgkmcnt(0)
	s_and_saveexec_b64 s[0:1], vcc
	s_cbranch_execz .LBB278_35
; %bb.34:
	ds_read2_b32 v[2:3], v1 offset1:23
	s_waitcnt lgkmcnt(0)
	v_add_f32_e32 v7, v2, v3
.LBB278_35:
	s_or_b64 exec, exec, s[0:1]
	v_mov_b32_e32 v2, v7
.LBB278_36:
	v_cmp_gt_u32_e32 vcc, 23, v0
	s_and_saveexec_b64 s[0:1], vcc
	s_cbranch_execz .LBB278_40
; %bb.37:
	v_cmp_eq_f32_e64 s[0:1], s12, 0
	s_and_b64 vcc, exec, s[0:1]
	v_mul_f32_e32 v0, s14, v2
	s_mul_i32 s2, s7, 0x5c
	s_mul_hi_u32 s3, s6, 0x5c
	s_mul_i32 s4, s6, 0x5c
	s_cbranch_vccz .LBB278_41
; %bb.38:
	s_add_i32 s1, s3, s2
	s_add_u32 s0, s16, s4
	s_addc_u32 s1, s17, s1
	global_store_dword v1, v0, s[0:1]
	s_cbranch_execnz .LBB278_40
.LBB278_39:
	s_add_i32 s3, s3, s2
	s_add_u32 s0, s16, s4
	s_addc_u32 s1, s17, s3
	global_load_dword v2, v1, s[0:1]
	s_waitcnt vmcnt(0)
	v_fmac_f32_e32 v0, s12, v2
	global_store_dword v1, v0, s[0:1]
.LBB278_40:
	s_endpgm
.LBB278_41:
	s_branch .LBB278_39
	.section	.rodata,"a",@progbits
	.p2align	6, 0x0
	.amdhsa_kernel _ZN9rocsparseL20bsrxmvn_17_32_kernelILj23EfllaafEEvT2_20rocsparse_direction_NS_24const_host_device_scalarIT0_EES1_PKS1_PKT1_SA_S7_PKT3_PKT4_S5_PT5_21rocsparse_index_base_b
		.amdhsa_group_segment_fixed_size 2116
		.amdhsa_private_segment_fixed_size 0
		.amdhsa_kernarg_size 104
		.amdhsa_user_sgpr_count 6
		.amdhsa_user_sgpr_private_segment_buffer 1
		.amdhsa_user_sgpr_dispatch_ptr 0
		.amdhsa_user_sgpr_queue_ptr 0
		.amdhsa_user_sgpr_kernarg_segment_ptr 1
		.amdhsa_user_sgpr_dispatch_id 0
		.amdhsa_user_sgpr_flat_scratch_init 0
		.amdhsa_user_sgpr_private_segment_size 0
		.amdhsa_uses_dynamic_stack 0
		.amdhsa_system_sgpr_private_segment_wavefront_offset 0
		.amdhsa_system_sgpr_workgroup_id_x 1
		.amdhsa_system_sgpr_workgroup_id_y 0
		.amdhsa_system_sgpr_workgroup_id_z 0
		.amdhsa_system_sgpr_workgroup_info 0
		.amdhsa_system_vgpr_workitem_id 0
		.amdhsa_next_free_vgpr 25
		.amdhsa_next_free_sgpr 61
		.amdhsa_reserve_vcc 1
		.amdhsa_reserve_flat_scratch 0
		.amdhsa_float_round_mode_32 0
		.amdhsa_float_round_mode_16_64 0
		.amdhsa_float_denorm_mode_32 3
		.amdhsa_float_denorm_mode_16_64 3
		.amdhsa_dx10_clamp 1
		.amdhsa_ieee_mode 1
		.amdhsa_fp16_overflow 0
		.amdhsa_exception_fp_ieee_invalid_op 0
		.amdhsa_exception_fp_denorm_src 0
		.amdhsa_exception_fp_ieee_div_zero 0
		.amdhsa_exception_fp_ieee_overflow 0
		.amdhsa_exception_fp_ieee_underflow 0
		.amdhsa_exception_fp_ieee_inexact 0
		.amdhsa_exception_int_div_zero 0
	.end_amdhsa_kernel
	.section	.text._ZN9rocsparseL20bsrxmvn_17_32_kernelILj23EfllaafEEvT2_20rocsparse_direction_NS_24const_host_device_scalarIT0_EES1_PKS1_PKT1_SA_S7_PKT3_PKT4_S5_PT5_21rocsparse_index_base_b,"axG",@progbits,_ZN9rocsparseL20bsrxmvn_17_32_kernelILj23EfllaafEEvT2_20rocsparse_direction_NS_24const_host_device_scalarIT0_EES1_PKS1_PKT1_SA_S7_PKT3_PKT4_S5_PT5_21rocsparse_index_base_b,comdat
.Lfunc_end278:
	.size	_ZN9rocsparseL20bsrxmvn_17_32_kernelILj23EfllaafEEvT2_20rocsparse_direction_NS_24const_host_device_scalarIT0_EES1_PKS1_PKT1_SA_S7_PKT3_PKT4_S5_PT5_21rocsparse_index_base_b, .Lfunc_end278-_ZN9rocsparseL20bsrxmvn_17_32_kernelILj23EfllaafEEvT2_20rocsparse_direction_NS_24const_host_device_scalarIT0_EES1_PKS1_PKT1_SA_S7_PKT3_PKT4_S5_PT5_21rocsparse_index_base_b
                                        ; -- End function
	.set _ZN9rocsparseL20bsrxmvn_17_32_kernelILj23EfllaafEEvT2_20rocsparse_direction_NS_24const_host_device_scalarIT0_EES1_PKS1_PKT1_SA_S7_PKT3_PKT4_S5_PT5_21rocsparse_index_base_b.num_vgpr, 13
	.set _ZN9rocsparseL20bsrxmvn_17_32_kernelILj23EfllaafEEvT2_20rocsparse_direction_NS_24const_host_device_scalarIT0_EES1_PKS1_PKT1_SA_S7_PKT3_PKT4_S5_PT5_21rocsparse_index_base_b.num_agpr, 0
	.set _ZN9rocsparseL20bsrxmvn_17_32_kernelILj23EfllaafEEvT2_20rocsparse_direction_NS_24const_host_device_scalarIT0_EES1_PKS1_PKT1_SA_S7_PKT3_PKT4_S5_PT5_21rocsparse_index_base_b.numbered_sgpr, 26
	.set _ZN9rocsparseL20bsrxmvn_17_32_kernelILj23EfllaafEEvT2_20rocsparse_direction_NS_24const_host_device_scalarIT0_EES1_PKS1_PKT1_SA_S7_PKT3_PKT4_S5_PT5_21rocsparse_index_base_b.num_named_barrier, 0
	.set _ZN9rocsparseL20bsrxmvn_17_32_kernelILj23EfllaafEEvT2_20rocsparse_direction_NS_24const_host_device_scalarIT0_EES1_PKS1_PKT1_SA_S7_PKT3_PKT4_S5_PT5_21rocsparse_index_base_b.private_seg_size, 0
	.set _ZN9rocsparseL20bsrxmvn_17_32_kernelILj23EfllaafEEvT2_20rocsparse_direction_NS_24const_host_device_scalarIT0_EES1_PKS1_PKT1_SA_S7_PKT3_PKT4_S5_PT5_21rocsparse_index_base_b.uses_vcc, 1
	.set _ZN9rocsparseL20bsrxmvn_17_32_kernelILj23EfllaafEEvT2_20rocsparse_direction_NS_24const_host_device_scalarIT0_EES1_PKS1_PKT1_SA_S7_PKT3_PKT4_S5_PT5_21rocsparse_index_base_b.uses_flat_scratch, 0
	.set _ZN9rocsparseL20bsrxmvn_17_32_kernelILj23EfllaafEEvT2_20rocsparse_direction_NS_24const_host_device_scalarIT0_EES1_PKS1_PKT1_SA_S7_PKT3_PKT4_S5_PT5_21rocsparse_index_base_b.has_dyn_sized_stack, 0
	.set _ZN9rocsparseL20bsrxmvn_17_32_kernelILj23EfllaafEEvT2_20rocsparse_direction_NS_24const_host_device_scalarIT0_EES1_PKS1_PKT1_SA_S7_PKT3_PKT4_S5_PT5_21rocsparse_index_base_b.has_recursion, 0
	.set _ZN9rocsparseL20bsrxmvn_17_32_kernelILj23EfllaafEEvT2_20rocsparse_direction_NS_24const_host_device_scalarIT0_EES1_PKS1_PKT1_SA_S7_PKT3_PKT4_S5_PT5_21rocsparse_index_base_b.has_indirect_call, 0
	.section	.AMDGPU.csdata,"",@progbits
; Kernel info:
; codeLenInByte = 1312
; TotalNumSgprs: 30
; NumVgprs: 13
; ScratchSize: 0
; MemoryBound: 0
; FloatMode: 240
; IeeeMode: 1
; LDSByteSize: 2116 bytes/workgroup (compile time only)
; SGPRBlocks: 8
; VGPRBlocks: 6
; NumSGPRsForWavesPerEU: 65
; NumVGPRsForWavesPerEU: 25
; Occupancy: 9
; WaveLimiterHint : 1
; COMPUTE_PGM_RSRC2:SCRATCH_EN: 0
; COMPUTE_PGM_RSRC2:USER_SGPR: 6
; COMPUTE_PGM_RSRC2:TRAP_HANDLER: 0
; COMPUTE_PGM_RSRC2:TGID_X_EN: 1
; COMPUTE_PGM_RSRC2:TGID_Y_EN: 0
; COMPUTE_PGM_RSRC2:TGID_Z_EN: 0
; COMPUTE_PGM_RSRC2:TIDIG_COMP_CNT: 0
	.section	.text._ZN9rocsparseL20bsrxmvn_17_32_kernelILj24EfllaafEEvT2_20rocsparse_direction_NS_24const_host_device_scalarIT0_EES1_PKS1_PKT1_SA_S7_PKT3_PKT4_S5_PT5_21rocsparse_index_base_b,"axG",@progbits,_ZN9rocsparseL20bsrxmvn_17_32_kernelILj24EfllaafEEvT2_20rocsparse_direction_NS_24const_host_device_scalarIT0_EES1_PKS1_PKT1_SA_S7_PKT3_PKT4_S5_PT5_21rocsparse_index_base_b,comdat
	.globl	_ZN9rocsparseL20bsrxmvn_17_32_kernelILj24EfllaafEEvT2_20rocsparse_direction_NS_24const_host_device_scalarIT0_EES1_PKS1_PKT1_SA_S7_PKT3_PKT4_S5_PT5_21rocsparse_index_base_b ; -- Begin function _ZN9rocsparseL20bsrxmvn_17_32_kernelILj24EfllaafEEvT2_20rocsparse_direction_NS_24const_host_device_scalarIT0_EES1_PKS1_PKT1_SA_S7_PKT3_PKT4_S5_PT5_21rocsparse_index_base_b
	.p2align	8
	.type	_ZN9rocsparseL20bsrxmvn_17_32_kernelILj24EfllaafEEvT2_20rocsparse_direction_NS_24const_host_device_scalarIT0_EES1_PKS1_PKT1_SA_S7_PKT3_PKT4_S5_PT5_21rocsparse_index_base_b,@function
_ZN9rocsparseL20bsrxmvn_17_32_kernelILj24EfllaafEEvT2_20rocsparse_direction_NS_24const_host_device_scalarIT0_EES1_PKS1_PKT1_SA_S7_PKT3_PKT4_S5_PT5_21rocsparse_index_base_b: ; @_ZN9rocsparseL20bsrxmvn_17_32_kernelILj24EfllaafEEvT2_20rocsparse_direction_NS_24const_host_device_scalarIT0_EES1_PKS1_PKT1_SA_S7_PKT3_PKT4_S5_PT5_21rocsparse_index_base_b
; %bb.0:
	s_load_dwordx2 s[18:19], s[4:5], 0x60
	s_load_dwordx2 s[14:15], s[4:5], 0x10
	;; [unrolled: 1-line block ×3, first 2 shown]
	s_waitcnt lgkmcnt(0)
	s_bitcmp1_b32 s19, 0
	s_cselect_b64 s[2:3], -1, 0
	s_xor_b64 s[0:1], s[2:3], -1
	s_and_b64 vcc, exec, s[2:3]
	s_cbranch_vccnz .LBB279_2
; %bb.1:
	s_load_dword s14, s[14:15], 0x0
.LBB279_2:
	s_andn2_b64 vcc, exec, s[0:1]
	s_cbranch_vccnz .LBB279_4
; %bb.3:
	s_load_dword s12, s[12:13], 0x0
.LBB279_4:
	s_waitcnt lgkmcnt(0)
	v_cmp_neq_f32_e64 s[0:1], s14, 0
	v_cmp_neq_f32_e64 s[2:3], s12, 1.0
	s_or_b64 s[0:1], s[0:1], s[2:3]
	s_andn2_b64 vcc, exec, s[0:1]
	s_mov_b32 s7, 0
	s_cbranch_vccnz .LBB279_40
; %bb.5:
	s_load_dwordx4 s[0:3], s[4:5], 0x20
	s_load_dwordx2 s[8:9], s[4:5], 0x30
	s_waitcnt lgkmcnt(0)
	s_cmp_eq_u64 s[0:1], 0
	s_cbranch_scc1 .LBB279_7
; %bb.6:
	s_lshl_b64 s[6:7], s[6:7], 3
	s_add_u32 s0, s0, s6
	s_addc_u32 s1, s1, s7
	s_load_dwordx2 s[0:1], s[0:1], 0x0
	s_waitcnt lgkmcnt(0)
	s_sub_u32 s6, s0, s18
	s_subb_u32 s7, s1, 0
.LBB279_7:
	s_load_dword s10, s[4:5], 0x8
	s_load_dwordx2 s[16:17], s[4:5], 0x58
	v_mul_u32_u24_e32 v1, 0xaab, v0
	v_mov_b32_e32 v2, 24
	v_mul_lo_u16_sdwa v2, v1, v2 dst_sel:DWORD dst_unused:UNUSED_PAD src0_sel:WORD_1 src1_sel:DWORD
	s_waitcnt lgkmcnt(0)
	s_cmp_eq_u32 s10, 1
	s_cselect_b64 s[0:1], -1, 0
	s_cmp_lg_u32 s10, 1
	s_cselect_b64 s[20:21], -1, 0
	s_lshl_b64 s[10:11], s[6:7], 3
	s_add_u32 s24, s2, s10
	s_addc_u32 s25, s3, s11
	s_add_u32 s2, s24, 8
	s_addc_u32 s3, s25, 0
	;; [unrolled: 2-line block ×3, first 2 shown]
	s_cmp_eq_u64 s[8:9], 0
	s_cselect_b32 s9, s3, s11
	s_cselect_b32 s8, s2, s10
	s_load_dwordx2 s[2:3], s[8:9], 0x0
	s_load_dwordx2 s[22:23], s[24:25], 0x0
	v_sub_u16_e32 v8, v0, v2
	v_mov_b32_e32 v7, 0
	s_waitcnt lgkmcnt(0)
	v_mov_b32_e32 v2, s2
	v_mov_b32_e32 v3, s3
	v_cmp_ge_i64_e32 vcc, s[22:23], v[2:3]
	s_cbranch_vccnz .LBB279_12
; %bb.8:
	s_load_dwordx4 s[8:11], s[4:5], 0x38
	s_load_dwordx2 s[24:25], s[4:5], 0x48
	s_mov_b32 s4, 0xffff
	s_sub_u32 s2, s2, s18
	s_movk_i32 s5, 0x240
	v_and_b32_sdwa v1, s4, v1 dst_sel:DWORD dst_unused:UNUSED_PAD src0_sel:DWORD src1_sel:WORD_1
	s_subb_u32 s3, s3, 0
	v_subrev_u32_e32 v2, 24, v1
	v_cmp_gt_u32_e32 vcc, s5, v0
	s_sub_u32 s4, s22, s18
	v_cndmask_b32_e32 v1, v2, v1, vcc
	s_subb_u32 s5, s23, 0
	v_cndmask_b32_e64 v1, v8, v1, s[0:1]
	s_mul_i32 s0, s5, 0x240
	s_mul_hi_u32 s1, s4, 0x240
	s_add_i32 s1, s1, s0
	s_mul_i32 s0, s4, 0x240
	s_waitcnt lgkmcnt(0)
	v_mov_b32_e32 v2, s25
	v_add_co_u32_e32 v1, vcc, s24, v1
	s_add_u32 s0, s10, s0
	v_addc_co_u32_e32 v2, vcc, 0, v2, vcc
	s_addc_u32 s1, s11, s1
	v_mov_b32_e32 v4, s1
	v_add_co_u32_e32 v3, vcc, s0, v0
	v_addc_co_u32_e32 v4, vcc, 0, v4, vcc
	s_movk_i32 s0, 0x23f
	v_cmp_lt_u32_e32 vcc, s0, v0
	v_cndmask_b32_e64 v9, 0, 1, vcc
	v_mov_b32_e32 v5, s23
	v_add_co_u32_e32 v6, vcc, s22, v9
	v_addc_co_u32_e32 v10, vcc, 0, v5, vcc
	v_subrev_co_u32_e32 v5, vcc, s18, v6
	v_subbrev_co_u32_e32 v6, vcc, 0, v10, vcc
	v_lshlrev_b64 v[5:6], 3, v[5:6]
	v_mov_b32_e32 v10, s9
	v_add_co_u32_e32 v5, vcc, s8, v5
	v_mov_b32_e32 v7, 0
	v_addc_co_u32_e32 v6, vcc, v10, v6, vcc
	s_branch .LBB279_10
.LBB279_9:                              ;   in Loop: Header=BB279_10 Depth=1
	s_or_b64 exec, exec, s[0:1]
	s_add_u32 s4, s4, 1
	v_mov_b32_e32 v11, s3
	s_addc_u32 s5, s5, 0
	v_mov_b32_e32 v10, s2
	v_cmp_lt_i64_e32 vcc, s[4:5], v[10:11]
	v_add_co_u32_e64 v5, s[0:1], 8, v5
	v_addc_co_u32_e64 v6, s[0:1], 0, v6, s[0:1]
	s_cbranch_vccz .LBB279_12
.LBB279_10:                             ; =>This Inner Loop Header: Depth=1
	v_mov_b32_e32 v11, s5
	v_add_co_u32_e32 v10, vcc, s4, v9
	v_addc_co_u32_e32 v11, vcc, 0, v11, vcc
	v_cmp_gt_i64_e32 vcc, s[2:3], v[10:11]
	s_and_saveexec_b64 s[0:1], vcc
	s_cbranch_execz .LBB279_9
; %bb.11:                               ;   in Loop: Header=BB279_10 Depth=1
	global_load_dwordx2 v[10:11], v[5:6], off
	s_waitcnt vmcnt(0)
	v_subrev_co_u32_e32 v10, vcc, s18, v10
	v_subbrev_co_u32_e32 v12, vcc, 0, v11, vcc
	v_mad_u64_u32 v[10:11], s[8:9], v10, 24, v[1:2]
	v_mad_u64_u32 v[11:12], s[8:9], v12, 24, v[11:12]
	global_load_sbyte v12, v[3:4], off
	s_nop 0
	global_load_sbyte v10, v[10:11], off
	v_add_co_u32_e32 v3, vcc, 0x240, v3
	v_addc_co_u32_e32 v4, vcc, 0, v4, vcc
	s_waitcnt vmcnt(1)
	v_cvt_f32_i32_e32 v11, v12
	s_waitcnt vmcnt(0)
	v_cvt_f32_i32_e32 v10, v10
	v_fmac_f32_e32 v7, v11, v10
	s_branch .LBB279_9
.LBB279_12:
	v_lshlrev_b32_e32 v1, 2, v0
	s_and_b64 vcc, exec, s[20:21]
	ds_write_b32 v1, v7
	s_waitcnt lgkmcnt(0)
	s_barrier
	s_cbranch_vccz .LBB279_24
; %bb.13:
	v_cmp_gt_u16_e32 vcc, 8, v8
	s_and_saveexec_b64 s[0:1], vcc
	s_cbranch_execz .LBB279_15
; %bb.14:
	ds_read2_b32 v[2:3], v1 offset1:16
	s_waitcnt lgkmcnt(0)
	v_add_f32_e32 v2, v3, v2
	ds_write_b32 v1, v2
.LBB279_15:
	s_or_b64 exec, exec, s[0:1]
	s_waitcnt lgkmcnt(0)
	s_barrier
	s_and_saveexec_b64 s[0:1], vcc
	s_cbranch_execz .LBB279_17
; %bb.16:
	ds_read2_b32 v[2:3], v1 offset1:8
	s_waitcnt lgkmcnt(0)
	v_add_f32_e32 v2, v3, v2
	ds_write_b32 v1, v2
.LBB279_17:
	s_or_b64 exec, exec, s[0:1]
	v_cmp_gt_u16_e32 vcc, 4, v8
	s_waitcnt lgkmcnt(0)
	s_barrier
	s_and_saveexec_b64 s[0:1], vcc
	s_cbranch_execz .LBB279_19
; %bb.18:
	ds_read2_b32 v[2:3], v1 offset1:4
	s_waitcnt lgkmcnt(0)
	v_add_f32_e32 v2, v3, v2
	ds_write_b32 v1, v2
.LBB279_19:
	s_or_b64 exec, exec, s[0:1]
	v_cmp_gt_u16_e32 vcc, 2, v8
	s_waitcnt lgkmcnt(0)
	s_barrier
	s_and_saveexec_b64 s[0:1], vcc
	s_cbranch_execz .LBB279_21
; %bb.20:
	ds_read2_b32 v[2:3], v1 offset1:2
	s_waitcnt lgkmcnt(0)
	v_add_f32_e32 v2, v3, v2
	ds_write_b32 v1, v2
.LBB279_21:
	s_or_b64 exec, exec, s[0:1]
	v_cmp_gt_u32_e32 vcc, 24, v0
	v_mov_b32_e32 v2, v7
	s_waitcnt lgkmcnt(0)
	s_barrier
	s_and_saveexec_b64 s[0:1], vcc
	s_cbranch_execz .LBB279_23
; %bb.22:
	s_movk_i32 s2, 0x5c
	v_mad_u32_u24 v2, v0, s2, v1
	ds_read_b64 v[2:3], v2
	s_waitcnt lgkmcnt(0)
	v_add_f32_e32 v2, v2, v3
.LBB279_23:
	s_or_b64 exec, exec, s[0:1]
	s_branch .LBB279_36
.LBB279_24:
                                        ; implicit-def: $vgpr2
	s_cbranch_execz .LBB279_36
; %bb.25:
	s_movk_i32 s0, 0xc0
	v_cmp_gt_u32_e32 vcc, s0, v0
	s_and_saveexec_b64 s[0:1], vcc
	s_cbranch_execz .LBB279_27
; %bb.26:
	ds_read2st64_b32 v[2:3], v1 offset1:6
	s_waitcnt lgkmcnt(0)
	v_add_f32_e32 v2, v3, v2
	ds_write_b32 v1, v2
.LBB279_27:
	s_or_b64 exec, exec, s[0:1]
	s_waitcnt lgkmcnt(0)
	s_barrier
	s_and_saveexec_b64 s[0:1], vcc
	s_cbranch_execz .LBB279_29
; %bb.28:
	ds_read2st64_b32 v[2:3], v1 offset1:3
	s_waitcnt lgkmcnt(0)
	v_add_f32_e32 v2, v3, v2
	ds_write_b32 v1, v2
.LBB279_29:
	s_or_b64 exec, exec, s[0:1]
	s_movk_i32 s0, 0x60
	v_cmp_gt_u32_e32 vcc, s0, v0
	s_waitcnt lgkmcnt(0)
	s_barrier
	s_and_saveexec_b64 s[0:1], vcc
	s_cbranch_execz .LBB279_31
; %bb.30:
	ds_read2_b32 v[2:3], v1 offset1:96
	s_waitcnt lgkmcnt(0)
	v_add_f32_e32 v2, v3, v2
	ds_write_b32 v1, v2
.LBB279_31:
	s_or_b64 exec, exec, s[0:1]
	v_cmp_gt_u32_e32 vcc, 48, v0
	s_waitcnt lgkmcnt(0)
	s_barrier
	s_and_saveexec_b64 s[0:1], vcc
	s_cbranch_execz .LBB279_33
; %bb.32:
	ds_read2_b32 v[2:3], v1 offset1:48
	s_waitcnt lgkmcnt(0)
	v_add_f32_e32 v2, v3, v2
	ds_write_b32 v1, v2
.LBB279_33:
	s_or_b64 exec, exec, s[0:1]
	v_cmp_gt_u32_e32 vcc, 24, v0
	s_waitcnt lgkmcnt(0)
	s_and_saveexec_b64 s[0:1], vcc
	s_cbranch_execz .LBB279_35
; %bb.34:
	ds_read2_b32 v[2:3], v1 offset1:24
	s_waitcnt lgkmcnt(0)
	v_add_f32_e32 v7, v2, v3
.LBB279_35:
	s_or_b64 exec, exec, s[0:1]
	v_mov_b32_e32 v2, v7
.LBB279_36:
	v_cmp_gt_u32_e32 vcc, 24, v0
	s_and_saveexec_b64 s[0:1], vcc
	s_cbranch_execz .LBB279_40
; %bb.37:
	v_cmp_eq_f32_e64 s[0:1], s12, 0
	s_and_b64 vcc, exec, s[0:1]
	v_mul_f32_e32 v0, s14, v2
	s_mul_i32 s2, s7, 0x60
	s_mul_hi_u32 s3, s6, 0x60
	s_mul_i32 s4, s6, 0x60
	s_cbranch_vccz .LBB279_41
; %bb.38:
	s_add_i32 s1, s3, s2
	s_add_u32 s0, s16, s4
	s_addc_u32 s1, s17, s1
	global_store_dword v1, v0, s[0:1]
	s_cbranch_execnz .LBB279_40
.LBB279_39:
	s_add_i32 s3, s3, s2
	s_add_u32 s0, s16, s4
	s_addc_u32 s1, s17, s3
	global_load_dword v2, v1, s[0:1]
	s_waitcnt vmcnt(0)
	v_fmac_f32_e32 v0, s12, v2
	global_store_dword v1, v0, s[0:1]
.LBB279_40:
	s_endpgm
.LBB279_41:
	s_branch .LBB279_39
	.section	.rodata,"a",@progbits
	.p2align	6, 0x0
	.amdhsa_kernel _ZN9rocsparseL20bsrxmvn_17_32_kernelILj24EfllaafEEvT2_20rocsparse_direction_NS_24const_host_device_scalarIT0_EES1_PKS1_PKT1_SA_S7_PKT3_PKT4_S5_PT5_21rocsparse_index_base_b
		.amdhsa_group_segment_fixed_size 2304
		.amdhsa_private_segment_fixed_size 0
		.amdhsa_kernarg_size 104
		.amdhsa_user_sgpr_count 6
		.amdhsa_user_sgpr_private_segment_buffer 1
		.amdhsa_user_sgpr_dispatch_ptr 0
		.amdhsa_user_sgpr_queue_ptr 0
		.amdhsa_user_sgpr_kernarg_segment_ptr 1
		.amdhsa_user_sgpr_dispatch_id 0
		.amdhsa_user_sgpr_flat_scratch_init 0
		.amdhsa_user_sgpr_private_segment_size 0
		.amdhsa_uses_dynamic_stack 0
		.amdhsa_system_sgpr_private_segment_wavefront_offset 0
		.amdhsa_system_sgpr_workgroup_id_x 1
		.amdhsa_system_sgpr_workgroup_id_y 0
		.amdhsa_system_sgpr_workgroup_id_z 0
		.amdhsa_system_sgpr_workgroup_info 0
		.amdhsa_system_vgpr_workitem_id 0
		.amdhsa_next_free_vgpr 25
		.amdhsa_next_free_sgpr 61
		.amdhsa_reserve_vcc 1
		.amdhsa_reserve_flat_scratch 0
		.amdhsa_float_round_mode_32 0
		.amdhsa_float_round_mode_16_64 0
		.amdhsa_float_denorm_mode_32 3
		.amdhsa_float_denorm_mode_16_64 3
		.amdhsa_dx10_clamp 1
		.amdhsa_ieee_mode 1
		.amdhsa_fp16_overflow 0
		.amdhsa_exception_fp_ieee_invalid_op 0
		.amdhsa_exception_fp_denorm_src 0
		.amdhsa_exception_fp_ieee_div_zero 0
		.amdhsa_exception_fp_ieee_overflow 0
		.amdhsa_exception_fp_ieee_underflow 0
		.amdhsa_exception_fp_ieee_inexact 0
		.amdhsa_exception_int_div_zero 0
	.end_amdhsa_kernel
	.section	.text._ZN9rocsparseL20bsrxmvn_17_32_kernelILj24EfllaafEEvT2_20rocsparse_direction_NS_24const_host_device_scalarIT0_EES1_PKS1_PKT1_SA_S7_PKT3_PKT4_S5_PT5_21rocsparse_index_base_b,"axG",@progbits,_ZN9rocsparseL20bsrxmvn_17_32_kernelILj24EfllaafEEvT2_20rocsparse_direction_NS_24const_host_device_scalarIT0_EES1_PKS1_PKT1_SA_S7_PKT3_PKT4_S5_PT5_21rocsparse_index_base_b,comdat
.Lfunc_end279:
	.size	_ZN9rocsparseL20bsrxmvn_17_32_kernelILj24EfllaafEEvT2_20rocsparse_direction_NS_24const_host_device_scalarIT0_EES1_PKS1_PKT1_SA_S7_PKT3_PKT4_S5_PT5_21rocsparse_index_base_b, .Lfunc_end279-_ZN9rocsparseL20bsrxmvn_17_32_kernelILj24EfllaafEEvT2_20rocsparse_direction_NS_24const_host_device_scalarIT0_EES1_PKS1_PKT1_SA_S7_PKT3_PKT4_S5_PT5_21rocsparse_index_base_b
                                        ; -- End function
	.set _ZN9rocsparseL20bsrxmvn_17_32_kernelILj24EfllaafEEvT2_20rocsparse_direction_NS_24const_host_device_scalarIT0_EES1_PKS1_PKT1_SA_S7_PKT3_PKT4_S5_PT5_21rocsparse_index_base_b.num_vgpr, 13
	.set _ZN9rocsparseL20bsrxmvn_17_32_kernelILj24EfllaafEEvT2_20rocsparse_direction_NS_24const_host_device_scalarIT0_EES1_PKS1_PKT1_SA_S7_PKT3_PKT4_S5_PT5_21rocsparse_index_base_b.num_agpr, 0
	.set _ZN9rocsparseL20bsrxmvn_17_32_kernelILj24EfllaafEEvT2_20rocsparse_direction_NS_24const_host_device_scalarIT0_EES1_PKS1_PKT1_SA_S7_PKT3_PKT4_S5_PT5_21rocsparse_index_base_b.numbered_sgpr, 26
	.set _ZN9rocsparseL20bsrxmvn_17_32_kernelILj24EfllaafEEvT2_20rocsparse_direction_NS_24const_host_device_scalarIT0_EES1_PKS1_PKT1_SA_S7_PKT3_PKT4_S5_PT5_21rocsparse_index_base_b.num_named_barrier, 0
	.set _ZN9rocsparseL20bsrxmvn_17_32_kernelILj24EfllaafEEvT2_20rocsparse_direction_NS_24const_host_device_scalarIT0_EES1_PKS1_PKT1_SA_S7_PKT3_PKT4_S5_PT5_21rocsparse_index_base_b.private_seg_size, 0
	.set _ZN9rocsparseL20bsrxmvn_17_32_kernelILj24EfllaafEEvT2_20rocsparse_direction_NS_24const_host_device_scalarIT0_EES1_PKS1_PKT1_SA_S7_PKT3_PKT4_S5_PT5_21rocsparse_index_base_b.uses_vcc, 1
	.set _ZN9rocsparseL20bsrxmvn_17_32_kernelILj24EfllaafEEvT2_20rocsparse_direction_NS_24const_host_device_scalarIT0_EES1_PKS1_PKT1_SA_S7_PKT3_PKT4_S5_PT5_21rocsparse_index_base_b.uses_flat_scratch, 0
	.set _ZN9rocsparseL20bsrxmvn_17_32_kernelILj24EfllaafEEvT2_20rocsparse_direction_NS_24const_host_device_scalarIT0_EES1_PKS1_PKT1_SA_S7_PKT3_PKT4_S5_PT5_21rocsparse_index_base_b.has_dyn_sized_stack, 0
	.set _ZN9rocsparseL20bsrxmvn_17_32_kernelILj24EfllaafEEvT2_20rocsparse_direction_NS_24const_host_device_scalarIT0_EES1_PKS1_PKT1_SA_S7_PKT3_PKT4_S5_PT5_21rocsparse_index_base_b.has_recursion, 0
	.set _ZN9rocsparseL20bsrxmvn_17_32_kernelILj24EfllaafEEvT2_20rocsparse_direction_NS_24const_host_device_scalarIT0_EES1_PKS1_PKT1_SA_S7_PKT3_PKT4_S5_PT5_21rocsparse_index_base_b.has_indirect_call, 0
	.section	.AMDGPU.csdata,"",@progbits
; Kernel info:
; codeLenInByte = 1292
; TotalNumSgprs: 30
; NumVgprs: 13
; ScratchSize: 0
; MemoryBound: 0
; FloatMode: 240
; IeeeMode: 1
; LDSByteSize: 2304 bytes/workgroup (compile time only)
; SGPRBlocks: 8
; VGPRBlocks: 6
; NumSGPRsForWavesPerEU: 65
; NumVGPRsForWavesPerEU: 25
; Occupancy: 9
; WaveLimiterHint : 1
; COMPUTE_PGM_RSRC2:SCRATCH_EN: 0
; COMPUTE_PGM_RSRC2:USER_SGPR: 6
; COMPUTE_PGM_RSRC2:TRAP_HANDLER: 0
; COMPUTE_PGM_RSRC2:TGID_X_EN: 1
; COMPUTE_PGM_RSRC2:TGID_Y_EN: 0
; COMPUTE_PGM_RSRC2:TGID_Z_EN: 0
; COMPUTE_PGM_RSRC2:TIDIG_COMP_CNT: 0
	.section	.text._ZN9rocsparseL20bsrxmvn_17_32_kernelILj25EfllaafEEvT2_20rocsparse_direction_NS_24const_host_device_scalarIT0_EES1_PKS1_PKT1_SA_S7_PKT3_PKT4_S5_PT5_21rocsparse_index_base_b,"axG",@progbits,_ZN9rocsparseL20bsrxmvn_17_32_kernelILj25EfllaafEEvT2_20rocsparse_direction_NS_24const_host_device_scalarIT0_EES1_PKS1_PKT1_SA_S7_PKT3_PKT4_S5_PT5_21rocsparse_index_base_b,comdat
	.globl	_ZN9rocsparseL20bsrxmvn_17_32_kernelILj25EfllaafEEvT2_20rocsparse_direction_NS_24const_host_device_scalarIT0_EES1_PKS1_PKT1_SA_S7_PKT3_PKT4_S5_PT5_21rocsparse_index_base_b ; -- Begin function _ZN9rocsparseL20bsrxmvn_17_32_kernelILj25EfllaafEEvT2_20rocsparse_direction_NS_24const_host_device_scalarIT0_EES1_PKS1_PKT1_SA_S7_PKT3_PKT4_S5_PT5_21rocsparse_index_base_b
	.p2align	8
	.type	_ZN9rocsparseL20bsrxmvn_17_32_kernelILj25EfllaafEEvT2_20rocsparse_direction_NS_24const_host_device_scalarIT0_EES1_PKS1_PKT1_SA_S7_PKT3_PKT4_S5_PT5_21rocsparse_index_base_b,@function
_ZN9rocsparseL20bsrxmvn_17_32_kernelILj25EfllaafEEvT2_20rocsparse_direction_NS_24const_host_device_scalarIT0_EES1_PKS1_PKT1_SA_S7_PKT3_PKT4_S5_PT5_21rocsparse_index_base_b: ; @_ZN9rocsparseL20bsrxmvn_17_32_kernelILj25EfllaafEEvT2_20rocsparse_direction_NS_24const_host_device_scalarIT0_EES1_PKS1_PKT1_SA_S7_PKT3_PKT4_S5_PT5_21rocsparse_index_base_b
; %bb.0:
	s_load_dwordx2 s[18:19], s[4:5], 0x60
	s_load_dwordx2 s[14:15], s[4:5], 0x10
	;; [unrolled: 1-line block ×3, first 2 shown]
	s_waitcnt lgkmcnt(0)
	s_bitcmp1_b32 s19, 0
	s_cselect_b64 s[2:3], -1, 0
	s_xor_b64 s[0:1], s[2:3], -1
	s_and_b64 vcc, exec, s[2:3]
	s_cbranch_vccnz .LBB280_2
; %bb.1:
	s_load_dword s14, s[14:15], 0x0
.LBB280_2:
	s_andn2_b64 vcc, exec, s[0:1]
	s_cbranch_vccnz .LBB280_4
; %bb.3:
	s_load_dword s12, s[12:13], 0x0
.LBB280_4:
	s_waitcnt lgkmcnt(0)
	v_cmp_neq_f32_e64 s[0:1], s14, 0
	v_cmp_neq_f32_e64 s[2:3], s12, 1.0
	s_or_b64 s[0:1], s[0:1], s[2:3]
	s_andn2_b64 vcc, exec, s[0:1]
	s_mov_b32 s7, 0
	s_cbranch_vccnz .LBB280_40
; %bb.5:
	s_load_dwordx4 s[0:3], s[4:5], 0x20
	s_load_dwordx2 s[8:9], s[4:5], 0x30
	s_waitcnt lgkmcnt(0)
	s_cmp_eq_u64 s[0:1], 0
	s_cbranch_scc1 .LBB280_7
; %bb.6:
	s_lshl_b64 s[6:7], s[6:7], 3
	s_add_u32 s0, s0, s6
	s_addc_u32 s1, s1, s7
	s_load_dwordx2 s[0:1], s[0:1], 0x0
	s_waitcnt lgkmcnt(0)
	s_sub_u32 s6, s0, s18
	s_subb_u32 s7, s1, 0
.LBB280_7:
	s_load_dword s10, s[4:5], 0x8
	s_load_dwordx2 s[16:17], s[4:5], 0x58
	v_mul_u32_u24_e32 v1, 0xa3e, v0
	v_mov_b32_e32 v2, 25
	v_mul_lo_u16_sdwa v2, v1, v2 dst_sel:DWORD dst_unused:UNUSED_PAD src0_sel:WORD_1 src1_sel:DWORD
	s_waitcnt lgkmcnt(0)
	s_cmp_eq_u32 s10, 1
	s_cselect_b64 s[0:1], -1, 0
	s_cmp_lg_u32 s10, 1
	s_cselect_b64 s[20:21], -1, 0
	s_lshl_b64 s[10:11], s[6:7], 3
	s_add_u32 s24, s2, s10
	s_addc_u32 s25, s3, s11
	s_add_u32 s2, s24, 8
	s_addc_u32 s3, s25, 0
	;; [unrolled: 2-line block ×3, first 2 shown]
	s_cmp_eq_u64 s[8:9], 0
	s_cselect_b32 s9, s3, s11
	s_cselect_b32 s8, s2, s10
	s_load_dwordx2 s[2:3], s[8:9], 0x0
	s_load_dwordx2 s[22:23], s[24:25], 0x0
	v_sub_u16_e32 v10, v0, v2
	v_mov_b32_e32 v9, 0
	s_waitcnt lgkmcnt(0)
	v_mov_b32_e32 v2, s2
	v_mov_b32_e32 v3, s3
	v_cmp_ge_i64_e32 vcc, s[22:23], v[2:3]
	s_cbranch_vccnz .LBB280_12
; %bb.8:
	s_load_dwordx4 s[8:11], s[4:5], 0x38
	s_load_dwordx2 s[24:25], s[4:5], 0x48
	s_mov_b32 s4, 0xffff
	s_sub_u32 s2, s2, s18
	s_movk_i32 s5, 0x271
	v_and_b32_sdwa v1, s4, v1 dst_sel:DWORD dst_unused:UNUSED_PAD src0_sel:DWORD src1_sel:WORD_1
	s_subb_u32 s3, s3, 0
	v_subrev_u32_e32 v2, 25, v1
	v_cmp_gt_u32_e32 vcc, s5, v0
	s_sub_u32 s4, s22, s18
	v_cndmask_b32_e32 v1, v2, v1, vcc
	s_subb_u32 s5, s23, 0
	v_cndmask_b32_e64 v1, v10, v1, s[0:1]
	s_mul_i32 s0, s5, 0x271
	s_mul_hi_u32 s1, s4, 0x271
	s_add_i32 s1, s1, s0
	s_mul_i32 s0, s4, 0x271
	s_waitcnt lgkmcnt(0)
	v_mov_b32_e32 v2, s25
	v_add_co_u32_e32 v1, vcc, s24, v1
	s_add_u32 s0, s10, s0
	v_addc_co_u32_e32 v2, vcc, 0, v2, vcc
	s_addc_u32 s1, s11, s1
	v_mov_b32_e32 v4, s1
	v_add_co_u32_e32 v3, vcc, s0, v0
	v_addc_co_u32_e32 v4, vcc, 0, v4, vcc
	s_movk_i32 s0, 0x270
	v_cmp_lt_u32_e32 vcc, s0, v0
	v_cndmask_b32_e64 v11, 0, 1, vcc
	v_mov_b32_e32 v5, s23
	v_add_co_u32_e32 v6, vcc, s22, v11
	v_addc_co_u32_e32 v7, vcc, 0, v5, vcc
	v_subrev_co_u32_e32 v5, vcc, s18, v6
	v_subbrev_co_u32_e32 v6, vcc, 0, v7, vcc
	v_lshlrev_b64 v[5:6], 3, v[5:6]
	v_mov_b32_e32 v7, s9
	v_add_co_u32_e32 v5, vcc, s8, v5
	v_addc_co_u32_e32 v6, vcc, v7, v6, vcc
	v_mov_b32_e32 v8, s3
	v_mov_b32_e32 v9, 0
	;; [unrolled: 1-line block ×3, first 2 shown]
	s_branch .LBB280_10
.LBB280_9:                              ;   in Loop: Header=BB280_10 Depth=1
	s_or_b64 exec, exec, s[0:1]
	s_add_u32 s4, s4, 1
	s_addc_u32 s5, s5, 0
	v_cmp_lt_i64_e32 vcc, s[4:5], v[7:8]
	v_add_co_u32_e64 v5, s[0:1], 8, v5
	v_addc_co_u32_e64 v6, s[0:1], 0, v6, s[0:1]
	s_cbranch_vccz .LBB280_12
.LBB280_10:                             ; =>This Inner Loop Header: Depth=1
	v_mov_b32_e32 v13, s5
	v_add_co_u32_e32 v12, vcc, s4, v11
	v_addc_co_u32_e32 v13, vcc, 0, v13, vcc
	v_cmp_gt_i64_e32 vcc, s[2:3], v[12:13]
	s_and_saveexec_b64 s[0:1], vcc
	s_cbranch_execz .LBB280_9
; %bb.11:                               ;   in Loop: Header=BB280_10 Depth=1
	global_load_dwordx2 v[12:13], v[5:6], off
	s_waitcnt vmcnt(0)
	v_subrev_co_u32_e32 v12, vcc, s18, v12
	v_subbrev_co_u32_e32 v14, vcc, 0, v13, vcc
	v_mad_u64_u32 v[12:13], s[8:9], v12, 25, v[1:2]
	v_mad_u64_u32 v[13:14], s[8:9], v14, 25, v[13:14]
	global_load_sbyte v14, v[3:4], off
	s_nop 0
	global_load_sbyte v12, v[12:13], off
	v_add_co_u32_e32 v3, vcc, 0x271, v3
	v_addc_co_u32_e32 v4, vcc, 0, v4, vcc
	s_waitcnt vmcnt(1)
	v_cvt_f32_i32_e32 v13, v14
	s_waitcnt vmcnt(0)
	v_cvt_f32_i32_e32 v12, v12
	v_fmac_f32_e32 v9, v13, v12
	s_branch .LBB280_9
.LBB280_12:
	v_lshlrev_b32_e32 v1, 2, v0
	s_and_b64 vcc, exec, s[20:21]
	ds_write_b32 v1, v9
	s_waitcnt lgkmcnt(0)
	s_barrier
	s_cbranch_vccz .LBB280_24
; %bb.13:
	v_cmp_gt_u16_e32 vcc, 9, v10
	s_and_saveexec_b64 s[0:1], vcc
	s_cbranch_execz .LBB280_15
; %bb.14:
	ds_read2_b32 v[2:3], v1 offset1:16
	s_waitcnt lgkmcnt(0)
	v_add_f32_e32 v2, v3, v2
	ds_write_b32 v1, v2
.LBB280_15:
	s_or_b64 exec, exec, s[0:1]
	v_cmp_gt_u16_e32 vcc, 8, v10
	s_waitcnt lgkmcnt(0)
	s_barrier
	s_and_saveexec_b64 s[0:1], vcc
	s_cbranch_execz .LBB280_17
; %bb.16:
	ds_read2_b32 v[2:3], v1 offset1:8
	s_waitcnt lgkmcnt(0)
	v_add_f32_e32 v2, v3, v2
	ds_write_b32 v1, v2
.LBB280_17:
	s_or_b64 exec, exec, s[0:1]
	v_cmp_gt_u16_e32 vcc, 4, v10
	s_waitcnt lgkmcnt(0)
	s_barrier
	s_and_saveexec_b64 s[0:1], vcc
	s_cbranch_execz .LBB280_19
; %bb.18:
	ds_read2_b32 v[2:3], v1 offset1:4
	s_waitcnt lgkmcnt(0)
	v_add_f32_e32 v2, v3, v2
	ds_write_b32 v1, v2
.LBB280_19:
	s_or_b64 exec, exec, s[0:1]
	v_cmp_gt_u16_e32 vcc, 2, v10
	s_waitcnt lgkmcnt(0)
	s_barrier
	s_and_saveexec_b64 s[0:1], vcc
	s_cbranch_execz .LBB280_21
; %bb.20:
	ds_read2_b32 v[2:3], v1 offset1:2
	s_waitcnt lgkmcnt(0)
	v_add_f32_e32 v2, v3, v2
	ds_write_b32 v1, v2
.LBB280_21:
	s_or_b64 exec, exec, s[0:1]
	v_cmp_gt_u32_e32 vcc, 25, v0
	v_mov_b32_e32 v2, v9
	s_waitcnt lgkmcnt(0)
	s_barrier
	s_and_saveexec_b64 s[0:1], vcc
	s_cbranch_execz .LBB280_23
; %bb.22:
	s_movk_i32 s2, 0x60
	v_mad_u32_u24 v2, v0, s2, v1
	ds_read2_b32 v[2:3], v2 offset1:1
	s_waitcnt lgkmcnt(0)
	v_add_f32_e32 v2, v2, v3
.LBB280_23:
	s_or_b64 exec, exec, s[0:1]
	s_branch .LBB280_36
.LBB280_24:
                                        ; implicit-def: $vgpr2
	s_cbranch_execz .LBB280_36
; %bb.25:
	s_movk_i32 s0, 0xe1
	v_cmp_gt_u32_e32 vcc, s0, v0
	s_and_saveexec_b64 s[0:1], vcc
	s_cbranch_execz .LBB280_27
; %bb.26:
	ds_read_b32 v2, v1 offset:1600
	ds_read_b32 v3, v1
	s_waitcnt lgkmcnt(0)
	v_add_f32_e32 v2, v2, v3
	ds_write_b32 v1, v2
.LBB280_27:
	s_or_b64 exec, exec, s[0:1]
	s_movk_i32 s0, 0xc8
	v_cmp_gt_u32_e32 vcc, s0, v0
	s_waitcnt lgkmcnt(0)
	s_barrier
	s_and_saveexec_b64 s[0:1], vcc
	s_cbranch_execz .LBB280_29
; %bb.28:
	ds_read2_b32 v[2:3], v1 offset1:200
	s_waitcnt lgkmcnt(0)
	v_add_f32_e32 v2, v3, v2
	ds_write_b32 v1, v2
.LBB280_29:
	s_or_b64 exec, exec, s[0:1]
	s_movk_i32 s0, 0x64
	v_cmp_gt_u32_e32 vcc, s0, v0
	s_waitcnt lgkmcnt(0)
	s_barrier
	s_and_saveexec_b64 s[0:1], vcc
	s_cbranch_execz .LBB280_31
; %bb.30:
	ds_read2_b32 v[2:3], v1 offset1:100
	s_waitcnt lgkmcnt(0)
	v_add_f32_e32 v2, v3, v2
	ds_write_b32 v1, v2
.LBB280_31:
	s_or_b64 exec, exec, s[0:1]
	v_cmp_gt_u32_e32 vcc, 50, v0
	s_waitcnt lgkmcnt(0)
	s_barrier
	s_and_saveexec_b64 s[0:1], vcc
	s_cbranch_execz .LBB280_33
; %bb.32:
	ds_read2_b32 v[2:3], v1 offset1:50
	s_waitcnt lgkmcnt(0)
	v_add_f32_e32 v2, v3, v2
	ds_write_b32 v1, v2
.LBB280_33:
	s_or_b64 exec, exec, s[0:1]
	v_cmp_gt_u32_e32 vcc, 25, v0
	s_waitcnt lgkmcnt(0)
	s_and_saveexec_b64 s[0:1], vcc
	s_cbranch_execz .LBB280_35
; %bb.34:
	ds_read2_b32 v[2:3], v1 offset1:25
	s_waitcnt lgkmcnt(0)
	v_add_f32_e32 v9, v2, v3
.LBB280_35:
	s_or_b64 exec, exec, s[0:1]
	v_mov_b32_e32 v2, v9
.LBB280_36:
	v_cmp_gt_u32_e32 vcc, 25, v0
	s_and_saveexec_b64 s[0:1], vcc
	s_cbranch_execz .LBB280_40
; %bb.37:
	v_cmp_eq_f32_e64 s[0:1], s12, 0
	s_and_b64 vcc, exec, s[0:1]
	v_mul_f32_e32 v0, s14, v2
	s_mul_i32 s2, s7, 0x64
	s_mul_hi_u32 s3, s6, 0x64
	s_mul_i32 s4, s6, 0x64
	s_cbranch_vccz .LBB280_41
; %bb.38:
	s_add_i32 s1, s3, s2
	s_add_u32 s0, s16, s4
	s_addc_u32 s1, s17, s1
	global_store_dword v1, v0, s[0:1]
	s_cbranch_execnz .LBB280_40
.LBB280_39:
	s_add_i32 s3, s3, s2
	s_add_u32 s0, s16, s4
	s_addc_u32 s1, s17, s3
	global_load_dword v2, v1, s[0:1]
	s_waitcnt vmcnt(0)
	v_fmac_f32_e32 v0, s12, v2
	global_store_dword v1, v0, s[0:1]
.LBB280_40:
	s_endpgm
.LBB280_41:
	s_branch .LBB280_39
	.section	.rodata,"a",@progbits
	.p2align	6, 0x0
	.amdhsa_kernel _ZN9rocsparseL20bsrxmvn_17_32_kernelILj25EfllaafEEvT2_20rocsparse_direction_NS_24const_host_device_scalarIT0_EES1_PKS1_PKT1_SA_S7_PKT3_PKT4_S5_PT5_21rocsparse_index_base_b
		.amdhsa_group_segment_fixed_size 2500
		.amdhsa_private_segment_fixed_size 0
		.amdhsa_kernarg_size 104
		.amdhsa_user_sgpr_count 6
		.amdhsa_user_sgpr_private_segment_buffer 1
		.amdhsa_user_sgpr_dispatch_ptr 0
		.amdhsa_user_sgpr_queue_ptr 0
		.amdhsa_user_sgpr_kernarg_segment_ptr 1
		.amdhsa_user_sgpr_dispatch_id 0
		.amdhsa_user_sgpr_flat_scratch_init 0
		.amdhsa_user_sgpr_private_segment_size 0
		.amdhsa_uses_dynamic_stack 0
		.amdhsa_system_sgpr_private_segment_wavefront_offset 0
		.amdhsa_system_sgpr_workgroup_id_x 1
		.amdhsa_system_sgpr_workgroup_id_y 0
		.amdhsa_system_sgpr_workgroup_id_z 0
		.amdhsa_system_sgpr_workgroup_info 0
		.amdhsa_system_vgpr_workitem_id 0
		.amdhsa_next_free_vgpr 15
		.amdhsa_next_free_sgpr 26
		.amdhsa_reserve_vcc 1
		.amdhsa_reserve_flat_scratch 0
		.amdhsa_float_round_mode_32 0
		.amdhsa_float_round_mode_16_64 0
		.amdhsa_float_denorm_mode_32 3
		.amdhsa_float_denorm_mode_16_64 3
		.amdhsa_dx10_clamp 1
		.amdhsa_ieee_mode 1
		.amdhsa_fp16_overflow 0
		.amdhsa_exception_fp_ieee_invalid_op 0
		.amdhsa_exception_fp_denorm_src 0
		.amdhsa_exception_fp_ieee_div_zero 0
		.amdhsa_exception_fp_ieee_overflow 0
		.amdhsa_exception_fp_ieee_underflow 0
		.amdhsa_exception_fp_ieee_inexact 0
		.amdhsa_exception_int_div_zero 0
	.end_amdhsa_kernel
	.section	.text._ZN9rocsparseL20bsrxmvn_17_32_kernelILj25EfllaafEEvT2_20rocsparse_direction_NS_24const_host_device_scalarIT0_EES1_PKS1_PKT1_SA_S7_PKT3_PKT4_S5_PT5_21rocsparse_index_base_b,"axG",@progbits,_ZN9rocsparseL20bsrxmvn_17_32_kernelILj25EfllaafEEvT2_20rocsparse_direction_NS_24const_host_device_scalarIT0_EES1_PKS1_PKT1_SA_S7_PKT3_PKT4_S5_PT5_21rocsparse_index_base_b,comdat
.Lfunc_end280:
	.size	_ZN9rocsparseL20bsrxmvn_17_32_kernelILj25EfllaafEEvT2_20rocsparse_direction_NS_24const_host_device_scalarIT0_EES1_PKS1_PKT1_SA_S7_PKT3_PKT4_S5_PT5_21rocsparse_index_base_b, .Lfunc_end280-_ZN9rocsparseL20bsrxmvn_17_32_kernelILj25EfllaafEEvT2_20rocsparse_direction_NS_24const_host_device_scalarIT0_EES1_PKS1_PKT1_SA_S7_PKT3_PKT4_S5_PT5_21rocsparse_index_base_b
                                        ; -- End function
	.set _ZN9rocsparseL20bsrxmvn_17_32_kernelILj25EfllaafEEvT2_20rocsparse_direction_NS_24const_host_device_scalarIT0_EES1_PKS1_PKT1_SA_S7_PKT3_PKT4_S5_PT5_21rocsparse_index_base_b.num_vgpr, 15
	.set _ZN9rocsparseL20bsrxmvn_17_32_kernelILj25EfllaafEEvT2_20rocsparse_direction_NS_24const_host_device_scalarIT0_EES1_PKS1_PKT1_SA_S7_PKT3_PKT4_S5_PT5_21rocsparse_index_base_b.num_agpr, 0
	.set _ZN9rocsparseL20bsrxmvn_17_32_kernelILj25EfllaafEEvT2_20rocsparse_direction_NS_24const_host_device_scalarIT0_EES1_PKS1_PKT1_SA_S7_PKT3_PKT4_S5_PT5_21rocsparse_index_base_b.numbered_sgpr, 26
	.set _ZN9rocsparseL20bsrxmvn_17_32_kernelILj25EfllaafEEvT2_20rocsparse_direction_NS_24const_host_device_scalarIT0_EES1_PKS1_PKT1_SA_S7_PKT3_PKT4_S5_PT5_21rocsparse_index_base_b.num_named_barrier, 0
	.set _ZN9rocsparseL20bsrxmvn_17_32_kernelILj25EfllaafEEvT2_20rocsparse_direction_NS_24const_host_device_scalarIT0_EES1_PKS1_PKT1_SA_S7_PKT3_PKT4_S5_PT5_21rocsparse_index_base_b.private_seg_size, 0
	.set _ZN9rocsparseL20bsrxmvn_17_32_kernelILj25EfllaafEEvT2_20rocsparse_direction_NS_24const_host_device_scalarIT0_EES1_PKS1_PKT1_SA_S7_PKT3_PKT4_S5_PT5_21rocsparse_index_base_b.uses_vcc, 1
	.set _ZN9rocsparseL20bsrxmvn_17_32_kernelILj25EfllaafEEvT2_20rocsparse_direction_NS_24const_host_device_scalarIT0_EES1_PKS1_PKT1_SA_S7_PKT3_PKT4_S5_PT5_21rocsparse_index_base_b.uses_flat_scratch, 0
	.set _ZN9rocsparseL20bsrxmvn_17_32_kernelILj25EfllaafEEvT2_20rocsparse_direction_NS_24const_host_device_scalarIT0_EES1_PKS1_PKT1_SA_S7_PKT3_PKT4_S5_PT5_21rocsparse_index_base_b.has_dyn_sized_stack, 0
	.set _ZN9rocsparseL20bsrxmvn_17_32_kernelILj25EfllaafEEvT2_20rocsparse_direction_NS_24const_host_device_scalarIT0_EES1_PKS1_PKT1_SA_S7_PKT3_PKT4_S5_PT5_21rocsparse_index_base_b.has_recursion, 0
	.set _ZN9rocsparseL20bsrxmvn_17_32_kernelILj25EfllaafEEvT2_20rocsparse_direction_NS_24const_host_device_scalarIT0_EES1_PKS1_PKT1_SA_S7_PKT3_PKT4_S5_PT5_21rocsparse_index_base_b.has_indirect_call, 0
	.section	.AMDGPU.csdata,"",@progbits
; Kernel info:
; codeLenInByte = 1312
; TotalNumSgprs: 30
; NumVgprs: 15
; ScratchSize: 0
; MemoryBound: 0
; FloatMode: 240
; IeeeMode: 1
; LDSByteSize: 2500 bytes/workgroup (compile time only)
; SGPRBlocks: 3
; VGPRBlocks: 3
; NumSGPRsForWavesPerEU: 30
; NumVGPRsForWavesPerEU: 15
; Occupancy: 10
; WaveLimiterHint : 1
; COMPUTE_PGM_RSRC2:SCRATCH_EN: 0
; COMPUTE_PGM_RSRC2:USER_SGPR: 6
; COMPUTE_PGM_RSRC2:TRAP_HANDLER: 0
; COMPUTE_PGM_RSRC2:TGID_X_EN: 1
; COMPUTE_PGM_RSRC2:TGID_Y_EN: 0
; COMPUTE_PGM_RSRC2:TGID_Z_EN: 0
; COMPUTE_PGM_RSRC2:TIDIG_COMP_CNT: 0
	.section	.text._ZN9rocsparseL20bsrxmvn_17_32_kernelILj26EfllaafEEvT2_20rocsparse_direction_NS_24const_host_device_scalarIT0_EES1_PKS1_PKT1_SA_S7_PKT3_PKT4_S5_PT5_21rocsparse_index_base_b,"axG",@progbits,_ZN9rocsparseL20bsrxmvn_17_32_kernelILj26EfllaafEEvT2_20rocsparse_direction_NS_24const_host_device_scalarIT0_EES1_PKS1_PKT1_SA_S7_PKT3_PKT4_S5_PT5_21rocsparse_index_base_b,comdat
	.globl	_ZN9rocsparseL20bsrxmvn_17_32_kernelILj26EfllaafEEvT2_20rocsparse_direction_NS_24const_host_device_scalarIT0_EES1_PKS1_PKT1_SA_S7_PKT3_PKT4_S5_PT5_21rocsparse_index_base_b ; -- Begin function _ZN9rocsparseL20bsrxmvn_17_32_kernelILj26EfllaafEEvT2_20rocsparse_direction_NS_24const_host_device_scalarIT0_EES1_PKS1_PKT1_SA_S7_PKT3_PKT4_S5_PT5_21rocsparse_index_base_b
	.p2align	8
	.type	_ZN9rocsparseL20bsrxmvn_17_32_kernelILj26EfllaafEEvT2_20rocsparse_direction_NS_24const_host_device_scalarIT0_EES1_PKS1_PKT1_SA_S7_PKT3_PKT4_S5_PT5_21rocsparse_index_base_b,@function
_ZN9rocsparseL20bsrxmvn_17_32_kernelILj26EfllaafEEvT2_20rocsparse_direction_NS_24const_host_device_scalarIT0_EES1_PKS1_PKT1_SA_S7_PKT3_PKT4_S5_PT5_21rocsparse_index_base_b: ; @_ZN9rocsparseL20bsrxmvn_17_32_kernelILj26EfllaafEEvT2_20rocsparse_direction_NS_24const_host_device_scalarIT0_EES1_PKS1_PKT1_SA_S7_PKT3_PKT4_S5_PT5_21rocsparse_index_base_b
; %bb.0:
	s_load_dwordx2 s[18:19], s[4:5], 0x60
	s_load_dwordx2 s[14:15], s[4:5], 0x10
	;; [unrolled: 1-line block ×3, first 2 shown]
	s_waitcnt lgkmcnt(0)
	s_bitcmp1_b32 s19, 0
	s_cselect_b64 s[2:3], -1, 0
	s_xor_b64 s[0:1], s[2:3], -1
	s_and_b64 vcc, exec, s[2:3]
	s_cbranch_vccnz .LBB281_2
; %bb.1:
	s_load_dword s14, s[14:15], 0x0
.LBB281_2:
	s_andn2_b64 vcc, exec, s[0:1]
	s_cbranch_vccnz .LBB281_4
; %bb.3:
	s_load_dword s12, s[12:13], 0x0
.LBB281_4:
	s_waitcnt lgkmcnt(0)
	v_cmp_neq_f32_e64 s[0:1], s14, 0
	v_cmp_neq_f32_e64 s[2:3], s12, 1.0
	s_or_b64 s[0:1], s[0:1], s[2:3]
	s_andn2_b64 vcc, exec, s[0:1]
	s_mov_b32 s7, 0
	s_cbranch_vccnz .LBB281_40
; %bb.5:
	s_load_dwordx4 s[0:3], s[4:5], 0x20
	s_load_dwordx2 s[8:9], s[4:5], 0x30
	s_waitcnt lgkmcnt(0)
	s_cmp_eq_u64 s[0:1], 0
	s_cbranch_scc1 .LBB281_7
; %bb.6:
	s_lshl_b64 s[6:7], s[6:7], 3
	s_add_u32 s0, s0, s6
	s_addc_u32 s1, s1, s7
	s_load_dwordx2 s[0:1], s[0:1], 0x0
	s_waitcnt lgkmcnt(0)
	s_sub_u32 s6, s0, s18
	s_subb_u32 s7, s1, 0
.LBB281_7:
	s_load_dword s10, s[4:5], 0x8
	s_load_dwordx2 s[16:17], s[4:5], 0x58
	v_mul_u32_u24_e32 v1, 0x9d9, v0
	v_mov_b32_e32 v2, 26
	v_mul_lo_u16_sdwa v2, v1, v2 dst_sel:DWORD dst_unused:UNUSED_PAD src0_sel:WORD_1 src1_sel:DWORD
	s_waitcnt lgkmcnt(0)
	s_cmp_eq_u32 s10, 1
	s_cselect_b64 s[0:1], -1, 0
	s_cmp_lg_u32 s10, 1
	s_cselect_b64 s[20:21], -1, 0
	s_lshl_b64 s[10:11], s[6:7], 3
	s_add_u32 s24, s2, s10
	s_addc_u32 s25, s3, s11
	s_add_u32 s2, s24, 8
	s_addc_u32 s3, s25, 0
	;; [unrolled: 2-line block ×3, first 2 shown]
	s_cmp_eq_u64 s[8:9], 0
	s_cselect_b32 s9, s3, s11
	s_cselect_b32 s8, s2, s10
	s_load_dwordx2 s[2:3], s[8:9], 0x0
	s_load_dwordx2 s[22:23], s[24:25], 0x0
	v_sub_u16_e32 v10, v0, v2
	v_mov_b32_e32 v9, 0
	s_waitcnt lgkmcnt(0)
	v_mov_b32_e32 v2, s2
	v_mov_b32_e32 v3, s3
	v_cmp_ge_i64_e32 vcc, s[22:23], v[2:3]
	s_cbranch_vccnz .LBB281_12
; %bb.8:
	s_load_dwordx4 s[8:11], s[4:5], 0x38
	s_load_dwordx2 s[24:25], s[4:5], 0x48
	s_mov_b32 s4, 0xffff
	s_sub_u32 s2, s2, s18
	s_movk_i32 s5, 0x2a4
	v_and_b32_sdwa v1, s4, v1 dst_sel:DWORD dst_unused:UNUSED_PAD src0_sel:DWORD src1_sel:WORD_1
	s_subb_u32 s3, s3, 0
	v_subrev_u32_e32 v2, 26, v1
	v_cmp_gt_u32_e32 vcc, s5, v0
	s_sub_u32 s4, s22, s18
	v_cndmask_b32_e32 v1, v2, v1, vcc
	s_subb_u32 s5, s23, 0
	v_cndmask_b32_e64 v1, v10, v1, s[0:1]
	s_mul_i32 s0, s5, 0x2a4
	s_mul_hi_u32 s1, s4, 0x2a4
	s_add_i32 s1, s1, s0
	s_mul_i32 s0, s4, 0x2a4
	s_waitcnt lgkmcnt(0)
	v_mov_b32_e32 v2, s25
	v_add_co_u32_e32 v1, vcc, s24, v1
	s_add_u32 s0, s10, s0
	v_addc_co_u32_e32 v2, vcc, 0, v2, vcc
	s_addc_u32 s1, s11, s1
	v_mov_b32_e32 v4, s1
	v_add_co_u32_e32 v3, vcc, s0, v0
	v_addc_co_u32_e32 v4, vcc, 0, v4, vcc
	s_movk_i32 s0, 0x2a3
	v_cmp_lt_u32_e32 vcc, s0, v0
	v_cndmask_b32_e64 v11, 0, 1, vcc
	v_mov_b32_e32 v5, s23
	v_add_co_u32_e32 v6, vcc, s22, v11
	v_addc_co_u32_e32 v7, vcc, 0, v5, vcc
	v_subrev_co_u32_e32 v5, vcc, s18, v6
	v_subbrev_co_u32_e32 v6, vcc, 0, v7, vcc
	v_lshlrev_b64 v[5:6], 3, v[5:6]
	v_mov_b32_e32 v7, s9
	v_add_co_u32_e32 v5, vcc, s8, v5
	v_addc_co_u32_e32 v6, vcc, v7, v6, vcc
	v_mov_b32_e32 v8, s3
	v_mov_b32_e32 v9, 0
	;; [unrolled: 1-line block ×3, first 2 shown]
	s_branch .LBB281_10
.LBB281_9:                              ;   in Loop: Header=BB281_10 Depth=1
	s_or_b64 exec, exec, s[0:1]
	s_add_u32 s4, s4, 1
	s_addc_u32 s5, s5, 0
	v_cmp_lt_i64_e32 vcc, s[4:5], v[7:8]
	v_add_co_u32_e64 v5, s[0:1], 8, v5
	v_addc_co_u32_e64 v6, s[0:1], 0, v6, s[0:1]
	s_cbranch_vccz .LBB281_12
.LBB281_10:                             ; =>This Inner Loop Header: Depth=1
	v_mov_b32_e32 v13, s5
	v_add_co_u32_e32 v12, vcc, s4, v11
	v_addc_co_u32_e32 v13, vcc, 0, v13, vcc
	v_cmp_gt_i64_e32 vcc, s[2:3], v[12:13]
	s_and_saveexec_b64 s[0:1], vcc
	s_cbranch_execz .LBB281_9
; %bb.11:                               ;   in Loop: Header=BB281_10 Depth=1
	global_load_dwordx2 v[12:13], v[5:6], off
	s_waitcnt vmcnt(0)
	v_subrev_co_u32_e32 v12, vcc, s18, v12
	v_subbrev_co_u32_e32 v14, vcc, 0, v13, vcc
	v_mad_u64_u32 v[12:13], s[8:9], v12, 26, v[1:2]
	v_mad_u64_u32 v[13:14], s[8:9], v14, 26, v[13:14]
	global_load_sbyte v14, v[3:4], off
	s_nop 0
	global_load_sbyte v12, v[12:13], off
	v_add_co_u32_e32 v3, vcc, 0x2a4, v3
	v_addc_co_u32_e32 v4, vcc, 0, v4, vcc
	s_waitcnt vmcnt(1)
	v_cvt_f32_i32_e32 v13, v14
	s_waitcnt vmcnt(0)
	v_cvt_f32_i32_e32 v12, v12
	v_fmac_f32_e32 v9, v13, v12
	s_branch .LBB281_9
.LBB281_12:
	v_lshlrev_b32_e32 v1, 2, v0
	s_and_b64 vcc, exec, s[20:21]
	ds_write_b32 v1, v9
	s_waitcnt lgkmcnt(0)
	s_barrier
	s_cbranch_vccz .LBB281_24
; %bb.13:
	v_cmp_gt_u16_e32 vcc, 10, v10
	s_and_saveexec_b64 s[0:1], vcc
	s_cbranch_execz .LBB281_15
; %bb.14:
	ds_read2_b32 v[2:3], v1 offset1:16
	s_waitcnt lgkmcnt(0)
	v_add_f32_e32 v2, v3, v2
	ds_write_b32 v1, v2
.LBB281_15:
	s_or_b64 exec, exec, s[0:1]
	v_cmp_gt_u16_e32 vcc, 8, v10
	s_waitcnt lgkmcnt(0)
	s_barrier
	s_and_saveexec_b64 s[0:1], vcc
	s_cbranch_execz .LBB281_17
; %bb.16:
	ds_read2_b32 v[2:3], v1 offset1:8
	s_waitcnt lgkmcnt(0)
	v_add_f32_e32 v2, v3, v2
	ds_write_b32 v1, v2
.LBB281_17:
	s_or_b64 exec, exec, s[0:1]
	v_cmp_gt_u16_e32 vcc, 4, v10
	s_waitcnt lgkmcnt(0)
	s_barrier
	;; [unrolled: 12-line block ×3, first 2 shown]
	s_and_saveexec_b64 s[0:1], vcc
	s_cbranch_execz .LBB281_21
; %bb.20:
	ds_read2_b32 v[2:3], v1 offset1:2
	s_waitcnt lgkmcnt(0)
	v_add_f32_e32 v2, v3, v2
	ds_write_b32 v1, v2
.LBB281_21:
	s_or_b64 exec, exec, s[0:1]
	v_cmp_gt_u32_e32 vcc, 26, v0
	v_mov_b32_e32 v2, v9
	s_waitcnt lgkmcnt(0)
	s_barrier
	s_and_saveexec_b64 s[0:1], vcc
	s_cbranch_execz .LBB281_23
; %bb.22:
	s_movk_i32 s2, 0x64
	v_mad_u32_u24 v2, v0, s2, v1
	ds_read_b64 v[2:3], v2
	s_waitcnt lgkmcnt(0)
	v_add_f32_e32 v2, v2, v3
.LBB281_23:
	s_or_b64 exec, exec, s[0:1]
	s_branch .LBB281_36
.LBB281_24:
                                        ; implicit-def: $vgpr2
	s_cbranch_execz .LBB281_36
; %bb.25:
	s_movk_i32 s0, 0x104
	v_cmp_gt_u32_e32 vcc, s0, v0
	s_and_saveexec_b64 s[0:1], vcc
	s_cbranch_execz .LBB281_27
; %bb.26:
	ds_read_b32 v2, v1 offset:1664
	ds_read_b32 v3, v1
	s_waitcnt lgkmcnt(0)
	v_add_f32_e32 v2, v2, v3
	ds_write_b32 v1, v2
.LBB281_27:
	s_or_b64 exec, exec, s[0:1]
	s_movk_i32 s0, 0xd0
	v_cmp_gt_u32_e32 vcc, s0, v0
	s_waitcnt lgkmcnt(0)
	s_barrier
	s_and_saveexec_b64 s[0:1], vcc
	s_cbranch_execz .LBB281_29
; %bb.28:
	ds_read2_b32 v[2:3], v1 offset1:208
	s_waitcnt lgkmcnt(0)
	v_add_f32_e32 v2, v3, v2
	ds_write_b32 v1, v2
.LBB281_29:
	s_or_b64 exec, exec, s[0:1]
	s_movk_i32 s0, 0x68
	v_cmp_gt_u32_e32 vcc, s0, v0
	s_waitcnt lgkmcnt(0)
	s_barrier
	s_and_saveexec_b64 s[0:1], vcc
	s_cbranch_execz .LBB281_31
; %bb.30:
	ds_read2_b32 v[2:3], v1 offset1:104
	s_waitcnt lgkmcnt(0)
	v_add_f32_e32 v2, v3, v2
	ds_write_b32 v1, v2
.LBB281_31:
	s_or_b64 exec, exec, s[0:1]
	v_cmp_gt_u32_e32 vcc, 52, v0
	s_waitcnt lgkmcnt(0)
	s_barrier
	s_and_saveexec_b64 s[0:1], vcc
	s_cbranch_execz .LBB281_33
; %bb.32:
	ds_read2_b32 v[2:3], v1 offset1:52
	s_waitcnt lgkmcnt(0)
	v_add_f32_e32 v2, v3, v2
	ds_write_b32 v1, v2
.LBB281_33:
	s_or_b64 exec, exec, s[0:1]
	v_cmp_gt_u32_e32 vcc, 26, v0
	s_waitcnt lgkmcnt(0)
	s_and_saveexec_b64 s[0:1], vcc
	s_cbranch_execz .LBB281_35
; %bb.34:
	ds_read2_b32 v[2:3], v1 offset1:26
	s_waitcnt lgkmcnt(0)
	v_add_f32_e32 v9, v2, v3
.LBB281_35:
	s_or_b64 exec, exec, s[0:1]
	v_mov_b32_e32 v2, v9
.LBB281_36:
	v_cmp_gt_u32_e32 vcc, 26, v0
	s_and_saveexec_b64 s[0:1], vcc
	s_cbranch_execz .LBB281_40
; %bb.37:
	v_cmp_eq_f32_e64 s[0:1], s12, 0
	s_and_b64 vcc, exec, s[0:1]
	v_mul_f32_e32 v0, s14, v2
	s_mul_i32 s2, s7, 0x68
	s_mul_hi_u32 s3, s6, 0x68
	s_mul_i32 s4, s6, 0x68
	s_cbranch_vccz .LBB281_41
; %bb.38:
	s_add_i32 s1, s3, s2
	s_add_u32 s0, s16, s4
	s_addc_u32 s1, s17, s1
	global_store_dword v1, v0, s[0:1]
	s_cbranch_execnz .LBB281_40
.LBB281_39:
	s_add_i32 s3, s3, s2
	s_add_u32 s0, s16, s4
	s_addc_u32 s1, s17, s3
	global_load_dword v2, v1, s[0:1]
	s_waitcnt vmcnt(0)
	v_fmac_f32_e32 v0, s12, v2
	global_store_dword v1, v0, s[0:1]
.LBB281_40:
	s_endpgm
.LBB281_41:
	s_branch .LBB281_39
	.section	.rodata,"a",@progbits
	.p2align	6, 0x0
	.amdhsa_kernel _ZN9rocsparseL20bsrxmvn_17_32_kernelILj26EfllaafEEvT2_20rocsparse_direction_NS_24const_host_device_scalarIT0_EES1_PKS1_PKT1_SA_S7_PKT3_PKT4_S5_PT5_21rocsparse_index_base_b
		.amdhsa_group_segment_fixed_size 2704
		.amdhsa_private_segment_fixed_size 0
		.amdhsa_kernarg_size 104
		.amdhsa_user_sgpr_count 6
		.amdhsa_user_sgpr_private_segment_buffer 1
		.amdhsa_user_sgpr_dispatch_ptr 0
		.amdhsa_user_sgpr_queue_ptr 0
		.amdhsa_user_sgpr_kernarg_segment_ptr 1
		.amdhsa_user_sgpr_dispatch_id 0
		.amdhsa_user_sgpr_flat_scratch_init 0
		.amdhsa_user_sgpr_private_segment_size 0
		.amdhsa_uses_dynamic_stack 0
		.amdhsa_system_sgpr_private_segment_wavefront_offset 0
		.amdhsa_system_sgpr_workgroup_id_x 1
		.amdhsa_system_sgpr_workgroup_id_y 0
		.amdhsa_system_sgpr_workgroup_id_z 0
		.amdhsa_system_sgpr_workgroup_info 0
		.amdhsa_system_vgpr_workitem_id 0
		.amdhsa_next_free_vgpr 25
		.amdhsa_next_free_sgpr 61
		.amdhsa_reserve_vcc 1
		.amdhsa_reserve_flat_scratch 0
		.amdhsa_float_round_mode_32 0
		.amdhsa_float_round_mode_16_64 0
		.amdhsa_float_denorm_mode_32 3
		.amdhsa_float_denorm_mode_16_64 3
		.amdhsa_dx10_clamp 1
		.amdhsa_ieee_mode 1
		.amdhsa_fp16_overflow 0
		.amdhsa_exception_fp_ieee_invalid_op 0
		.amdhsa_exception_fp_denorm_src 0
		.amdhsa_exception_fp_ieee_div_zero 0
		.amdhsa_exception_fp_ieee_overflow 0
		.amdhsa_exception_fp_ieee_underflow 0
		.amdhsa_exception_fp_ieee_inexact 0
		.amdhsa_exception_int_div_zero 0
	.end_amdhsa_kernel
	.section	.text._ZN9rocsparseL20bsrxmvn_17_32_kernelILj26EfllaafEEvT2_20rocsparse_direction_NS_24const_host_device_scalarIT0_EES1_PKS1_PKT1_SA_S7_PKT3_PKT4_S5_PT5_21rocsparse_index_base_b,"axG",@progbits,_ZN9rocsparseL20bsrxmvn_17_32_kernelILj26EfllaafEEvT2_20rocsparse_direction_NS_24const_host_device_scalarIT0_EES1_PKS1_PKT1_SA_S7_PKT3_PKT4_S5_PT5_21rocsparse_index_base_b,comdat
.Lfunc_end281:
	.size	_ZN9rocsparseL20bsrxmvn_17_32_kernelILj26EfllaafEEvT2_20rocsparse_direction_NS_24const_host_device_scalarIT0_EES1_PKS1_PKT1_SA_S7_PKT3_PKT4_S5_PT5_21rocsparse_index_base_b, .Lfunc_end281-_ZN9rocsparseL20bsrxmvn_17_32_kernelILj26EfllaafEEvT2_20rocsparse_direction_NS_24const_host_device_scalarIT0_EES1_PKS1_PKT1_SA_S7_PKT3_PKT4_S5_PT5_21rocsparse_index_base_b
                                        ; -- End function
	.set _ZN9rocsparseL20bsrxmvn_17_32_kernelILj26EfllaafEEvT2_20rocsparse_direction_NS_24const_host_device_scalarIT0_EES1_PKS1_PKT1_SA_S7_PKT3_PKT4_S5_PT5_21rocsparse_index_base_b.num_vgpr, 15
	.set _ZN9rocsparseL20bsrxmvn_17_32_kernelILj26EfllaafEEvT2_20rocsparse_direction_NS_24const_host_device_scalarIT0_EES1_PKS1_PKT1_SA_S7_PKT3_PKT4_S5_PT5_21rocsparse_index_base_b.num_agpr, 0
	.set _ZN9rocsparseL20bsrxmvn_17_32_kernelILj26EfllaafEEvT2_20rocsparse_direction_NS_24const_host_device_scalarIT0_EES1_PKS1_PKT1_SA_S7_PKT3_PKT4_S5_PT5_21rocsparse_index_base_b.numbered_sgpr, 26
	.set _ZN9rocsparseL20bsrxmvn_17_32_kernelILj26EfllaafEEvT2_20rocsparse_direction_NS_24const_host_device_scalarIT0_EES1_PKS1_PKT1_SA_S7_PKT3_PKT4_S5_PT5_21rocsparse_index_base_b.num_named_barrier, 0
	.set _ZN9rocsparseL20bsrxmvn_17_32_kernelILj26EfllaafEEvT2_20rocsparse_direction_NS_24const_host_device_scalarIT0_EES1_PKS1_PKT1_SA_S7_PKT3_PKT4_S5_PT5_21rocsparse_index_base_b.private_seg_size, 0
	.set _ZN9rocsparseL20bsrxmvn_17_32_kernelILj26EfllaafEEvT2_20rocsparse_direction_NS_24const_host_device_scalarIT0_EES1_PKS1_PKT1_SA_S7_PKT3_PKT4_S5_PT5_21rocsparse_index_base_b.uses_vcc, 1
	.set _ZN9rocsparseL20bsrxmvn_17_32_kernelILj26EfllaafEEvT2_20rocsparse_direction_NS_24const_host_device_scalarIT0_EES1_PKS1_PKT1_SA_S7_PKT3_PKT4_S5_PT5_21rocsparse_index_base_b.uses_flat_scratch, 0
	.set _ZN9rocsparseL20bsrxmvn_17_32_kernelILj26EfllaafEEvT2_20rocsparse_direction_NS_24const_host_device_scalarIT0_EES1_PKS1_PKT1_SA_S7_PKT3_PKT4_S5_PT5_21rocsparse_index_base_b.has_dyn_sized_stack, 0
	.set _ZN9rocsparseL20bsrxmvn_17_32_kernelILj26EfllaafEEvT2_20rocsparse_direction_NS_24const_host_device_scalarIT0_EES1_PKS1_PKT1_SA_S7_PKT3_PKT4_S5_PT5_21rocsparse_index_base_b.has_recursion, 0
	.set _ZN9rocsparseL20bsrxmvn_17_32_kernelILj26EfllaafEEvT2_20rocsparse_direction_NS_24const_host_device_scalarIT0_EES1_PKS1_PKT1_SA_S7_PKT3_PKT4_S5_PT5_21rocsparse_index_base_b.has_indirect_call, 0
	.section	.AMDGPU.csdata,"",@progbits
; Kernel info:
; codeLenInByte = 1312
; TotalNumSgprs: 30
; NumVgprs: 15
; ScratchSize: 0
; MemoryBound: 0
; FloatMode: 240
; IeeeMode: 1
; LDSByteSize: 2704 bytes/workgroup (compile time only)
; SGPRBlocks: 8
; VGPRBlocks: 6
; NumSGPRsForWavesPerEU: 65
; NumVGPRsForWavesPerEU: 25
; Occupancy: 9
; WaveLimiterHint : 1
; COMPUTE_PGM_RSRC2:SCRATCH_EN: 0
; COMPUTE_PGM_RSRC2:USER_SGPR: 6
; COMPUTE_PGM_RSRC2:TRAP_HANDLER: 0
; COMPUTE_PGM_RSRC2:TGID_X_EN: 1
; COMPUTE_PGM_RSRC2:TGID_Y_EN: 0
; COMPUTE_PGM_RSRC2:TGID_Z_EN: 0
; COMPUTE_PGM_RSRC2:TIDIG_COMP_CNT: 0
	.section	.text._ZN9rocsparseL20bsrxmvn_17_32_kernelILj27EfllaafEEvT2_20rocsparse_direction_NS_24const_host_device_scalarIT0_EES1_PKS1_PKT1_SA_S7_PKT3_PKT4_S5_PT5_21rocsparse_index_base_b,"axG",@progbits,_ZN9rocsparseL20bsrxmvn_17_32_kernelILj27EfllaafEEvT2_20rocsparse_direction_NS_24const_host_device_scalarIT0_EES1_PKS1_PKT1_SA_S7_PKT3_PKT4_S5_PT5_21rocsparse_index_base_b,comdat
	.globl	_ZN9rocsparseL20bsrxmvn_17_32_kernelILj27EfllaafEEvT2_20rocsparse_direction_NS_24const_host_device_scalarIT0_EES1_PKS1_PKT1_SA_S7_PKT3_PKT4_S5_PT5_21rocsparse_index_base_b ; -- Begin function _ZN9rocsparseL20bsrxmvn_17_32_kernelILj27EfllaafEEvT2_20rocsparse_direction_NS_24const_host_device_scalarIT0_EES1_PKS1_PKT1_SA_S7_PKT3_PKT4_S5_PT5_21rocsparse_index_base_b
	.p2align	8
	.type	_ZN9rocsparseL20bsrxmvn_17_32_kernelILj27EfllaafEEvT2_20rocsparse_direction_NS_24const_host_device_scalarIT0_EES1_PKS1_PKT1_SA_S7_PKT3_PKT4_S5_PT5_21rocsparse_index_base_b,@function
_ZN9rocsparseL20bsrxmvn_17_32_kernelILj27EfllaafEEvT2_20rocsparse_direction_NS_24const_host_device_scalarIT0_EES1_PKS1_PKT1_SA_S7_PKT3_PKT4_S5_PT5_21rocsparse_index_base_b: ; @_ZN9rocsparseL20bsrxmvn_17_32_kernelILj27EfllaafEEvT2_20rocsparse_direction_NS_24const_host_device_scalarIT0_EES1_PKS1_PKT1_SA_S7_PKT3_PKT4_S5_PT5_21rocsparse_index_base_b
; %bb.0:
	s_load_dwordx2 s[18:19], s[4:5], 0x60
	s_load_dwordx2 s[14:15], s[4:5], 0x10
	s_load_dwordx2 s[12:13], s[4:5], 0x50
	s_waitcnt lgkmcnt(0)
	s_bitcmp1_b32 s19, 0
	s_cselect_b64 s[2:3], -1, 0
	s_xor_b64 s[0:1], s[2:3], -1
	s_and_b64 vcc, exec, s[2:3]
	s_cbranch_vccnz .LBB282_2
; %bb.1:
	s_load_dword s14, s[14:15], 0x0
.LBB282_2:
	s_andn2_b64 vcc, exec, s[0:1]
	s_cbranch_vccnz .LBB282_4
; %bb.3:
	s_load_dword s12, s[12:13], 0x0
.LBB282_4:
	s_waitcnt lgkmcnt(0)
	v_cmp_neq_f32_e64 s[0:1], s14, 0
	v_cmp_neq_f32_e64 s[2:3], s12, 1.0
	s_or_b64 s[0:1], s[0:1], s[2:3]
	s_andn2_b64 vcc, exec, s[0:1]
	s_mov_b32 s7, 0
	s_cbranch_vccnz .LBB282_40
; %bb.5:
	s_load_dwordx4 s[0:3], s[4:5], 0x20
	s_load_dwordx2 s[8:9], s[4:5], 0x30
	s_waitcnt lgkmcnt(0)
	s_cmp_eq_u64 s[0:1], 0
	s_cbranch_scc1 .LBB282_7
; %bb.6:
	s_lshl_b64 s[6:7], s[6:7], 3
	s_add_u32 s0, s0, s6
	s_addc_u32 s1, s1, s7
	s_load_dwordx2 s[0:1], s[0:1], 0x0
	s_waitcnt lgkmcnt(0)
	s_sub_u32 s6, s0, s18
	s_subb_u32 s7, s1, 0
.LBB282_7:
	s_load_dword s10, s[4:5], 0x8
	s_load_dwordx2 s[16:17], s[4:5], 0x58
	v_mul_u32_u24_e32 v1, 0x97c, v0
	v_mov_b32_e32 v2, 27
	v_mul_lo_u16_sdwa v2, v1, v2 dst_sel:DWORD dst_unused:UNUSED_PAD src0_sel:WORD_1 src1_sel:DWORD
	s_waitcnt lgkmcnt(0)
	s_cmp_eq_u32 s10, 1
	s_cselect_b64 s[0:1], -1, 0
	s_cmp_lg_u32 s10, 1
	s_cselect_b64 s[20:21], -1, 0
	s_lshl_b64 s[10:11], s[6:7], 3
	s_add_u32 s24, s2, s10
	s_addc_u32 s25, s3, s11
	s_add_u32 s2, s24, 8
	s_addc_u32 s3, s25, 0
	;; [unrolled: 2-line block ×3, first 2 shown]
	s_cmp_eq_u64 s[8:9], 0
	s_cselect_b32 s9, s3, s11
	s_cselect_b32 s8, s2, s10
	s_load_dwordx2 s[2:3], s[8:9], 0x0
	s_load_dwordx2 s[22:23], s[24:25], 0x0
	v_sub_u16_e32 v10, v0, v2
	v_mov_b32_e32 v9, 0
	s_waitcnt lgkmcnt(0)
	v_mov_b32_e32 v2, s2
	v_mov_b32_e32 v3, s3
	v_cmp_ge_i64_e32 vcc, s[22:23], v[2:3]
	s_cbranch_vccnz .LBB282_12
; %bb.8:
	s_load_dwordx4 s[8:11], s[4:5], 0x38
	s_load_dwordx2 s[24:25], s[4:5], 0x48
	s_mov_b32 s4, 0xffff
	s_sub_u32 s2, s2, s18
	s_movk_i32 s5, 0x2d9
	v_and_b32_sdwa v1, s4, v1 dst_sel:DWORD dst_unused:UNUSED_PAD src0_sel:DWORD src1_sel:WORD_1
	s_subb_u32 s3, s3, 0
	v_subrev_u32_e32 v2, 27, v1
	v_cmp_gt_u32_e32 vcc, s5, v0
	s_sub_u32 s4, s22, s18
	v_cndmask_b32_e32 v1, v2, v1, vcc
	s_subb_u32 s5, s23, 0
	v_cndmask_b32_e64 v1, v10, v1, s[0:1]
	s_mul_i32 s0, s5, 0x2d9
	s_mul_hi_u32 s1, s4, 0x2d9
	s_add_i32 s1, s1, s0
	s_mul_i32 s0, s4, 0x2d9
	s_waitcnt lgkmcnt(0)
	v_mov_b32_e32 v2, s25
	v_add_co_u32_e32 v1, vcc, s24, v1
	s_add_u32 s0, s10, s0
	v_addc_co_u32_e32 v2, vcc, 0, v2, vcc
	s_addc_u32 s1, s11, s1
	v_mov_b32_e32 v4, s1
	v_add_co_u32_e32 v3, vcc, s0, v0
	v_addc_co_u32_e32 v4, vcc, 0, v4, vcc
	s_movk_i32 s0, 0x2d8
	v_cmp_lt_u32_e32 vcc, s0, v0
	v_cndmask_b32_e64 v11, 0, 1, vcc
	v_mov_b32_e32 v5, s23
	v_add_co_u32_e32 v6, vcc, s22, v11
	v_addc_co_u32_e32 v7, vcc, 0, v5, vcc
	v_subrev_co_u32_e32 v5, vcc, s18, v6
	v_subbrev_co_u32_e32 v6, vcc, 0, v7, vcc
	v_lshlrev_b64 v[5:6], 3, v[5:6]
	v_mov_b32_e32 v7, s9
	v_add_co_u32_e32 v5, vcc, s8, v5
	v_addc_co_u32_e32 v6, vcc, v7, v6, vcc
	v_mov_b32_e32 v8, s3
	v_mov_b32_e32 v9, 0
	;; [unrolled: 1-line block ×3, first 2 shown]
	s_branch .LBB282_10
.LBB282_9:                              ;   in Loop: Header=BB282_10 Depth=1
	s_or_b64 exec, exec, s[0:1]
	s_add_u32 s4, s4, 1
	s_addc_u32 s5, s5, 0
	v_cmp_lt_i64_e32 vcc, s[4:5], v[7:8]
	v_add_co_u32_e64 v5, s[0:1], 8, v5
	v_addc_co_u32_e64 v6, s[0:1], 0, v6, s[0:1]
	s_cbranch_vccz .LBB282_12
.LBB282_10:                             ; =>This Inner Loop Header: Depth=1
	v_mov_b32_e32 v13, s5
	v_add_co_u32_e32 v12, vcc, s4, v11
	v_addc_co_u32_e32 v13, vcc, 0, v13, vcc
	v_cmp_gt_i64_e32 vcc, s[2:3], v[12:13]
	s_and_saveexec_b64 s[0:1], vcc
	s_cbranch_execz .LBB282_9
; %bb.11:                               ;   in Loop: Header=BB282_10 Depth=1
	global_load_dwordx2 v[12:13], v[5:6], off
	s_waitcnt vmcnt(0)
	v_subrev_co_u32_e32 v12, vcc, s18, v12
	v_subbrev_co_u32_e32 v14, vcc, 0, v13, vcc
	v_mad_u64_u32 v[12:13], s[8:9], v12, 27, v[1:2]
	v_mad_u64_u32 v[13:14], s[8:9], v14, 27, v[13:14]
	global_load_sbyte v14, v[3:4], off
	s_nop 0
	global_load_sbyte v12, v[12:13], off
	v_add_co_u32_e32 v3, vcc, 0x2d9, v3
	v_addc_co_u32_e32 v4, vcc, 0, v4, vcc
	s_waitcnt vmcnt(1)
	v_cvt_f32_i32_e32 v13, v14
	s_waitcnt vmcnt(0)
	v_cvt_f32_i32_e32 v12, v12
	v_fmac_f32_e32 v9, v13, v12
	s_branch .LBB282_9
.LBB282_12:
	v_lshlrev_b32_e32 v1, 2, v0
	s_and_b64 vcc, exec, s[20:21]
	ds_write_b32 v1, v9
	s_waitcnt lgkmcnt(0)
	s_barrier
	s_cbranch_vccz .LBB282_24
; %bb.13:
	v_cmp_gt_u16_e32 vcc, 11, v10
	s_and_saveexec_b64 s[0:1], vcc
	s_cbranch_execz .LBB282_15
; %bb.14:
	ds_read2_b32 v[2:3], v1 offset1:16
	s_waitcnt lgkmcnt(0)
	v_add_f32_e32 v2, v3, v2
	ds_write_b32 v1, v2
.LBB282_15:
	s_or_b64 exec, exec, s[0:1]
	v_cmp_gt_u16_e32 vcc, 8, v10
	s_waitcnt lgkmcnt(0)
	s_barrier
	s_and_saveexec_b64 s[0:1], vcc
	s_cbranch_execz .LBB282_17
; %bb.16:
	ds_read2_b32 v[2:3], v1 offset1:8
	s_waitcnt lgkmcnt(0)
	v_add_f32_e32 v2, v3, v2
	ds_write_b32 v1, v2
.LBB282_17:
	s_or_b64 exec, exec, s[0:1]
	v_cmp_gt_u16_e32 vcc, 4, v10
	s_waitcnt lgkmcnt(0)
	s_barrier
	;; [unrolled: 12-line block ×3, first 2 shown]
	s_and_saveexec_b64 s[0:1], vcc
	s_cbranch_execz .LBB282_21
; %bb.20:
	ds_read2_b32 v[2:3], v1 offset1:2
	s_waitcnt lgkmcnt(0)
	v_add_f32_e32 v2, v3, v2
	ds_write_b32 v1, v2
.LBB282_21:
	s_or_b64 exec, exec, s[0:1]
	v_cmp_gt_u32_e32 vcc, 27, v0
	v_mov_b32_e32 v2, v9
	s_waitcnt lgkmcnt(0)
	s_barrier
	s_and_saveexec_b64 s[0:1], vcc
	s_cbranch_execz .LBB282_23
; %bb.22:
	s_movk_i32 s2, 0x68
	v_mad_u32_u24 v2, v0, s2, v1
	ds_read2_b32 v[2:3], v2 offset1:1
	s_waitcnt lgkmcnt(0)
	v_add_f32_e32 v2, v2, v3
.LBB282_23:
	s_or_b64 exec, exec, s[0:1]
	s_branch .LBB282_36
.LBB282_24:
                                        ; implicit-def: $vgpr2
	s_cbranch_execz .LBB282_36
; %bb.25:
	s_movk_i32 s0, 0x129
	v_cmp_gt_u32_e32 vcc, s0, v0
	s_and_saveexec_b64 s[0:1], vcc
	s_cbranch_execz .LBB282_27
; %bb.26:
	ds_read_b32 v2, v1 offset:1728
	ds_read_b32 v3, v1
	s_waitcnt lgkmcnt(0)
	v_add_f32_e32 v2, v2, v3
	ds_write_b32 v1, v2
.LBB282_27:
	s_or_b64 exec, exec, s[0:1]
	s_movk_i32 s0, 0xd8
	v_cmp_gt_u32_e32 vcc, s0, v0
	s_waitcnt lgkmcnt(0)
	s_barrier
	s_and_saveexec_b64 s[0:1], vcc
	s_cbranch_execz .LBB282_29
; %bb.28:
	ds_read2_b32 v[2:3], v1 offset1:216
	s_waitcnt lgkmcnt(0)
	v_add_f32_e32 v2, v3, v2
	ds_write_b32 v1, v2
.LBB282_29:
	s_or_b64 exec, exec, s[0:1]
	s_movk_i32 s0, 0x6c
	v_cmp_gt_u32_e32 vcc, s0, v0
	s_waitcnt lgkmcnt(0)
	s_barrier
	s_and_saveexec_b64 s[0:1], vcc
	s_cbranch_execz .LBB282_31
; %bb.30:
	ds_read2_b32 v[2:3], v1 offset1:108
	s_waitcnt lgkmcnt(0)
	v_add_f32_e32 v2, v3, v2
	ds_write_b32 v1, v2
.LBB282_31:
	s_or_b64 exec, exec, s[0:1]
	v_cmp_gt_u32_e32 vcc, 54, v0
	s_waitcnt lgkmcnt(0)
	s_barrier
	s_and_saveexec_b64 s[0:1], vcc
	s_cbranch_execz .LBB282_33
; %bb.32:
	ds_read2_b32 v[2:3], v1 offset1:54
	s_waitcnt lgkmcnt(0)
	v_add_f32_e32 v2, v3, v2
	ds_write_b32 v1, v2
.LBB282_33:
	s_or_b64 exec, exec, s[0:1]
	v_cmp_gt_u32_e32 vcc, 27, v0
	s_waitcnt lgkmcnt(0)
	s_and_saveexec_b64 s[0:1], vcc
	s_cbranch_execz .LBB282_35
; %bb.34:
	ds_read2_b32 v[2:3], v1 offset1:27
	s_waitcnt lgkmcnt(0)
	v_add_f32_e32 v9, v2, v3
.LBB282_35:
	s_or_b64 exec, exec, s[0:1]
	v_mov_b32_e32 v2, v9
.LBB282_36:
	v_cmp_gt_u32_e32 vcc, 27, v0
	s_and_saveexec_b64 s[0:1], vcc
	s_cbranch_execz .LBB282_40
; %bb.37:
	v_cmp_eq_f32_e64 s[0:1], s12, 0
	s_and_b64 vcc, exec, s[0:1]
	v_mul_f32_e32 v0, s14, v2
	s_mul_i32 s2, s7, 0x6c
	s_mul_hi_u32 s3, s6, 0x6c
	s_mul_i32 s4, s6, 0x6c
	s_cbranch_vccz .LBB282_41
; %bb.38:
	s_add_i32 s1, s3, s2
	s_add_u32 s0, s16, s4
	s_addc_u32 s1, s17, s1
	global_store_dword v1, v0, s[0:1]
	s_cbranch_execnz .LBB282_40
.LBB282_39:
	s_add_i32 s3, s3, s2
	s_add_u32 s0, s16, s4
	s_addc_u32 s1, s17, s3
	global_load_dword v2, v1, s[0:1]
	s_waitcnt vmcnt(0)
	v_fmac_f32_e32 v0, s12, v2
	global_store_dword v1, v0, s[0:1]
.LBB282_40:
	s_endpgm
.LBB282_41:
	s_branch .LBB282_39
	.section	.rodata,"a",@progbits
	.p2align	6, 0x0
	.amdhsa_kernel _ZN9rocsparseL20bsrxmvn_17_32_kernelILj27EfllaafEEvT2_20rocsparse_direction_NS_24const_host_device_scalarIT0_EES1_PKS1_PKT1_SA_S7_PKT3_PKT4_S5_PT5_21rocsparse_index_base_b
		.amdhsa_group_segment_fixed_size 2916
		.amdhsa_private_segment_fixed_size 0
		.amdhsa_kernarg_size 104
		.amdhsa_user_sgpr_count 6
		.amdhsa_user_sgpr_private_segment_buffer 1
		.amdhsa_user_sgpr_dispatch_ptr 0
		.amdhsa_user_sgpr_queue_ptr 0
		.amdhsa_user_sgpr_kernarg_segment_ptr 1
		.amdhsa_user_sgpr_dispatch_id 0
		.amdhsa_user_sgpr_flat_scratch_init 0
		.amdhsa_user_sgpr_private_segment_size 0
		.amdhsa_uses_dynamic_stack 0
		.amdhsa_system_sgpr_private_segment_wavefront_offset 0
		.amdhsa_system_sgpr_workgroup_id_x 1
		.amdhsa_system_sgpr_workgroup_id_y 0
		.amdhsa_system_sgpr_workgroup_id_z 0
		.amdhsa_system_sgpr_workgroup_info 0
		.amdhsa_system_vgpr_workitem_id 0
		.amdhsa_next_free_vgpr 25
		.amdhsa_next_free_sgpr 61
		.amdhsa_reserve_vcc 1
		.amdhsa_reserve_flat_scratch 0
		.amdhsa_float_round_mode_32 0
		.amdhsa_float_round_mode_16_64 0
		.amdhsa_float_denorm_mode_32 3
		.amdhsa_float_denorm_mode_16_64 3
		.amdhsa_dx10_clamp 1
		.amdhsa_ieee_mode 1
		.amdhsa_fp16_overflow 0
		.amdhsa_exception_fp_ieee_invalid_op 0
		.amdhsa_exception_fp_denorm_src 0
		.amdhsa_exception_fp_ieee_div_zero 0
		.amdhsa_exception_fp_ieee_overflow 0
		.amdhsa_exception_fp_ieee_underflow 0
		.amdhsa_exception_fp_ieee_inexact 0
		.amdhsa_exception_int_div_zero 0
	.end_amdhsa_kernel
	.section	.text._ZN9rocsparseL20bsrxmvn_17_32_kernelILj27EfllaafEEvT2_20rocsparse_direction_NS_24const_host_device_scalarIT0_EES1_PKS1_PKT1_SA_S7_PKT3_PKT4_S5_PT5_21rocsparse_index_base_b,"axG",@progbits,_ZN9rocsparseL20bsrxmvn_17_32_kernelILj27EfllaafEEvT2_20rocsparse_direction_NS_24const_host_device_scalarIT0_EES1_PKS1_PKT1_SA_S7_PKT3_PKT4_S5_PT5_21rocsparse_index_base_b,comdat
.Lfunc_end282:
	.size	_ZN9rocsparseL20bsrxmvn_17_32_kernelILj27EfllaafEEvT2_20rocsparse_direction_NS_24const_host_device_scalarIT0_EES1_PKS1_PKT1_SA_S7_PKT3_PKT4_S5_PT5_21rocsparse_index_base_b, .Lfunc_end282-_ZN9rocsparseL20bsrxmvn_17_32_kernelILj27EfllaafEEvT2_20rocsparse_direction_NS_24const_host_device_scalarIT0_EES1_PKS1_PKT1_SA_S7_PKT3_PKT4_S5_PT5_21rocsparse_index_base_b
                                        ; -- End function
	.set _ZN9rocsparseL20bsrxmvn_17_32_kernelILj27EfllaafEEvT2_20rocsparse_direction_NS_24const_host_device_scalarIT0_EES1_PKS1_PKT1_SA_S7_PKT3_PKT4_S5_PT5_21rocsparse_index_base_b.num_vgpr, 15
	.set _ZN9rocsparseL20bsrxmvn_17_32_kernelILj27EfllaafEEvT2_20rocsparse_direction_NS_24const_host_device_scalarIT0_EES1_PKS1_PKT1_SA_S7_PKT3_PKT4_S5_PT5_21rocsparse_index_base_b.num_agpr, 0
	.set _ZN9rocsparseL20bsrxmvn_17_32_kernelILj27EfllaafEEvT2_20rocsparse_direction_NS_24const_host_device_scalarIT0_EES1_PKS1_PKT1_SA_S7_PKT3_PKT4_S5_PT5_21rocsparse_index_base_b.numbered_sgpr, 26
	.set _ZN9rocsparseL20bsrxmvn_17_32_kernelILj27EfllaafEEvT2_20rocsparse_direction_NS_24const_host_device_scalarIT0_EES1_PKS1_PKT1_SA_S7_PKT3_PKT4_S5_PT5_21rocsparse_index_base_b.num_named_barrier, 0
	.set _ZN9rocsparseL20bsrxmvn_17_32_kernelILj27EfllaafEEvT2_20rocsparse_direction_NS_24const_host_device_scalarIT0_EES1_PKS1_PKT1_SA_S7_PKT3_PKT4_S5_PT5_21rocsparse_index_base_b.private_seg_size, 0
	.set _ZN9rocsparseL20bsrxmvn_17_32_kernelILj27EfllaafEEvT2_20rocsparse_direction_NS_24const_host_device_scalarIT0_EES1_PKS1_PKT1_SA_S7_PKT3_PKT4_S5_PT5_21rocsparse_index_base_b.uses_vcc, 1
	.set _ZN9rocsparseL20bsrxmvn_17_32_kernelILj27EfllaafEEvT2_20rocsparse_direction_NS_24const_host_device_scalarIT0_EES1_PKS1_PKT1_SA_S7_PKT3_PKT4_S5_PT5_21rocsparse_index_base_b.uses_flat_scratch, 0
	.set _ZN9rocsparseL20bsrxmvn_17_32_kernelILj27EfllaafEEvT2_20rocsparse_direction_NS_24const_host_device_scalarIT0_EES1_PKS1_PKT1_SA_S7_PKT3_PKT4_S5_PT5_21rocsparse_index_base_b.has_dyn_sized_stack, 0
	.set _ZN9rocsparseL20bsrxmvn_17_32_kernelILj27EfllaafEEvT2_20rocsparse_direction_NS_24const_host_device_scalarIT0_EES1_PKS1_PKT1_SA_S7_PKT3_PKT4_S5_PT5_21rocsparse_index_base_b.has_recursion, 0
	.set _ZN9rocsparseL20bsrxmvn_17_32_kernelILj27EfllaafEEvT2_20rocsparse_direction_NS_24const_host_device_scalarIT0_EES1_PKS1_PKT1_SA_S7_PKT3_PKT4_S5_PT5_21rocsparse_index_base_b.has_indirect_call, 0
	.section	.AMDGPU.csdata,"",@progbits
; Kernel info:
; codeLenInByte = 1312
; TotalNumSgprs: 30
; NumVgprs: 15
; ScratchSize: 0
; MemoryBound: 0
; FloatMode: 240
; IeeeMode: 1
; LDSByteSize: 2916 bytes/workgroup (compile time only)
; SGPRBlocks: 8
; VGPRBlocks: 6
; NumSGPRsForWavesPerEU: 65
; NumVGPRsForWavesPerEU: 25
; Occupancy: 9
; WaveLimiterHint : 1
; COMPUTE_PGM_RSRC2:SCRATCH_EN: 0
; COMPUTE_PGM_RSRC2:USER_SGPR: 6
; COMPUTE_PGM_RSRC2:TRAP_HANDLER: 0
; COMPUTE_PGM_RSRC2:TGID_X_EN: 1
; COMPUTE_PGM_RSRC2:TGID_Y_EN: 0
; COMPUTE_PGM_RSRC2:TGID_Z_EN: 0
; COMPUTE_PGM_RSRC2:TIDIG_COMP_CNT: 0
	.section	.text._ZN9rocsparseL20bsrxmvn_17_32_kernelILj28EfllaafEEvT2_20rocsparse_direction_NS_24const_host_device_scalarIT0_EES1_PKS1_PKT1_SA_S7_PKT3_PKT4_S5_PT5_21rocsparse_index_base_b,"axG",@progbits,_ZN9rocsparseL20bsrxmvn_17_32_kernelILj28EfllaafEEvT2_20rocsparse_direction_NS_24const_host_device_scalarIT0_EES1_PKS1_PKT1_SA_S7_PKT3_PKT4_S5_PT5_21rocsparse_index_base_b,comdat
	.globl	_ZN9rocsparseL20bsrxmvn_17_32_kernelILj28EfllaafEEvT2_20rocsparse_direction_NS_24const_host_device_scalarIT0_EES1_PKS1_PKT1_SA_S7_PKT3_PKT4_S5_PT5_21rocsparse_index_base_b ; -- Begin function _ZN9rocsparseL20bsrxmvn_17_32_kernelILj28EfllaafEEvT2_20rocsparse_direction_NS_24const_host_device_scalarIT0_EES1_PKS1_PKT1_SA_S7_PKT3_PKT4_S5_PT5_21rocsparse_index_base_b
	.p2align	8
	.type	_ZN9rocsparseL20bsrxmvn_17_32_kernelILj28EfllaafEEvT2_20rocsparse_direction_NS_24const_host_device_scalarIT0_EES1_PKS1_PKT1_SA_S7_PKT3_PKT4_S5_PT5_21rocsparse_index_base_b,@function
_ZN9rocsparseL20bsrxmvn_17_32_kernelILj28EfllaafEEvT2_20rocsparse_direction_NS_24const_host_device_scalarIT0_EES1_PKS1_PKT1_SA_S7_PKT3_PKT4_S5_PT5_21rocsparse_index_base_b: ; @_ZN9rocsparseL20bsrxmvn_17_32_kernelILj28EfllaafEEvT2_20rocsparse_direction_NS_24const_host_device_scalarIT0_EES1_PKS1_PKT1_SA_S7_PKT3_PKT4_S5_PT5_21rocsparse_index_base_b
; %bb.0:
	s_load_dwordx2 s[18:19], s[4:5], 0x60
	s_load_dwordx2 s[14:15], s[4:5], 0x10
	s_load_dwordx2 s[12:13], s[4:5], 0x50
	s_waitcnt lgkmcnt(0)
	s_bitcmp1_b32 s19, 0
	s_cselect_b64 s[2:3], -1, 0
	s_xor_b64 s[0:1], s[2:3], -1
	s_and_b64 vcc, exec, s[2:3]
	s_cbranch_vccnz .LBB283_2
; %bb.1:
	s_load_dword s14, s[14:15], 0x0
.LBB283_2:
	s_andn2_b64 vcc, exec, s[0:1]
	s_cbranch_vccnz .LBB283_4
; %bb.3:
	s_load_dword s12, s[12:13], 0x0
.LBB283_4:
	s_waitcnt lgkmcnt(0)
	v_cmp_neq_f32_e64 s[0:1], s14, 0
	v_cmp_neq_f32_e64 s[2:3], s12, 1.0
	s_or_b64 s[0:1], s[0:1], s[2:3]
	s_andn2_b64 vcc, exec, s[0:1]
	s_mov_b32 s7, 0
	s_cbranch_vccnz .LBB283_40
; %bb.5:
	s_load_dwordx4 s[0:3], s[4:5], 0x20
	s_load_dwordx2 s[8:9], s[4:5], 0x30
	s_waitcnt lgkmcnt(0)
	s_cmp_eq_u64 s[0:1], 0
	s_cbranch_scc1 .LBB283_7
; %bb.6:
	s_lshl_b64 s[6:7], s[6:7], 3
	s_add_u32 s0, s0, s6
	s_addc_u32 s1, s1, s7
	s_load_dwordx2 s[0:1], s[0:1], 0x0
	s_waitcnt lgkmcnt(0)
	s_sub_u32 s6, s0, s18
	s_subb_u32 s7, s1, 0
.LBB283_7:
	s_load_dword s10, s[4:5], 0x8
	s_load_dwordx2 s[16:17], s[4:5], 0x58
	v_mul_u32_u24_e32 v1, 0x925, v0
	v_mov_b32_e32 v2, 28
	v_mul_lo_u16_sdwa v2, v1, v2 dst_sel:DWORD dst_unused:UNUSED_PAD src0_sel:WORD_1 src1_sel:DWORD
	s_waitcnt lgkmcnt(0)
	s_cmp_eq_u32 s10, 1
	s_cselect_b64 s[0:1], -1, 0
	s_cmp_lg_u32 s10, 1
	s_cselect_b64 s[20:21], -1, 0
	s_lshl_b64 s[10:11], s[6:7], 3
	s_add_u32 s24, s2, s10
	s_addc_u32 s25, s3, s11
	s_add_u32 s2, s24, 8
	s_addc_u32 s3, s25, 0
	;; [unrolled: 2-line block ×3, first 2 shown]
	s_cmp_eq_u64 s[8:9], 0
	s_cselect_b32 s9, s3, s11
	s_cselect_b32 s8, s2, s10
	s_load_dwordx2 s[2:3], s[8:9], 0x0
	s_load_dwordx2 s[22:23], s[24:25], 0x0
	v_sub_u16_e32 v10, v0, v2
	v_mov_b32_e32 v9, 0
	s_waitcnt lgkmcnt(0)
	v_mov_b32_e32 v2, s2
	v_mov_b32_e32 v3, s3
	v_cmp_ge_i64_e32 vcc, s[22:23], v[2:3]
	s_cbranch_vccnz .LBB283_12
; %bb.8:
	s_load_dwordx4 s[8:11], s[4:5], 0x38
	s_load_dwordx2 s[24:25], s[4:5], 0x48
	s_mov_b32 s4, 0xffff
	s_sub_u32 s2, s2, s18
	s_movk_i32 s5, 0x310
	v_and_b32_sdwa v1, s4, v1 dst_sel:DWORD dst_unused:UNUSED_PAD src0_sel:DWORD src1_sel:WORD_1
	s_subb_u32 s3, s3, 0
	v_subrev_u32_e32 v2, 28, v1
	v_cmp_gt_u32_e32 vcc, s5, v0
	s_sub_u32 s4, s22, s18
	v_cndmask_b32_e32 v1, v2, v1, vcc
	s_subb_u32 s5, s23, 0
	v_cndmask_b32_e64 v1, v10, v1, s[0:1]
	s_mul_i32 s0, s5, 0x310
	s_mul_hi_u32 s1, s4, 0x310
	s_add_i32 s1, s1, s0
	s_mul_i32 s0, s4, 0x310
	s_waitcnt lgkmcnt(0)
	v_mov_b32_e32 v2, s25
	v_add_co_u32_e32 v1, vcc, s24, v1
	s_add_u32 s0, s10, s0
	v_addc_co_u32_e32 v2, vcc, 0, v2, vcc
	s_addc_u32 s1, s11, s1
	v_mov_b32_e32 v4, s1
	v_add_co_u32_e32 v3, vcc, s0, v0
	v_addc_co_u32_e32 v4, vcc, 0, v4, vcc
	s_movk_i32 s0, 0x30f
	v_cmp_lt_u32_e32 vcc, s0, v0
	v_cndmask_b32_e64 v11, 0, 1, vcc
	v_mov_b32_e32 v5, s23
	v_add_co_u32_e32 v6, vcc, s22, v11
	v_addc_co_u32_e32 v7, vcc, 0, v5, vcc
	v_subrev_co_u32_e32 v5, vcc, s18, v6
	v_subbrev_co_u32_e32 v6, vcc, 0, v7, vcc
	v_lshlrev_b64 v[5:6], 3, v[5:6]
	v_mov_b32_e32 v7, s9
	v_add_co_u32_e32 v5, vcc, s8, v5
	v_addc_co_u32_e32 v6, vcc, v7, v6, vcc
	v_mov_b32_e32 v8, s3
	v_mov_b32_e32 v9, 0
	;; [unrolled: 1-line block ×3, first 2 shown]
	s_branch .LBB283_10
.LBB283_9:                              ;   in Loop: Header=BB283_10 Depth=1
	s_or_b64 exec, exec, s[0:1]
	s_add_u32 s4, s4, 1
	s_addc_u32 s5, s5, 0
	v_cmp_lt_i64_e32 vcc, s[4:5], v[7:8]
	v_add_co_u32_e64 v5, s[0:1], 8, v5
	v_addc_co_u32_e64 v6, s[0:1], 0, v6, s[0:1]
	s_cbranch_vccz .LBB283_12
.LBB283_10:                             ; =>This Inner Loop Header: Depth=1
	v_mov_b32_e32 v13, s5
	v_add_co_u32_e32 v12, vcc, s4, v11
	v_addc_co_u32_e32 v13, vcc, 0, v13, vcc
	v_cmp_gt_i64_e32 vcc, s[2:3], v[12:13]
	s_and_saveexec_b64 s[0:1], vcc
	s_cbranch_execz .LBB283_9
; %bb.11:                               ;   in Loop: Header=BB283_10 Depth=1
	global_load_dwordx2 v[12:13], v[5:6], off
	s_waitcnt vmcnt(0)
	v_subrev_co_u32_e32 v12, vcc, s18, v12
	v_subbrev_co_u32_e32 v14, vcc, 0, v13, vcc
	v_mad_u64_u32 v[12:13], s[8:9], v12, 28, v[1:2]
	v_mad_u64_u32 v[13:14], s[8:9], v14, 28, v[13:14]
	global_load_sbyte v14, v[3:4], off
	s_nop 0
	global_load_sbyte v12, v[12:13], off
	v_add_co_u32_e32 v3, vcc, 0x310, v3
	v_addc_co_u32_e32 v4, vcc, 0, v4, vcc
	s_waitcnt vmcnt(1)
	v_cvt_f32_i32_e32 v13, v14
	s_waitcnt vmcnt(0)
	v_cvt_f32_i32_e32 v12, v12
	v_fmac_f32_e32 v9, v13, v12
	s_branch .LBB283_9
.LBB283_12:
	v_lshlrev_b32_e32 v1, 2, v0
	s_and_b64 vcc, exec, s[20:21]
	ds_write_b32 v1, v9
	s_waitcnt lgkmcnt(0)
	s_barrier
	s_cbranch_vccz .LBB283_24
; %bb.13:
	v_cmp_gt_u16_e32 vcc, 12, v10
	s_and_saveexec_b64 s[0:1], vcc
	s_cbranch_execz .LBB283_15
; %bb.14:
	ds_read2_b32 v[2:3], v1 offset1:16
	s_waitcnt lgkmcnt(0)
	v_add_f32_e32 v2, v3, v2
	ds_write_b32 v1, v2
.LBB283_15:
	s_or_b64 exec, exec, s[0:1]
	v_cmp_gt_u16_e32 vcc, 8, v10
	s_waitcnt lgkmcnt(0)
	s_barrier
	s_and_saveexec_b64 s[0:1], vcc
	s_cbranch_execz .LBB283_17
; %bb.16:
	ds_read2_b32 v[2:3], v1 offset1:8
	s_waitcnt lgkmcnt(0)
	v_add_f32_e32 v2, v3, v2
	ds_write_b32 v1, v2
.LBB283_17:
	s_or_b64 exec, exec, s[0:1]
	v_cmp_gt_u16_e32 vcc, 4, v10
	s_waitcnt lgkmcnt(0)
	s_barrier
	;; [unrolled: 12-line block ×3, first 2 shown]
	s_and_saveexec_b64 s[0:1], vcc
	s_cbranch_execz .LBB283_21
; %bb.20:
	ds_read2_b32 v[2:3], v1 offset1:2
	s_waitcnt lgkmcnt(0)
	v_add_f32_e32 v2, v3, v2
	ds_write_b32 v1, v2
.LBB283_21:
	s_or_b64 exec, exec, s[0:1]
	v_cmp_gt_u32_e32 vcc, 28, v0
	v_mov_b32_e32 v2, v9
	s_waitcnt lgkmcnt(0)
	s_barrier
	s_and_saveexec_b64 s[0:1], vcc
	s_cbranch_execz .LBB283_23
; %bb.22:
	s_movk_i32 s2, 0x6c
	v_mad_u32_u24 v2, v0, s2, v1
	ds_read_b64 v[2:3], v2
	s_waitcnt lgkmcnt(0)
	v_add_f32_e32 v2, v2, v3
.LBB283_23:
	s_or_b64 exec, exec, s[0:1]
	s_branch .LBB283_36
.LBB283_24:
                                        ; implicit-def: $vgpr2
	s_cbranch_execz .LBB283_36
; %bb.25:
	s_movk_i32 s0, 0x150
	v_cmp_gt_u32_e32 vcc, s0, v0
	s_and_saveexec_b64 s[0:1], vcc
	s_cbranch_execz .LBB283_27
; %bb.26:
	ds_read2st64_b32 v[2:3], v1 offset1:7
	s_waitcnt lgkmcnt(0)
	v_add_f32_e32 v2, v3, v2
	ds_write_b32 v1, v2
.LBB283_27:
	s_or_b64 exec, exec, s[0:1]
	s_movk_i32 s0, 0xe0
	v_cmp_gt_u32_e32 vcc, s0, v0
	s_waitcnt lgkmcnt(0)
	s_barrier
	s_and_saveexec_b64 s[0:1], vcc
	s_cbranch_execz .LBB283_29
; %bb.28:
	ds_read2_b32 v[2:3], v1 offset1:224
	s_waitcnt lgkmcnt(0)
	v_add_f32_e32 v2, v3, v2
	ds_write_b32 v1, v2
.LBB283_29:
	s_or_b64 exec, exec, s[0:1]
	s_movk_i32 s0, 0x70
	v_cmp_gt_u32_e32 vcc, s0, v0
	s_waitcnt lgkmcnt(0)
	s_barrier
	s_and_saveexec_b64 s[0:1], vcc
	s_cbranch_execz .LBB283_31
; %bb.30:
	ds_read2_b32 v[2:3], v1 offset1:112
	s_waitcnt lgkmcnt(0)
	v_add_f32_e32 v2, v3, v2
	ds_write_b32 v1, v2
.LBB283_31:
	s_or_b64 exec, exec, s[0:1]
	v_cmp_gt_u32_e32 vcc, 56, v0
	s_waitcnt lgkmcnt(0)
	s_barrier
	s_and_saveexec_b64 s[0:1], vcc
	s_cbranch_execz .LBB283_33
; %bb.32:
	ds_read2_b32 v[2:3], v1 offset1:56
	s_waitcnt lgkmcnt(0)
	v_add_f32_e32 v2, v3, v2
	ds_write_b32 v1, v2
.LBB283_33:
	s_or_b64 exec, exec, s[0:1]
	v_cmp_gt_u32_e32 vcc, 28, v0
	s_waitcnt lgkmcnt(0)
	s_and_saveexec_b64 s[0:1], vcc
	s_cbranch_execz .LBB283_35
; %bb.34:
	ds_read2_b32 v[2:3], v1 offset1:28
	s_waitcnt lgkmcnt(0)
	v_add_f32_e32 v9, v2, v3
.LBB283_35:
	s_or_b64 exec, exec, s[0:1]
	v_mov_b32_e32 v2, v9
.LBB283_36:
	v_cmp_gt_u32_e32 vcc, 28, v0
	s_and_saveexec_b64 s[0:1], vcc
	s_cbranch_execz .LBB283_40
; %bb.37:
	v_cmp_eq_f32_e64 s[0:1], s12, 0
	s_and_b64 vcc, exec, s[0:1]
	v_mul_f32_e32 v0, s14, v2
	s_mul_i32 s2, s7, 0x70
	s_mul_hi_u32 s3, s6, 0x70
	s_mul_i32 s4, s6, 0x70
	s_cbranch_vccz .LBB283_41
; %bb.38:
	s_add_i32 s1, s3, s2
	s_add_u32 s0, s16, s4
	s_addc_u32 s1, s17, s1
	global_store_dword v1, v0, s[0:1]
	s_cbranch_execnz .LBB283_40
.LBB283_39:
	s_add_i32 s3, s3, s2
	s_add_u32 s0, s16, s4
	s_addc_u32 s1, s17, s3
	global_load_dword v2, v1, s[0:1]
	s_waitcnt vmcnt(0)
	v_fmac_f32_e32 v0, s12, v2
	global_store_dword v1, v0, s[0:1]
.LBB283_40:
	s_endpgm
.LBB283_41:
	s_branch .LBB283_39
	.section	.rodata,"a",@progbits
	.p2align	6, 0x0
	.amdhsa_kernel _ZN9rocsparseL20bsrxmvn_17_32_kernelILj28EfllaafEEvT2_20rocsparse_direction_NS_24const_host_device_scalarIT0_EES1_PKS1_PKT1_SA_S7_PKT3_PKT4_S5_PT5_21rocsparse_index_base_b
		.amdhsa_group_segment_fixed_size 3136
		.amdhsa_private_segment_fixed_size 0
		.amdhsa_kernarg_size 104
		.amdhsa_user_sgpr_count 6
		.amdhsa_user_sgpr_private_segment_buffer 1
		.amdhsa_user_sgpr_dispatch_ptr 0
		.amdhsa_user_sgpr_queue_ptr 0
		.amdhsa_user_sgpr_kernarg_segment_ptr 1
		.amdhsa_user_sgpr_dispatch_id 0
		.amdhsa_user_sgpr_flat_scratch_init 0
		.amdhsa_user_sgpr_private_segment_size 0
		.amdhsa_uses_dynamic_stack 0
		.amdhsa_system_sgpr_private_segment_wavefront_offset 0
		.amdhsa_system_sgpr_workgroup_id_x 1
		.amdhsa_system_sgpr_workgroup_id_y 0
		.amdhsa_system_sgpr_workgroup_id_z 0
		.amdhsa_system_sgpr_workgroup_info 0
		.amdhsa_system_vgpr_workitem_id 0
		.amdhsa_next_free_vgpr 15
		.amdhsa_next_free_sgpr 26
		.amdhsa_reserve_vcc 1
		.amdhsa_reserve_flat_scratch 0
		.amdhsa_float_round_mode_32 0
		.amdhsa_float_round_mode_16_64 0
		.amdhsa_float_denorm_mode_32 3
		.amdhsa_float_denorm_mode_16_64 3
		.amdhsa_dx10_clamp 1
		.amdhsa_ieee_mode 1
		.amdhsa_fp16_overflow 0
		.amdhsa_exception_fp_ieee_invalid_op 0
		.amdhsa_exception_fp_denorm_src 0
		.amdhsa_exception_fp_ieee_div_zero 0
		.amdhsa_exception_fp_ieee_overflow 0
		.amdhsa_exception_fp_ieee_underflow 0
		.amdhsa_exception_fp_ieee_inexact 0
		.amdhsa_exception_int_div_zero 0
	.end_amdhsa_kernel
	.section	.text._ZN9rocsparseL20bsrxmvn_17_32_kernelILj28EfllaafEEvT2_20rocsparse_direction_NS_24const_host_device_scalarIT0_EES1_PKS1_PKT1_SA_S7_PKT3_PKT4_S5_PT5_21rocsparse_index_base_b,"axG",@progbits,_ZN9rocsparseL20bsrxmvn_17_32_kernelILj28EfllaafEEvT2_20rocsparse_direction_NS_24const_host_device_scalarIT0_EES1_PKS1_PKT1_SA_S7_PKT3_PKT4_S5_PT5_21rocsparse_index_base_b,comdat
.Lfunc_end283:
	.size	_ZN9rocsparseL20bsrxmvn_17_32_kernelILj28EfllaafEEvT2_20rocsparse_direction_NS_24const_host_device_scalarIT0_EES1_PKS1_PKT1_SA_S7_PKT3_PKT4_S5_PT5_21rocsparse_index_base_b, .Lfunc_end283-_ZN9rocsparseL20bsrxmvn_17_32_kernelILj28EfllaafEEvT2_20rocsparse_direction_NS_24const_host_device_scalarIT0_EES1_PKS1_PKT1_SA_S7_PKT3_PKT4_S5_PT5_21rocsparse_index_base_b
                                        ; -- End function
	.set _ZN9rocsparseL20bsrxmvn_17_32_kernelILj28EfllaafEEvT2_20rocsparse_direction_NS_24const_host_device_scalarIT0_EES1_PKS1_PKT1_SA_S7_PKT3_PKT4_S5_PT5_21rocsparse_index_base_b.num_vgpr, 15
	.set _ZN9rocsparseL20bsrxmvn_17_32_kernelILj28EfllaafEEvT2_20rocsparse_direction_NS_24const_host_device_scalarIT0_EES1_PKS1_PKT1_SA_S7_PKT3_PKT4_S5_PT5_21rocsparse_index_base_b.num_agpr, 0
	.set _ZN9rocsparseL20bsrxmvn_17_32_kernelILj28EfllaafEEvT2_20rocsparse_direction_NS_24const_host_device_scalarIT0_EES1_PKS1_PKT1_SA_S7_PKT3_PKT4_S5_PT5_21rocsparse_index_base_b.numbered_sgpr, 26
	.set _ZN9rocsparseL20bsrxmvn_17_32_kernelILj28EfllaafEEvT2_20rocsparse_direction_NS_24const_host_device_scalarIT0_EES1_PKS1_PKT1_SA_S7_PKT3_PKT4_S5_PT5_21rocsparse_index_base_b.num_named_barrier, 0
	.set _ZN9rocsparseL20bsrxmvn_17_32_kernelILj28EfllaafEEvT2_20rocsparse_direction_NS_24const_host_device_scalarIT0_EES1_PKS1_PKT1_SA_S7_PKT3_PKT4_S5_PT5_21rocsparse_index_base_b.private_seg_size, 0
	.set _ZN9rocsparseL20bsrxmvn_17_32_kernelILj28EfllaafEEvT2_20rocsparse_direction_NS_24const_host_device_scalarIT0_EES1_PKS1_PKT1_SA_S7_PKT3_PKT4_S5_PT5_21rocsparse_index_base_b.uses_vcc, 1
	.set _ZN9rocsparseL20bsrxmvn_17_32_kernelILj28EfllaafEEvT2_20rocsparse_direction_NS_24const_host_device_scalarIT0_EES1_PKS1_PKT1_SA_S7_PKT3_PKT4_S5_PT5_21rocsparse_index_base_b.uses_flat_scratch, 0
	.set _ZN9rocsparseL20bsrxmvn_17_32_kernelILj28EfllaafEEvT2_20rocsparse_direction_NS_24const_host_device_scalarIT0_EES1_PKS1_PKT1_SA_S7_PKT3_PKT4_S5_PT5_21rocsparse_index_base_b.has_dyn_sized_stack, 0
	.set _ZN9rocsparseL20bsrxmvn_17_32_kernelILj28EfllaafEEvT2_20rocsparse_direction_NS_24const_host_device_scalarIT0_EES1_PKS1_PKT1_SA_S7_PKT3_PKT4_S5_PT5_21rocsparse_index_base_b.has_recursion, 0
	.set _ZN9rocsparseL20bsrxmvn_17_32_kernelILj28EfllaafEEvT2_20rocsparse_direction_NS_24const_host_device_scalarIT0_EES1_PKS1_PKT1_SA_S7_PKT3_PKT4_S5_PT5_21rocsparse_index_base_b.has_indirect_call, 0
	.section	.AMDGPU.csdata,"",@progbits
; Kernel info:
; codeLenInByte = 1304
; TotalNumSgprs: 30
; NumVgprs: 15
; ScratchSize: 0
; MemoryBound: 0
; FloatMode: 240
; IeeeMode: 1
; LDSByteSize: 3136 bytes/workgroup (compile time only)
; SGPRBlocks: 3
; VGPRBlocks: 3
; NumSGPRsForWavesPerEU: 30
; NumVGPRsForWavesPerEU: 15
; Occupancy: 10
; WaveLimiterHint : 1
; COMPUTE_PGM_RSRC2:SCRATCH_EN: 0
; COMPUTE_PGM_RSRC2:USER_SGPR: 6
; COMPUTE_PGM_RSRC2:TRAP_HANDLER: 0
; COMPUTE_PGM_RSRC2:TGID_X_EN: 1
; COMPUTE_PGM_RSRC2:TGID_Y_EN: 0
; COMPUTE_PGM_RSRC2:TGID_Z_EN: 0
; COMPUTE_PGM_RSRC2:TIDIG_COMP_CNT: 0
	.section	.text._ZN9rocsparseL20bsrxmvn_17_32_kernelILj29EfllaafEEvT2_20rocsparse_direction_NS_24const_host_device_scalarIT0_EES1_PKS1_PKT1_SA_S7_PKT3_PKT4_S5_PT5_21rocsparse_index_base_b,"axG",@progbits,_ZN9rocsparseL20bsrxmvn_17_32_kernelILj29EfllaafEEvT2_20rocsparse_direction_NS_24const_host_device_scalarIT0_EES1_PKS1_PKT1_SA_S7_PKT3_PKT4_S5_PT5_21rocsparse_index_base_b,comdat
	.globl	_ZN9rocsparseL20bsrxmvn_17_32_kernelILj29EfllaafEEvT2_20rocsparse_direction_NS_24const_host_device_scalarIT0_EES1_PKS1_PKT1_SA_S7_PKT3_PKT4_S5_PT5_21rocsparse_index_base_b ; -- Begin function _ZN9rocsparseL20bsrxmvn_17_32_kernelILj29EfllaafEEvT2_20rocsparse_direction_NS_24const_host_device_scalarIT0_EES1_PKS1_PKT1_SA_S7_PKT3_PKT4_S5_PT5_21rocsparse_index_base_b
	.p2align	8
	.type	_ZN9rocsparseL20bsrxmvn_17_32_kernelILj29EfllaafEEvT2_20rocsparse_direction_NS_24const_host_device_scalarIT0_EES1_PKS1_PKT1_SA_S7_PKT3_PKT4_S5_PT5_21rocsparse_index_base_b,@function
_ZN9rocsparseL20bsrxmvn_17_32_kernelILj29EfllaafEEvT2_20rocsparse_direction_NS_24const_host_device_scalarIT0_EES1_PKS1_PKT1_SA_S7_PKT3_PKT4_S5_PT5_21rocsparse_index_base_b: ; @_ZN9rocsparseL20bsrxmvn_17_32_kernelILj29EfllaafEEvT2_20rocsparse_direction_NS_24const_host_device_scalarIT0_EES1_PKS1_PKT1_SA_S7_PKT3_PKT4_S5_PT5_21rocsparse_index_base_b
; %bb.0:
	s_load_dwordx2 s[18:19], s[4:5], 0x60
	s_load_dwordx2 s[14:15], s[4:5], 0x10
	;; [unrolled: 1-line block ×3, first 2 shown]
	s_waitcnt lgkmcnt(0)
	s_bitcmp1_b32 s19, 0
	s_cselect_b64 s[2:3], -1, 0
	s_xor_b64 s[0:1], s[2:3], -1
	s_and_b64 vcc, exec, s[2:3]
	s_cbranch_vccnz .LBB284_2
; %bb.1:
	s_load_dword s14, s[14:15], 0x0
.LBB284_2:
	s_andn2_b64 vcc, exec, s[0:1]
	s_cbranch_vccnz .LBB284_4
; %bb.3:
	s_load_dword s12, s[12:13], 0x0
.LBB284_4:
	s_waitcnt lgkmcnt(0)
	v_cmp_neq_f32_e64 s[0:1], s14, 0
	v_cmp_neq_f32_e64 s[2:3], s12, 1.0
	s_or_b64 s[0:1], s[0:1], s[2:3]
	s_andn2_b64 vcc, exec, s[0:1]
	s_mov_b32 s7, 0
	s_cbranch_vccnz .LBB284_40
; %bb.5:
	s_load_dwordx4 s[0:3], s[4:5], 0x20
	s_load_dwordx2 s[8:9], s[4:5], 0x30
	s_waitcnt lgkmcnt(0)
	s_cmp_eq_u64 s[0:1], 0
	s_cbranch_scc1 .LBB284_7
; %bb.6:
	s_lshl_b64 s[6:7], s[6:7], 3
	s_add_u32 s0, s0, s6
	s_addc_u32 s1, s1, s7
	s_load_dwordx2 s[0:1], s[0:1], 0x0
	s_waitcnt lgkmcnt(0)
	s_sub_u32 s6, s0, s18
	s_subb_u32 s7, s1, 0
.LBB284_7:
	s_load_dword s10, s[4:5], 0x8
	s_load_dwordx2 s[16:17], s[4:5], 0x58
	v_mul_u32_u24_e32 v1, 0x8d4, v0
	v_mov_b32_e32 v2, 29
	v_mul_lo_u16_sdwa v2, v1, v2 dst_sel:DWORD dst_unused:UNUSED_PAD src0_sel:WORD_1 src1_sel:DWORD
	s_waitcnt lgkmcnt(0)
	s_cmp_eq_u32 s10, 1
	s_cselect_b64 s[0:1], -1, 0
	s_cmp_lg_u32 s10, 1
	s_cselect_b64 s[20:21], -1, 0
	s_lshl_b64 s[10:11], s[6:7], 3
	s_add_u32 s24, s2, s10
	s_addc_u32 s25, s3, s11
	s_add_u32 s2, s24, 8
	s_addc_u32 s3, s25, 0
	;; [unrolled: 2-line block ×3, first 2 shown]
	s_cmp_eq_u64 s[8:9], 0
	s_cselect_b32 s9, s3, s11
	s_cselect_b32 s8, s2, s10
	s_load_dwordx2 s[2:3], s[8:9], 0x0
	s_load_dwordx2 s[22:23], s[24:25], 0x0
	v_sub_u16_e32 v10, v0, v2
	v_mov_b32_e32 v9, 0
	s_waitcnt lgkmcnt(0)
	v_mov_b32_e32 v2, s2
	v_mov_b32_e32 v3, s3
	v_cmp_ge_i64_e32 vcc, s[22:23], v[2:3]
	s_cbranch_vccnz .LBB284_12
; %bb.8:
	s_load_dwordx4 s[8:11], s[4:5], 0x38
	s_load_dwordx2 s[24:25], s[4:5], 0x48
	s_mov_b32 s4, 0xffff
	s_sub_u32 s2, s2, s18
	s_movk_i32 s5, 0x349
	v_and_b32_sdwa v1, s4, v1 dst_sel:DWORD dst_unused:UNUSED_PAD src0_sel:DWORD src1_sel:WORD_1
	s_subb_u32 s3, s3, 0
	v_subrev_u32_e32 v2, 29, v1
	v_cmp_gt_u32_e32 vcc, s5, v0
	s_sub_u32 s4, s22, s18
	v_cndmask_b32_e32 v1, v2, v1, vcc
	s_subb_u32 s5, s23, 0
	v_cndmask_b32_e64 v1, v10, v1, s[0:1]
	s_mul_i32 s0, s5, 0x349
	s_mul_hi_u32 s1, s4, 0x349
	s_add_i32 s1, s1, s0
	s_mul_i32 s0, s4, 0x349
	s_waitcnt lgkmcnt(0)
	v_mov_b32_e32 v2, s25
	v_add_co_u32_e32 v1, vcc, s24, v1
	s_add_u32 s0, s10, s0
	v_addc_co_u32_e32 v2, vcc, 0, v2, vcc
	s_addc_u32 s1, s11, s1
	v_mov_b32_e32 v4, s1
	v_add_co_u32_e32 v3, vcc, s0, v0
	v_addc_co_u32_e32 v4, vcc, 0, v4, vcc
	s_movk_i32 s0, 0x348
	v_cmp_lt_u32_e32 vcc, s0, v0
	v_cndmask_b32_e64 v11, 0, 1, vcc
	v_mov_b32_e32 v5, s23
	v_add_co_u32_e32 v6, vcc, s22, v11
	v_addc_co_u32_e32 v7, vcc, 0, v5, vcc
	v_subrev_co_u32_e32 v5, vcc, s18, v6
	v_subbrev_co_u32_e32 v6, vcc, 0, v7, vcc
	v_lshlrev_b64 v[5:6], 3, v[5:6]
	v_mov_b32_e32 v7, s9
	v_add_co_u32_e32 v5, vcc, s8, v5
	v_addc_co_u32_e32 v6, vcc, v7, v6, vcc
	v_mov_b32_e32 v8, s3
	v_mov_b32_e32 v9, 0
	;; [unrolled: 1-line block ×3, first 2 shown]
	s_branch .LBB284_10
.LBB284_9:                              ;   in Loop: Header=BB284_10 Depth=1
	s_or_b64 exec, exec, s[0:1]
	s_add_u32 s4, s4, 1
	s_addc_u32 s5, s5, 0
	v_cmp_lt_i64_e32 vcc, s[4:5], v[7:8]
	v_add_co_u32_e64 v5, s[0:1], 8, v5
	v_addc_co_u32_e64 v6, s[0:1], 0, v6, s[0:1]
	s_cbranch_vccz .LBB284_12
.LBB284_10:                             ; =>This Inner Loop Header: Depth=1
	v_mov_b32_e32 v13, s5
	v_add_co_u32_e32 v12, vcc, s4, v11
	v_addc_co_u32_e32 v13, vcc, 0, v13, vcc
	v_cmp_gt_i64_e32 vcc, s[2:3], v[12:13]
	s_and_saveexec_b64 s[0:1], vcc
	s_cbranch_execz .LBB284_9
; %bb.11:                               ;   in Loop: Header=BB284_10 Depth=1
	global_load_dwordx2 v[12:13], v[5:6], off
	s_waitcnt vmcnt(0)
	v_subrev_co_u32_e32 v12, vcc, s18, v12
	v_subbrev_co_u32_e32 v14, vcc, 0, v13, vcc
	v_mad_u64_u32 v[12:13], s[8:9], v12, 29, v[1:2]
	v_mad_u64_u32 v[13:14], s[8:9], v14, 29, v[13:14]
	global_load_sbyte v14, v[3:4], off
	s_nop 0
	global_load_sbyte v12, v[12:13], off
	v_add_co_u32_e32 v3, vcc, 0x349, v3
	v_addc_co_u32_e32 v4, vcc, 0, v4, vcc
	s_waitcnt vmcnt(1)
	v_cvt_f32_i32_e32 v13, v14
	s_waitcnt vmcnt(0)
	v_cvt_f32_i32_e32 v12, v12
	v_fmac_f32_e32 v9, v13, v12
	s_branch .LBB284_9
.LBB284_12:
	v_lshlrev_b32_e32 v1, 2, v0
	s_and_b64 vcc, exec, s[20:21]
	ds_write_b32 v1, v9
	s_waitcnt lgkmcnt(0)
	s_barrier
	s_cbranch_vccz .LBB284_24
; %bb.13:
	v_cmp_gt_u16_e32 vcc, 13, v10
	s_and_saveexec_b64 s[0:1], vcc
	s_cbranch_execz .LBB284_15
; %bb.14:
	ds_read2_b32 v[2:3], v1 offset1:16
	s_waitcnt lgkmcnt(0)
	v_add_f32_e32 v2, v3, v2
	ds_write_b32 v1, v2
.LBB284_15:
	s_or_b64 exec, exec, s[0:1]
	v_cmp_gt_u16_e32 vcc, 8, v10
	s_waitcnt lgkmcnt(0)
	s_barrier
	s_and_saveexec_b64 s[0:1], vcc
	s_cbranch_execz .LBB284_17
; %bb.16:
	ds_read2_b32 v[2:3], v1 offset1:8
	s_waitcnt lgkmcnt(0)
	v_add_f32_e32 v2, v3, v2
	ds_write_b32 v1, v2
.LBB284_17:
	s_or_b64 exec, exec, s[0:1]
	v_cmp_gt_u16_e32 vcc, 4, v10
	s_waitcnt lgkmcnt(0)
	s_barrier
	;; [unrolled: 12-line block ×3, first 2 shown]
	s_and_saveexec_b64 s[0:1], vcc
	s_cbranch_execz .LBB284_21
; %bb.20:
	ds_read2_b32 v[2:3], v1 offset1:2
	s_waitcnt lgkmcnt(0)
	v_add_f32_e32 v2, v3, v2
	ds_write_b32 v1, v2
.LBB284_21:
	s_or_b64 exec, exec, s[0:1]
	v_cmp_gt_u32_e32 vcc, 29, v0
	v_mov_b32_e32 v2, v9
	s_waitcnt lgkmcnt(0)
	s_barrier
	s_and_saveexec_b64 s[0:1], vcc
	s_cbranch_execz .LBB284_23
; %bb.22:
	s_movk_i32 s2, 0x70
	v_mad_u32_u24 v2, v0, s2, v1
	ds_read2_b32 v[2:3], v2 offset1:1
	s_waitcnt lgkmcnt(0)
	v_add_f32_e32 v2, v2, v3
.LBB284_23:
	s_or_b64 exec, exec, s[0:1]
	s_branch .LBB284_36
.LBB284_24:
                                        ; implicit-def: $vgpr2
	s_cbranch_execz .LBB284_36
; %bb.25:
	s_movk_i32 s0, 0x179
	v_cmp_gt_u32_e32 vcc, s0, v0
	s_and_saveexec_b64 s[0:1], vcc
	s_cbranch_execz .LBB284_27
; %bb.26:
	ds_read_b32 v2, v1 offset:1856
	ds_read_b32 v3, v1
	s_waitcnt lgkmcnt(0)
	v_add_f32_e32 v2, v2, v3
	ds_write_b32 v1, v2
.LBB284_27:
	s_or_b64 exec, exec, s[0:1]
	s_movk_i32 s0, 0xe8
	v_cmp_gt_u32_e32 vcc, s0, v0
	s_waitcnt lgkmcnt(0)
	s_barrier
	s_and_saveexec_b64 s[0:1], vcc
	s_cbranch_execz .LBB284_29
; %bb.28:
	ds_read2_b32 v[2:3], v1 offset1:232
	s_waitcnt lgkmcnt(0)
	v_add_f32_e32 v2, v3, v2
	ds_write_b32 v1, v2
.LBB284_29:
	s_or_b64 exec, exec, s[0:1]
	s_movk_i32 s0, 0x74
	v_cmp_gt_u32_e32 vcc, s0, v0
	s_waitcnt lgkmcnt(0)
	s_barrier
	s_and_saveexec_b64 s[0:1], vcc
	s_cbranch_execz .LBB284_31
; %bb.30:
	ds_read2_b32 v[2:3], v1 offset1:116
	s_waitcnt lgkmcnt(0)
	v_add_f32_e32 v2, v3, v2
	ds_write_b32 v1, v2
.LBB284_31:
	s_or_b64 exec, exec, s[0:1]
	v_cmp_gt_u32_e32 vcc, 58, v0
	s_waitcnt lgkmcnt(0)
	s_barrier
	s_and_saveexec_b64 s[0:1], vcc
	s_cbranch_execz .LBB284_33
; %bb.32:
	ds_read2_b32 v[2:3], v1 offset1:58
	s_waitcnt lgkmcnt(0)
	v_add_f32_e32 v2, v3, v2
	ds_write_b32 v1, v2
.LBB284_33:
	s_or_b64 exec, exec, s[0:1]
	v_cmp_gt_u32_e32 vcc, 29, v0
	s_waitcnt lgkmcnt(0)
	s_and_saveexec_b64 s[0:1], vcc
	s_cbranch_execz .LBB284_35
; %bb.34:
	ds_read2_b32 v[2:3], v1 offset1:29
	s_waitcnt lgkmcnt(0)
	v_add_f32_e32 v9, v2, v3
.LBB284_35:
	s_or_b64 exec, exec, s[0:1]
	v_mov_b32_e32 v2, v9
.LBB284_36:
	v_cmp_gt_u32_e32 vcc, 29, v0
	s_and_saveexec_b64 s[0:1], vcc
	s_cbranch_execz .LBB284_40
; %bb.37:
	v_cmp_eq_f32_e64 s[0:1], s12, 0
	s_and_b64 vcc, exec, s[0:1]
	v_mul_f32_e32 v0, s14, v2
	s_mul_i32 s2, s7, 0x74
	s_mul_hi_u32 s3, s6, 0x74
	s_mul_i32 s4, s6, 0x74
	s_cbranch_vccz .LBB284_41
; %bb.38:
	s_add_i32 s1, s3, s2
	s_add_u32 s0, s16, s4
	s_addc_u32 s1, s17, s1
	global_store_dword v1, v0, s[0:1]
	s_cbranch_execnz .LBB284_40
.LBB284_39:
	s_add_i32 s3, s3, s2
	s_add_u32 s0, s16, s4
	s_addc_u32 s1, s17, s3
	global_load_dword v2, v1, s[0:1]
	s_waitcnt vmcnt(0)
	v_fmac_f32_e32 v0, s12, v2
	global_store_dword v1, v0, s[0:1]
.LBB284_40:
	s_endpgm
.LBB284_41:
	s_branch .LBB284_39
	.section	.rodata,"a",@progbits
	.p2align	6, 0x0
	.amdhsa_kernel _ZN9rocsparseL20bsrxmvn_17_32_kernelILj29EfllaafEEvT2_20rocsparse_direction_NS_24const_host_device_scalarIT0_EES1_PKS1_PKT1_SA_S7_PKT3_PKT4_S5_PT5_21rocsparse_index_base_b
		.amdhsa_group_segment_fixed_size 3364
		.amdhsa_private_segment_fixed_size 0
		.amdhsa_kernarg_size 104
		.amdhsa_user_sgpr_count 6
		.amdhsa_user_sgpr_private_segment_buffer 1
		.amdhsa_user_sgpr_dispatch_ptr 0
		.amdhsa_user_sgpr_queue_ptr 0
		.amdhsa_user_sgpr_kernarg_segment_ptr 1
		.amdhsa_user_sgpr_dispatch_id 0
		.amdhsa_user_sgpr_flat_scratch_init 0
		.amdhsa_user_sgpr_private_segment_size 0
		.amdhsa_uses_dynamic_stack 0
		.amdhsa_system_sgpr_private_segment_wavefront_offset 0
		.amdhsa_system_sgpr_workgroup_id_x 1
		.amdhsa_system_sgpr_workgroup_id_y 0
		.amdhsa_system_sgpr_workgroup_id_z 0
		.amdhsa_system_sgpr_workgroup_info 0
		.amdhsa_system_vgpr_workitem_id 0
		.amdhsa_next_free_vgpr 33
		.amdhsa_next_free_sgpr 77
		.amdhsa_reserve_vcc 1
		.amdhsa_reserve_flat_scratch 0
		.amdhsa_float_round_mode_32 0
		.amdhsa_float_round_mode_16_64 0
		.amdhsa_float_denorm_mode_32 3
		.amdhsa_float_denorm_mode_16_64 3
		.amdhsa_dx10_clamp 1
		.amdhsa_ieee_mode 1
		.amdhsa_fp16_overflow 0
		.amdhsa_exception_fp_ieee_invalid_op 0
		.amdhsa_exception_fp_denorm_src 0
		.amdhsa_exception_fp_ieee_div_zero 0
		.amdhsa_exception_fp_ieee_overflow 0
		.amdhsa_exception_fp_ieee_underflow 0
		.amdhsa_exception_fp_ieee_inexact 0
		.amdhsa_exception_int_div_zero 0
	.end_amdhsa_kernel
	.section	.text._ZN9rocsparseL20bsrxmvn_17_32_kernelILj29EfllaafEEvT2_20rocsparse_direction_NS_24const_host_device_scalarIT0_EES1_PKS1_PKT1_SA_S7_PKT3_PKT4_S5_PT5_21rocsparse_index_base_b,"axG",@progbits,_ZN9rocsparseL20bsrxmvn_17_32_kernelILj29EfllaafEEvT2_20rocsparse_direction_NS_24const_host_device_scalarIT0_EES1_PKS1_PKT1_SA_S7_PKT3_PKT4_S5_PT5_21rocsparse_index_base_b,comdat
.Lfunc_end284:
	.size	_ZN9rocsparseL20bsrxmvn_17_32_kernelILj29EfllaafEEvT2_20rocsparse_direction_NS_24const_host_device_scalarIT0_EES1_PKS1_PKT1_SA_S7_PKT3_PKT4_S5_PT5_21rocsparse_index_base_b, .Lfunc_end284-_ZN9rocsparseL20bsrxmvn_17_32_kernelILj29EfllaafEEvT2_20rocsparse_direction_NS_24const_host_device_scalarIT0_EES1_PKS1_PKT1_SA_S7_PKT3_PKT4_S5_PT5_21rocsparse_index_base_b
                                        ; -- End function
	.set _ZN9rocsparseL20bsrxmvn_17_32_kernelILj29EfllaafEEvT2_20rocsparse_direction_NS_24const_host_device_scalarIT0_EES1_PKS1_PKT1_SA_S7_PKT3_PKT4_S5_PT5_21rocsparse_index_base_b.num_vgpr, 15
	.set _ZN9rocsparseL20bsrxmvn_17_32_kernelILj29EfllaafEEvT2_20rocsparse_direction_NS_24const_host_device_scalarIT0_EES1_PKS1_PKT1_SA_S7_PKT3_PKT4_S5_PT5_21rocsparse_index_base_b.num_agpr, 0
	.set _ZN9rocsparseL20bsrxmvn_17_32_kernelILj29EfllaafEEvT2_20rocsparse_direction_NS_24const_host_device_scalarIT0_EES1_PKS1_PKT1_SA_S7_PKT3_PKT4_S5_PT5_21rocsparse_index_base_b.numbered_sgpr, 26
	.set _ZN9rocsparseL20bsrxmvn_17_32_kernelILj29EfllaafEEvT2_20rocsparse_direction_NS_24const_host_device_scalarIT0_EES1_PKS1_PKT1_SA_S7_PKT3_PKT4_S5_PT5_21rocsparse_index_base_b.num_named_barrier, 0
	.set _ZN9rocsparseL20bsrxmvn_17_32_kernelILj29EfllaafEEvT2_20rocsparse_direction_NS_24const_host_device_scalarIT0_EES1_PKS1_PKT1_SA_S7_PKT3_PKT4_S5_PT5_21rocsparse_index_base_b.private_seg_size, 0
	.set _ZN9rocsparseL20bsrxmvn_17_32_kernelILj29EfllaafEEvT2_20rocsparse_direction_NS_24const_host_device_scalarIT0_EES1_PKS1_PKT1_SA_S7_PKT3_PKT4_S5_PT5_21rocsparse_index_base_b.uses_vcc, 1
	.set _ZN9rocsparseL20bsrxmvn_17_32_kernelILj29EfllaafEEvT2_20rocsparse_direction_NS_24const_host_device_scalarIT0_EES1_PKS1_PKT1_SA_S7_PKT3_PKT4_S5_PT5_21rocsparse_index_base_b.uses_flat_scratch, 0
	.set _ZN9rocsparseL20bsrxmvn_17_32_kernelILj29EfllaafEEvT2_20rocsparse_direction_NS_24const_host_device_scalarIT0_EES1_PKS1_PKT1_SA_S7_PKT3_PKT4_S5_PT5_21rocsparse_index_base_b.has_dyn_sized_stack, 0
	.set _ZN9rocsparseL20bsrxmvn_17_32_kernelILj29EfllaafEEvT2_20rocsparse_direction_NS_24const_host_device_scalarIT0_EES1_PKS1_PKT1_SA_S7_PKT3_PKT4_S5_PT5_21rocsparse_index_base_b.has_recursion, 0
	.set _ZN9rocsparseL20bsrxmvn_17_32_kernelILj29EfllaafEEvT2_20rocsparse_direction_NS_24const_host_device_scalarIT0_EES1_PKS1_PKT1_SA_S7_PKT3_PKT4_S5_PT5_21rocsparse_index_base_b.has_indirect_call, 0
	.section	.AMDGPU.csdata,"",@progbits
; Kernel info:
; codeLenInByte = 1312
; TotalNumSgprs: 30
; NumVgprs: 15
; ScratchSize: 0
; MemoryBound: 0
; FloatMode: 240
; IeeeMode: 1
; LDSByteSize: 3364 bytes/workgroup (compile time only)
; SGPRBlocks: 10
; VGPRBlocks: 8
; NumSGPRsForWavesPerEU: 81
; NumVGPRsForWavesPerEU: 33
; Occupancy: 7
; WaveLimiterHint : 1
; COMPUTE_PGM_RSRC2:SCRATCH_EN: 0
; COMPUTE_PGM_RSRC2:USER_SGPR: 6
; COMPUTE_PGM_RSRC2:TRAP_HANDLER: 0
; COMPUTE_PGM_RSRC2:TGID_X_EN: 1
; COMPUTE_PGM_RSRC2:TGID_Y_EN: 0
; COMPUTE_PGM_RSRC2:TGID_Z_EN: 0
; COMPUTE_PGM_RSRC2:TIDIG_COMP_CNT: 0
	.section	.text._ZN9rocsparseL20bsrxmvn_17_32_kernelILj30EfllaafEEvT2_20rocsparse_direction_NS_24const_host_device_scalarIT0_EES1_PKS1_PKT1_SA_S7_PKT3_PKT4_S5_PT5_21rocsparse_index_base_b,"axG",@progbits,_ZN9rocsparseL20bsrxmvn_17_32_kernelILj30EfllaafEEvT2_20rocsparse_direction_NS_24const_host_device_scalarIT0_EES1_PKS1_PKT1_SA_S7_PKT3_PKT4_S5_PT5_21rocsparse_index_base_b,comdat
	.globl	_ZN9rocsparseL20bsrxmvn_17_32_kernelILj30EfllaafEEvT2_20rocsparse_direction_NS_24const_host_device_scalarIT0_EES1_PKS1_PKT1_SA_S7_PKT3_PKT4_S5_PT5_21rocsparse_index_base_b ; -- Begin function _ZN9rocsparseL20bsrxmvn_17_32_kernelILj30EfllaafEEvT2_20rocsparse_direction_NS_24const_host_device_scalarIT0_EES1_PKS1_PKT1_SA_S7_PKT3_PKT4_S5_PT5_21rocsparse_index_base_b
	.p2align	8
	.type	_ZN9rocsparseL20bsrxmvn_17_32_kernelILj30EfllaafEEvT2_20rocsparse_direction_NS_24const_host_device_scalarIT0_EES1_PKS1_PKT1_SA_S7_PKT3_PKT4_S5_PT5_21rocsparse_index_base_b,@function
_ZN9rocsparseL20bsrxmvn_17_32_kernelILj30EfllaafEEvT2_20rocsparse_direction_NS_24const_host_device_scalarIT0_EES1_PKS1_PKT1_SA_S7_PKT3_PKT4_S5_PT5_21rocsparse_index_base_b: ; @_ZN9rocsparseL20bsrxmvn_17_32_kernelILj30EfllaafEEvT2_20rocsparse_direction_NS_24const_host_device_scalarIT0_EES1_PKS1_PKT1_SA_S7_PKT3_PKT4_S5_PT5_21rocsparse_index_base_b
; %bb.0:
	s_load_dwordx2 s[18:19], s[4:5], 0x60
	s_load_dwordx2 s[14:15], s[4:5], 0x10
	;; [unrolled: 1-line block ×3, first 2 shown]
	s_waitcnt lgkmcnt(0)
	s_bitcmp1_b32 s19, 0
	s_cselect_b64 s[2:3], -1, 0
	s_xor_b64 s[0:1], s[2:3], -1
	s_and_b64 vcc, exec, s[2:3]
	s_cbranch_vccnz .LBB285_2
; %bb.1:
	s_load_dword s14, s[14:15], 0x0
.LBB285_2:
	s_andn2_b64 vcc, exec, s[0:1]
	s_cbranch_vccnz .LBB285_4
; %bb.3:
	s_load_dword s12, s[12:13], 0x0
.LBB285_4:
	s_waitcnt lgkmcnt(0)
	v_cmp_neq_f32_e64 s[0:1], s14, 0
	v_cmp_neq_f32_e64 s[2:3], s12, 1.0
	s_or_b64 s[0:1], s[0:1], s[2:3]
	s_andn2_b64 vcc, exec, s[0:1]
	s_mov_b32 s7, 0
	s_cbranch_vccnz .LBB285_40
; %bb.5:
	s_load_dwordx4 s[0:3], s[4:5], 0x20
	s_load_dwordx2 s[8:9], s[4:5], 0x30
	s_waitcnt lgkmcnt(0)
	s_cmp_eq_u64 s[0:1], 0
	s_cbranch_scc1 .LBB285_7
; %bb.6:
	s_lshl_b64 s[6:7], s[6:7], 3
	s_add_u32 s0, s0, s6
	s_addc_u32 s1, s1, s7
	s_load_dwordx2 s[0:1], s[0:1], 0x0
	s_waitcnt lgkmcnt(0)
	s_sub_u32 s6, s0, s18
	s_subb_u32 s7, s1, 0
.LBB285_7:
	s_load_dword s10, s[4:5], 0x8
	s_load_dwordx2 s[16:17], s[4:5], 0x58
	v_mul_u32_u24_e32 v1, 0x889, v0
	v_mov_b32_e32 v2, 30
	v_mul_lo_u16_sdwa v2, v1, v2 dst_sel:DWORD dst_unused:UNUSED_PAD src0_sel:WORD_1 src1_sel:DWORD
	s_waitcnt lgkmcnt(0)
	s_cmp_eq_u32 s10, 1
	s_cselect_b64 s[0:1], -1, 0
	s_cmp_lg_u32 s10, 1
	s_cselect_b64 s[20:21], -1, 0
	s_lshl_b64 s[10:11], s[6:7], 3
	s_add_u32 s24, s2, s10
	s_addc_u32 s25, s3, s11
	s_add_u32 s2, s24, 8
	s_addc_u32 s3, s25, 0
	;; [unrolled: 2-line block ×3, first 2 shown]
	s_cmp_eq_u64 s[8:9], 0
	s_cselect_b32 s9, s3, s11
	s_cselect_b32 s8, s2, s10
	s_load_dwordx2 s[2:3], s[8:9], 0x0
	s_load_dwordx2 s[22:23], s[24:25], 0x0
	v_sub_u16_e32 v10, v0, v2
	v_mov_b32_e32 v9, 0
	s_waitcnt lgkmcnt(0)
	v_mov_b32_e32 v2, s2
	v_mov_b32_e32 v3, s3
	v_cmp_ge_i64_e32 vcc, s[22:23], v[2:3]
	s_cbranch_vccnz .LBB285_12
; %bb.8:
	s_load_dwordx4 s[8:11], s[4:5], 0x38
	s_load_dwordx2 s[24:25], s[4:5], 0x48
	s_mov_b32 s4, 0xffff
	s_sub_u32 s2, s2, s18
	s_movk_i32 s5, 0x384
	v_and_b32_sdwa v1, s4, v1 dst_sel:DWORD dst_unused:UNUSED_PAD src0_sel:DWORD src1_sel:WORD_1
	s_subb_u32 s3, s3, 0
	v_subrev_u32_e32 v2, 30, v1
	v_cmp_gt_u32_e32 vcc, s5, v0
	s_sub_u32 s4, s22, s18
	v_cndmask_b32_e32 v1, v2, v1, vcc
	s_subb_u32 s5, s23, 0
	v_cndmask_b32_e64 v1, v10, v1, s[0:1]
	s_mul_i32 s0, s5, 0x384
	s_mul_hi_u32 s1, s4, 0x384
	s_add_i32 s1, s1, s0
	s_mul_i32 s0, s4, 0x384
	s_waitcnt lgkmcnt(0)
	v_mov_b32_e32 v2, s25
	v_add_co_u32_e32 v1, vcc, s24, v1
	s_add_u32 s0, s10, s0
	v_addc_co_u32_e32 v2, vcc, 0, v2, vcc
	s_addc_u32 s1, s11, s1
	v_mov_b32_e32 v4, s1
	v_add_co_u32_e32 v3, vcc, s0, v0
	v_addc_co_u32_e32 v4, vcc, 0, v4, vcc
	s_movk_i32 s0, 0x383
	v_cmp_lt_u32_e32 vcc, s0, v0
	v_cndmask_b32_e64 v11, 0, 1, vcc
	v_mov_b32_e32 v5, s23
	v_add_co_u32_e32 v6, vcc, s22, v11
	v_addc_co_u32_e32 v7, vcc, 0, v5, vcc
	v_subrev_co_u32_e32 v5, vcc, s18, v6
	v_subbrev_co_u32_e32 v6, vcc, 0, v7, vcc
	v_lshlrev_b64 v[5:6], 3, v[5:6]
	v_mov_b32_e32 v7, s9
	v_add_co_u32_e32 v5, vcc, s8, v5
	v_addc_co_u32_e32 v6, vcc, v7, v6, vcc
	v_mov_b32_e32 v8, s3
	v_mov_b32_e32 v9, 0
	;; [unrolled: 1-line block ×3, first 2 shown]
	s_branch .LBB285_10
.LBB285_9:                              ;   in Loop: Header=BB285_10 Depth=1
	s_or_b64 exec, exec, s[0:1]
	s_add_u32 s4, s4, 1
	s_addc_u32 s5, s5, 0
	v_cmp_lt_i64_e32 vcc, s[4:5], v[7:8]
	v_add_co_u32_e64 v5, s[0:1], 8, v5
	v_addc_co_u32_e64 v6, s[0:1], 0, v6, s[0:1]
	s_cbranch_vccz .LBB285_12
.LBB285_10:                             ; =>This Inner Loop Header: Depth=1
	v_mov_b32_e32 v13, s5
	v_add_co_u32_e32 v12, vcc, s4, v11
	v_addc_co_u32_e32 v13, vcc, 0, v13, vcc
	v_cmp_gt_i64_e32 vcc, s[2:3], v[12:13]
	s_and_saveexec_b64 s[0:1], vcc
	s_cbranch_execz .LBB285_9
; %bb.11:                               ;   in Loop: Header=BB285_10 Depth=1
	global_load_dwordx2 v[12:13], v[5:6], off
	s_waitcnt vmcnt(0)
	v_subrev_co_u32_e32 v12, vcc, s18, v12
	v_subbrev_co_u32_e32 v14, vcc, 0, v13, vcc
	v_mad_u64_u32 v[12:13], s[8:9], v12, 30, v[1:2]
	v_mad_u64_u32 v[13:14], s[8:9], v14, 30, v[13:14]
	global_load_sbyte v14, v[3:4], off
	s_nop 0
	global_load_sbyte v12, v[12:13], off
	v_add_co_u32_e32 v3, vcc, 0x384, v3
	v_addc_co_u32_e32 v4, vcc, 0, v4, vcc
	s_waitcnt vmcnt(1)
	v_cvt_f32_i32_e32 v13, v14
	s_waitcnt vmcnt(0)
	v_cvt_f32_i32_e32 v12, v12
	v_fmac_f32_e32 v9, v13, v12
	s_branch .LBB285_9
.LBB285_12:
	v_lshlrev_b32_e32 v1, 2, v0
	s_and_b64 vcc, exec, s[20:21]
	ds_write_b32 v1, v9
	s_waitcnt lgkmcnt(0)
	s_barrier
	s_cbranch_vccz .LBB285_24
; %bb.13:
	v_cmp_gt_u16_e32 vcc, 14, v10
	s_and_saveexec_b64 s[0:1], vcc
	s_cbranch_execz .LBB285_15
; %bb.14:
	ds_read2_b32 v[2:3], v1 offset1:16
	s_waitcnt lgkmcnt(0)
	v_add_f32_e32 v2, v3, v2
	ds_write_b32 v1, v2
.LBB285_15:
	s_or_b64 exec, exec, s[0:1]
	v_cmp_gt_u16_e32 vcc, 8, v10
	s_waitcnt lgkmcnt(0)
	s_barrier
	s_and_saveexec_b64 s[0:1], vcc
	s_cbranch_execz .LBB285_17
; %bb.16:
	ds_read2_b32 v[2:3], v1 offset1:8
	s_waitcnt lgkmcnt(0)
	v_add_f32_e32 v2, v3, v2
	ds_write_b32 v1, v2
.LBB285_17:
	s_or_b64 exec, exec, s[0:1]
	v_cmp_gt_u16_e32 vcc, 4, v10
	s_waitcnt lgkmcnt(0)
	s_barrier
	;; [unrolled: 12-line block ×3, first 2 shown]
	s_and_saveexec_b64 s[0:1], vcc
	s_cbranch_execz .LBB285_21
; %bb.20:
	ds_read2_b32 v[2:3], v1 offset1:2
	s_waitcnt lgkmcnt(0)
	v_add_f32_e32 v2, v3, v2
	ds_write_b32 v1, v2
.LBB285_21:
	s_or_b64 exec, exec, s[0:1]
	v_cmp_gt_u32_e32 vcc, 30, v0
	v_mov_b32_e32 v2, v9
	s_waitcnt lgkmcnt(0)
	s_barrier
	s_and_saveexec_b64 s[0:1], vcc
	s_cbranch_execz .LBB285_23
; %bb.22:
	s_movk_i32 s2, 0x74
	v_mad_u32_u24 v2, v0, s2, v1
	ds_read_b64 v[2:3], v2
	s_waitcnt lgkmcnt(0)
	v_add_f32_e32 v2, v2, v3
.LBB285_23:
	s_or_b64 exec, exec, s[0:1]
	s_branch .LBB285_36
.LBB285_24:
                                        ; implicit-def: $vgpr2
	s_cbranch_execz .LBB285_36
; %bb.25:
	s_movk_i32 s0, 0x1a4
	v_cmp_gt_u32_e32 vcc, s0, v0
	s_and_saveexec_b64 s[0:1], vcc
	s_cbranch_execz .LBB285_27
; %bb.26:
	ds_read_b32 v2, v1 offset:1920
	ds_read_b32 v3, v1
	s_waitcnt lgkmcnt(0)
	v_add_f32_e32 v2, v2, v3
	ds_write_b32 v1, v2
.LBB285_27:
	s_or_b64 exec, exec, s[0:1]
	s_movk_i32 s0, 0xf0
	v_cmp_gt_u32_e32 vcc, s0, v0
	s_waitcnt lgkmcnt(0)
	s_barrier
	s_and_saveexec_b64 s[0:1], vcc
	s_cbranch_execz .LBB285_29
; %bb.28:
	ds_read2_b32 v[2:3], v1 offset1:240
	s_waitcnt lgkmcnt(0)
	v_add_f32_e32 v2, v3, v2
	ds_write_b32 v1, v2
.LBB285_29:
	s_or_b64 exec, exec, s[0:1]
	s_movk_i32 s0, 0x78
	v_cmp_gt_u32_e32 vcc, s0, v0
	s_waitcnt lgkmcnt(0)
	s_barrier
	s_and_saveexec_b64 s[0:1], vcc
	s_cbranch_execz .LBB285_31
; %bb.30:
	ds_read2_b32 v[2:3], v1 offset1:120
	s_waitcnt lgkmcnt(0)
	v_add_f32_e32 v2, v3, v2
	ds_write_b32 v1, v2
.LBB285_31:
	s_or_b64 exec, exec, s[0:1]
	v_cmp_gt_u32_e32 vcc, 60, v0
	s_waitcnt lgkmcnt(0)
	s_barrier
	s_and_saveexec_b64 s[0:1], vcc
	s_cbranch_execz .LBB285_33
; %bb.32:
	ds_read2_b32 v[2:3], v1 offset1:60
	s_waitcnt lgkmcnt(0)
	v_add_f32_e32 v2, v3, v2
	ds_write_b32 v1, v2
.LBB285_33:
	s_or_b64 exec, exec, s[0:1]
	v_cmp_gt_u32_e32 vcc, 30, v0
	s_waitcnt lgkmcnt(0)
	s_and_saveexec_b64 s[0:1], vcc
	s_cbranch_execz .LBB285_35
; %bb.34:
	ds_read2_b32 v[2:3], v1 offset1:30
	s_waitcnt lgkmcnt(0)
	v_add_f32_e32 v9, v2, v3
.LBB285_35:
	s_or_b64 exec, exec, s[0:1]
	v_mov_b32_e32 v2, v9
.LBB285_36:
	v_cmp_gt_u32_e32 vcc, 30, v0
	s_and_saveexec_b64 s[0:1], vcc
	s_cbranch_execz .LBB285_40
; %bb.37:
	v_cmp_eq_f32_e64 s[0:1], s12, 0
	s_and_b64 vcc, exec, s[0:1]
	v_mul_f32_e32 v0, s14, v2
	s_mul_i32 s2, s7, 0x78
	s_mul_hi_u32 s3, s6, 0x78
	s_mul_i32 s4, s6, 0x78
	s_cbranch_vccz .LBB285_41
; %bb.38:
	s_add_i32 s1, s3, s2
	s_add_u32 s0, s16, s4
	s_addc_u32 s1, s17, s1
	global_store_dword v1, v0, s[0:1]
	s_cbranch_execnz .LBB285_40
.LBB285_39:
	s_add_i32 s3, s3, s2
	s_add_u32 s0, s16, s4
	s_addc_u32 s1, s17, s3
	global_load_dword v2, v1, s[0:1]
	s_waitcnt vmcnt(0)
	v_fmac_f32_e32 v0, s12, v2
	global_store_dword v1, v0, s[0:1]
.LBB285_40:
	s_endpgm
.LBB285_41:
	s_branch .LBB285_39
	.section	.rodata,"a",@progbits
	.p2align	6, 0x0
	.amdhsa_kernel _ZN9rocsparseL20bsrxmvn_17_32_kernelILj30EfllaafEEvT2_20rocsparse_direction_NS_24const_host_device_scalarIT0_EES1_PKS1_PKT1_SA_S7_PKT3_PKT4_S5_PT5_21rocsparse_index_base_b
		.amdhsa_group_segment_fixed_size 3600
		.amdhsa_private_segment_fixed_size 0
		.amdhsa_kernarg_size 104
		.amdhsa_user_sgpr_count 6
		.amdhsa_user_sgpr_private_segment_buffer 1
		.amdhsa_user_sgpr_dispatch_ptr 0
		.amdhsa_user_sgpr_queue_ptr 0
		.amdhsa_user_sgpr_kernarg_segment_ptr 1
		.amdhsa_user_sgpr_dispatch_id 0
		.amdhsa_user_sgpr_flat_scratch_init 0
		.amdhsa_user_sgpr_private_segment_size 0
		.amdhsa_uses_dynamic_stack 0
		.amdhsa_system_sgpr_private_segment_wavefront_offset 0
		.amdhsa_system_sgpr_workgroup_id_x 1
		.amdhsa_system_sgpr_workgroup_id_y 0
		.amdhsa_system_sgpr_workgroup_id_z 0
		.amdhsa_system_sgpr_workgroup_info 0
		.amdhsa_system_vgpr_workitem_id 0
		.amdhsa_next_free_vgpr 29
		.amdhsa_next_free_sgpr 61
		.amdhsa_reserve_vcc 1
		.amdhsa_reserve_flat_scratch 0
		.amdhsa_float_round_mode_32 0
		.amdhsa_float_round_mode_16_64 0
		.amdhsa_float_denorm_mode_32 3
		.amdhsa_float_denorm_mode_16_64 3
		.amdhsa_dx10_clamp 1
		.amdhsa_ieee_mode 1
		.amdhsa_fp16_overflow 0
		.amdhsa_exception_fp_ieee_invalid_op 0
		.amdhsa_exception_fp_denorm_src 0
		.amdhsa_exception_fp_ieee_div_zero 0
		.amdhsa_exception_fp_ieee_overflow 0
		.amdhsa_exception_fp_ieee_underflow 0
		.amdhsa_exception_fp_ieee_inexact 0
		.amdhsa_exception_int_div_zero 0
	.end_amdhsa_kernel
	.section	.text._ZN9rocsparseL20bsrxmvn_17_32_kernelILj30EfllaafEEvT2_20rocsparse_direction_NS_24const_host_device_scalarIT0_EES1_PKS1_PKT1_SA_S7_PKT3_PKT4_S5_PT5_21rocsparse_index_base_b,"axG",@progbits,_ZN9rocsparseL20bsrxmvn_17_32_kernelILj30EfllaafEEvT2_20rocsparse_direction_NS_24const_host_device_scalarIT0_EES1_PKS1_PKT1_SA_S7_PKT3_PKT4_S5_PT5_21rocsparse_index_base_b,comdat
.Lfunc_end285:
	.size	_ZN9rocsparseL20bsrxmvn_17_32_kernelILj30EfllaafEEvT2_20rocsparse_direction_NS_24const_host_device_scalarIT0_EES1_PKS1_PKT1_SA_S7_PKT3_PKT4_S5_PT5_21rocsparse_index_base_b, .Lfunc_end285-_ZN9rocsparseL20bsrxmvn_17_32_kernelILj30EfllaafEEvT2_20rocsparse_direction_NS_24const_host_device_scalarIT0_EES1_PKS1_PKT1_SA_S7_PKT3_PKT4_S5_PT5_21rocsparse_index_base_b
                                        ; -- End function
	.set _ZN9rocsparseL20bsrxmvn_17_32_kernelILj30EfllaafEEvT2_20rocsparse_direction_NS_24const_host_device_scalarIT0_EES1_PKS1_PKT1_SA_S7_PKT3_PKT4_S5_PT5_21rocsparse_index_base_b.num_vgpr, 15
	.set _ZN9rocsparseL20bsrxmvn_17_32_kernelILj30EfllaafEEvT2_20rocsparse_direction_NS_24const_host_device_scalarIT0_EES1_PKS1_PKT1_SA_S7_PKT3_PKT4_S5_PT5_21rocsparse_index_base_b.num_agpr, 0
	.set _ZN9rocsparseL20bsrxmvn_17_32_kernelILj30EfllaafEEvT2_20rocsparse_direction_NS_24const_host_device_scalarIT0_EES1_PKS1_PKT1_SA_S7_PKT3_PKT4_S5_PT5_21rocsparse_index_base_b.numbered_sgpr, 26
	.set _ZN9rocsparseL20bsrxmvn_17_32_kernelILj30EfllaafEEvT2_20rocsparse_direction_NS_24const_host_device_scalarIT0_EES1_PKS1_PKT1_SA_S7_PKT3_PKT4_S5_PT5_21rocsparse_index_base_b.num_named_barrier, 0
	.set _ZN9rocsparseL20bsrxmvn_17_32_kernelILj30EfllaafEEvT2_20rocsparse_direction_NS_24const_host_device_scalarIT0_EES1_PKS1_PKT1_SA_S7_PKT3_PKT4_S5_PT5_21rocsparse_index_base_b.private_seg_size, 0
	.set _ZN9rocsparseL20bsrxmvn_17_32_kernelILj30EfllaafEEvT2_20rocsparse_direction_NS_24const_host_device_scalarIT0_EES1_PKS1_PKT1_SA_S7_PKT3_PKT4_S5_PT5_21rocsparse_index_base_b.uses_vcc, 1
	.set _ZN9rocsparseL20bsrxmvn_17_32_kernelILj30EfllaafEEvT2_20rocsparse_direction_NS_24const_host_device_scalarIT0_EES1_PKS1_PKT1_SA_S7_PKT3_PKT4_S5_PT5_21rocsparse_index_base_b.uses_flat_scratch, 0
	.set _ZN9rocsparseL20bsrxmvn_17_32_kernelILj30EfllaafEEvT2_20rocsparse_direction_NS_24const_host_device_scalarIT0_EES1_PKS1_PKT1_SA_S7_PKT3_PKT4_S5_PT5_21rocsparse_index_base_b.has_dyn_sized_stack, 0
	.set _ZN9rocsparseL20bsrxmvn_17_32_kernelILj30EfllaafEEvT2_20rocsparse_direction_NS_24const_host_device_scalarIT0_EES1_PKS1_PKT1_SA_S7_PKT3_PKT4_S5_PT5_21rocsparse_index_base_b.has_recursion, 0
	.set _ZN9rocsparseL20bsrxmvn_17_32_kernelILj30EfllaafEEvT2_20rocsparse_direction_NS_24const_host_device_scalarIT0_EES1_PKS1_PKT1_SA_S7_PKT3_PKT4_S5_PT5_21rocsparse_index_base_b.has_indirect_call, 0
	.section	.AMDGPU.csdata,"",@progbits
; Kernel info:
; codeLenInByte = 1312
; TotalNumSgprs: 30
; NumVgprs: 15
; ScratchSize: 0
; MemoryBound: 0
; FloatMode: 240
; IeeeMode: 1
; LDSByteSize: 3600 bytes/workgroup (compile time only)
; SGPRBlocks: 8
; VGPRBlocks: 7
; NumSGPRsForWavesPerEU: 65
; NumVGPRsForWavesPerEU: 29
; Occupancy: 8
; WaveLimiterHint : 1
; COMPUTE_PGM_RSRC2:SCRATCH_EN: 0
; COMPUTE_PGM_RSRC2:USER_SGPR: 6
; COMPUTE_PGM_RSRC2:TRAP_HANDLER: 0
; COMPUTE_PGM_RSRC2:TGID_X_EN: 1
; COMPUTE_PGM_RSRC2:TGID_Y_EN: 0
; COMPUTE_PGM_RSRC2:TGID_Z_EN: 0
; COMPUTE_PGM_RSRC2:TIDIG_COMP_CNT: 0
	.section	.text._ZN9rocsparseL20bsrxmvn_17_32_kernelILj31EfllaafEEvT2_20rocsparse_direction_NS_24const_host_device_scalarIT0_EES1_PKS1_PKT1_SA_S7_PKT3_PKT4_S5_PT5_21rocsparse_index_base_b,"axG",@progbits,_ZN9rocsparseL20bsrxmvn_17_32_kernelILj31EfllaafEEvT2_20rocsparse_direction_NS_24const_host_device_scalarIT0_EES1_PKS1_PKT1_SA_S7_PKT3_PKT4_S5_PT5_21rocsparse_index_base_b,comdat
	.globl	_ZN9rocsparseL20bsrxmvn_17_32_kernelILj31EfllaafEEvT2_20rocsparse_direction_NS_24const_host_device_scalarIT0_EES1_PKS1_PKT1_SA_S7_PKT3_PKT4_S5_PT5_21rocsparse_index_base_b ; -- Begin function _ZN9rocsparseL20bsrxmvn_17_32_kernelILj31EfllaafEEvT2_20rocsparse_direction_NS_24const_host_device_scalarIT0_EES1_PKS1_PKT1_SA_S7_PKT3_PKT4_S5_PT5_21rocsparse_index_base_b
	.p2align	8
	.type	_ZN9rocsparseL20bsrxmvn_17_32_kernelILj31EfllaafEEvT2_20rocsparse_direction_NS_24const_host_device_scalarIT0_EES1_PKS1_PKT1_SA_S7_PKT3_PKT4_S5_PT5_21rocsparse_index_base_b,@function
_ZN9rocsparseL20bsrxmvn_17_32_kernelILj31EfllaafEEvT2_20rocsparse_direction_NS_24const_host_device_scalarIT0_EES1_PKS1_PKT1_SA_S7_PKT3_PKT4_S5_PT5_21rocsparse_index_base_b: ; @_ZN9rocsparseL20bsrxmvn_17_32_kernelILj31EfllaafEEvT2_20rocsparse_direction_NS_24const_host_device_scalarIT0_EES1_PKS1_PKT1_SA_S7_PKT3_PKT4_S5_PT5_21rocsparse_index_base_b
; %bb.0:
	s_load_dwordx2 s[18:19], s[4:5], 0x60
	s_load_dwordx2 s[14:15], s[4:5], 0x10
	;; [unrolled: 1-line block ×3, first 2 shown]
	s_waitcnt lgkmcnt(0)
	s_bitcmp1_b32 s19, 0
	s_cselect_b64 s[2:3], -1, 0
	s_xor_b64 s[0:1], s[2:3], -1
	s_and_b64 vcc, exec, s[2:3]
	s_cbranch_vccnz .LBB286_2
; %bb.1:
	s_load_dword s14, s[14:15], 0x0
.LBB286_2:
	s_andn2_b64 vcc, exec, s[0:1]
	s_cbranch_vccnz .LBB286_4
; %bb.3:
	s_load_dword s12, s[12:13], 0x0
.LBB286_4:
	s_waitcnt lgkmcnt(0)
	v_cmp_neq_f32_e64 s[0:1], s14, 0
	v_cmp_neq_f32_e64 s[2:3], s12, 1.0
	s_or_b64 s[0:1], s[0:1], s[2:3]
	s_andn2_b64 vcc, exec, s[0:1]
	s_mov_b32 s7, 0
	s_cbranch_vccnz .LBB286_40
; %bb.5:
	s_load_dwordx4 s[0:3], s[4:5], 0x20
	s_load_dwordx2 s[8:9], s[4:5], 0x30
	s_waitcnt lgkmcnt(0)
	s_cmp_eq_u64 s[0:1], 0
	s_cbranch_scc1 .LBB286_7
; %bb.6:
	s_lshl_b64 s[6:7], s[6:7], 3
	s_add_u32 s0, s0, s6
	s_addc_u32 s1, s1, s7
	s_load_dwordx2 s[0:1], s[0:1], 0x0
	s_waitcnt lgkmcnt(0)
	s_sub_u32 s6, s0, s18
	s_subb_u32 s7, s1, 0
.LBB286_7:
	s_load_dword s10, s[4:5], 0x8
	s_load_dwordx2 s[16:17], s[4:5], 0x58
	v_mul_u32_u24_e32 v1, 0x843, v0
	v_mov_b32_e32 v2, 31
	v_mul_lo_u16_sdwa v2, v1, v2 dst_sel:DWORD dst_unused:UNUSED_PAD src0_sel:WORD_1 src1_sel:DWORD
	s_waitcnt lgkmcnt(0)
	s_cmp_eq_u32 s10, 1
	s_cselect_b64 s[0:1], -1, 0
	s_cmp_lg_u32 s10, 1
	s_cselect_b64 s[20:21], -1, 0
	s_lshl_b64 s[10:11], s[6:7], 3
	s_add_u32 s24, s2, s10
	s_addc_u32 s25, s3, s11
	s_add_u32 s2, s24, 8
	s_addc_u32 s3, s25, 0
	s_add_u32 s10, s8, s10
	s_addc_u32 s11, s9, s11
	s_cmp_eq_u64 s[8:9], 0
	s_cselect_b32 s9, s3, s11
	s_cselect_b32 s8, s2, s10
	s_load_dwordx2 s[2:3], s[8:9], 0x0
	s_load_dwordx2 s[22:23], s[24:25], 0x0
	v_sub_u16_e32 v10, v0, v2
	v_mov_b32_e32 v9, 0
	s_waitcnt lgkmcnt(0)
	v_mov_b32_e32 v2, s2
	v_mov_b32_e32 v3, s3
	v_cmp_ge_i64_e32 vcc, s[22:23], v[2:3]
	s_cbranch_vccnz .LBB286_12
; %bb.8:
	s_load_dwordx4 s[8:11], s[4:5], 0x38
	s_load_dwordx2 s[24:25], s[4:5], 0x48
	s_mov_b32 s4, 0xffff
	s_sub_u32 s2, s2, s18
	s_movk_i32 s5, 0x3c1
	v_and_b32_sdwa v1, s4, v1 dst_sel:DWORD dst_unused:UNUSED_PAD src0_sel:DWORD src1_sel:WORD_1
	s_subb_u32 s3, s3, 0
	v_subrev_u32_e32 v2, 31, v1
	v_cmp_gt_u32_e32 vcc, s5, v0
	s_sub_u32 s4, s22, s18
	v_cndmask_b32_e32 v1, v2, v1, vcc
	s_subb_u32 s5, s23, 0
	v_cndmask_b32_e64 v1, v10, v1, s[0:1]
	s_mul_i32 s0, s5, 0x3c1
	s_mul_hi_u32 s1, s4, 0x3c1
	s_add_i32 s1, s1, s0
	s_mul_i32 s0, s4, 0x3c1
	s_waitcnt lgkmcnt(0)
	v_mov_b32_e32 v2, s25
	v_add_co_u32_e32 v1, vcc, s24, v1
	s_add_u32 s0, s10, s0
	v_addc_co_u32_e32 v2, vcc, 0, v2, vcc
	s_addc_u32 s1, s11, s1
	v_mov_b32_e32 v4, s1
	v_add_co_u32_e32 v3, vcc, s0, v0
	v_addc_co_u32_e32 v4, vcc, 0, v4, vcc
	s_movk_i32 s0, 0x3c0
	v_cmp_lt_u32_e32 vcc, s0, v0
	v_cndmask_b32_e64 v11, 0, 1, vcc
	v_mov_b32_e32 v5, s23
	v_add_co_u32_e32 v6, vcc, s22, v11
	v_addc_co_u32_e32 v7, vcc, 0, v5, vcc
	v_subrev_co_u32_e32 v5, vcc, s18, v6
	v_subbrev_co_u32_e32 v6, vcc, 0, v7, vcc
	v_lshlrev_b64 v[5:6], 3, v[5:6]
	v_mov_b32_e32 v7, s9
	v_add_co_u32_e32 v5, vcc, s8, v5
	v_addc_co_u32_e32 v6, vcc, v7, v6, vcc
	v_mov_b32_e32 v8, s3
	v_mov_b32_e32 v9, 0
	;; [unrolled: 1-line block ×3, first 2 shown]
	s_branch .LBB286_10
.LBB286_9:                              ;   in Loop: Header=BB286_10 Depth=1
	s_or_b64 exec, exec, s[0:1]
	s_add_u32 s4, s4, 1
	s_addc_u32 s5, s5, 0
	v_cmp_lt_i64_e32 vcc, s[4:5], v[7:8]
	v_add_co_u32_e64 v5, s[0:1], 8, v5
	v_addc_co_u32_e64 v6, s[0:1], 0, v6, s[0:1]
	s_cbranch_vccz .LBB286_12
.LBB286_10:                             ; =>This Inner Loop Header: Depth=1
	v_mov_b32_e32 v13, s5
	v_add_co_u32_e32 v12, vcc, s4, v11
	v_addc_co_u32_e32 v13, vcc, 0, v13, vcc
	v_cmp_gt_i64_e32 vcc, s[2:3], v[12:13]
	s_and_saveexec_b64 s[0:1], vcc
	s_cbranch_execz .LBB286_9
; %bb.11:                               ;   in Loop: Header=BB286_10 Depth=1
	global_load_dwordx2 v[12:13], v[5:6], off
	s_waitcnt vmcnt(0)
	v_subrev_co_u32_e32 v12, vcc, s18, v12
	v_subbrev_co_u32_e32 v14, vcc, 0, v13, vcc
	v_mad_u64_u32 v[12:13], s[8:9], v12, 31, v[1:2]
	v_mad_u64_u32 v[13:14], s[8:9], v14, 31, v[13:14]
	global_load_sbyte v14, v[3:4], off
	s_nop 0
	global_load_sbyte v12, v[12:13], off
	v_add_co_u32_e32 v3, vcc, 0x3c1, v3
	v_addc_co_u32_e32 v4, vcc, 0, v4, vcc
	s_waitcnt vmcnt(1)
	v_cvt_f32_i32_e32 v13, v14
	s_waitcnt vmcnt(0)
	v_cvt_f32_i32_e32 v12, v12
	v_fmac_f32_e32 v9, v13, v12
	s_branch .LBB286_9
.LBB286_12:
	v_lshlrev_b32_e32 v1, 2, v0
	s_and_b64 vcc, exec, s[20:21]
	ds_write_b32 v1, v9
	s_waitcnt lgkmcnt(0)
	s_barrier
	s_cbranch_vccz .LBB286_24
; %bb.13:
	v_cmp_gt_u16_e32 vcc, 15, v10
	s_and_saveexec_b64 s[0:1], vcc
	s_cbranch_execz .LBB286_15
; %bb.14:
	ds_read2_b32 v[2:3], v1 offset1:16
	s_waitcnt lgkmcnt(0)
	v_add_f32_e32 v2, v3, v2
	ds_write_b32 v1, v2
.LBB286_15:
	s_or_b64 exec, exec, s[0:1]
	v_cmp_gt_u16_e32 vcc, 8, v10
	s_waitcnt lgkmcnt(0)
	s_barrier
	s_and_saveexec_b64 s[0:1], vcc
	s_cbranch_execz .LBB286_17
; %bb.16:
	ds_read2_b32 v[2:3], v1 offset1:8
	s_waitcnt lgkmcnt(0)
	v_add_f32_e32 v2, v3, v2
	ds_write_b32 v1, v2
.LBB286_17:
	s_or_b64 exec, exec, s[0:1]
	v_cmp_gt_u16_e32 vcc, 4, v10
	s_waitcnt lgkmcnt(0)
	s_barrier
	;; [unrolled: 12-line block ×3, first 2 shown]
	s_and_saveexec_b64 s[0:1], vcc
	s_cbranch_execz .LBB286_21
; %bb.20:
	ds_read2_b32 v[2:3], v1 offset1:2
	s_waitcnt lgkmcnt(0)
	v_add_f32_e32 v2, v3, v2
	ds_write_b32 v1, v2
.LBB286_21:
	s_or_b64 exec, exec, s[0:1]
	v_cmp_gt_u32_e32 vcc, 31, v0
	v_mov_b32_e32 v2, v9
	s_waitcnt lgkmcnt(0)
	s_barrier
	s_and_saveexec_b64 s[0:1], vcc
	s_cbranch_execz .LBB286_23
; %bb.22:
	s_movk_i32 s2, 0x78
	v_mad_u32_u24 v2, v0, s2, v1
	ds_read2_b32 v[2:3], v2 offset1:1
	s_waitcnt lgkmcnt(0)
	v_add_f32_e32 v2, v2, v3
.LBB286_23:
	s_or_b64 exec, exec, s[0:1]
	s_branch .LBB286_36
.LBB286_24:
                                        ; implicit-def: $vgpr2
	s_cbranch_execz .LBB286_36
; %bb.25:
	s_movk_i32 s0, 0x1d1
	v_cmp_gt_u32_e32 vcc, s0, v0
	s_and_saveexec_b64 s[0:1], vcc
	s_cbranch_execz .LBB286_27
; %bb.26:
	ds_read_b32 v2, v1 offset:1984
	ds_read_b32 v3, v1
	s_waitcnt lgkmcnt(0)
	v_add_f32_e32 v2, v2, v3
	ds_write_b32 v1, v2
.LBB286_27:
	s_or_b64 exec, exec, s[0:1]
	s_movk_i32 s0, 0xf8
	v_cmp_gt_u32_e32 vcc, s0, v0
	s_waitcnt lgkmcnt(0)
	s_barrier
	s_and_saveexec_b64 s[0:1], vcc
	s_cbranch_execz .LBB286_29
; %bb.28:
	ds_read2_b32 v[2:3], v1 offset1:248
	s_waitcnt lgkmcnt(0)
	v_add_f32_e32 v2, v3, v2
	ds_write_b32 v1, v2
.LBB286_29:
	s_or_b64 exec, exec, s[0:1]
	s_movk_i32 s0, 0x7c
	v_cmp_gt_u32_e32 vcc, s0, v0
	s_waitcnt lgkmcnt(0)
	s_barrier
	s_and_saveexec_b64 s[0:1], vcc
	s_cbranch_execz .LBB286_31
; %bb.30:
	ds_read2_b32 v[2:3], v1 offset1:124
	s_waitcnt lgkmcnt(0)
	v_add_f32_e32 v2, v3, v2
	ds_write_b32 v1, v2
.LBB286_31:
	s_or_b64 exec, exec, s[0:1]
	v_cmp_gt_u32_e32 vcc, 62, v0
	s_waitcnt lgkmcnt(0)
	s_barrier
	s_and_saveexec_b64 s[0:1], vcc
	s_cbranch_execz .LBB286_33
; %bb.32:
	ds_read2_b32 v[2:3], v1 offset1:62
	s_waitcnt lgkmcnt(0)
	v_add_f32_e32 v2, v3, v2
	ds_write_b32 v1, v2
.LBB286_33:
	s_or_b64 exec, exec, s[0:1]
	v_cmp_gt_u32_e32 vcc, 31, v0
	s_waitcnt lgkmcnt(0)
	s_and_saveexec_b64 s[0:1], vcc
	s_cbranch_execz .LBB286_35
; %bb.34:
	ds_read2_b32 v[2:3], v1 offset1:31
	s_waitcnt lgkmcnt(0)
	v_add_f32_e32 v9, v2, v3
.LBB286_35:
	s_or_b64 exec, exec, s[0:1]
	v_mov_b32_e32 v2, v9
.LBB286_36:
	v_cmp_gt_u32_e32 vcc, 31, v0
	s_and_saveexec_b64 s[0:1], vcc
	s_cbranch_execz .LBB286_40
; %bb.37:
	v_cmp_eq_f32_e64 s[0:1], s12, 0
	s_and_b64 vcc, exec, s[0:1]
	v_mul_f32_e32 v0, s14, v2
	s_mul_i32 s2, s7, 0x7c
	s_mul_hi_u32 s3, s6, 0x7c
	s_mul_i32 s4, s6, 0x7c
	s_cbranch_vccz .LBB286_41
; %bb.38:
	s_add_i32 s1, s3, s2
	s_add_u32 s0, s16, s4
	s_addc_u32 s1, s17, s1
	global_store_dword v1, v0, s[0:1]
	s_cbranch_execnz .LBB286_40
.LBB286_39:
	s_add_i32 s3, s3, s2
	s_add_u32 s0, s16, s4
	s_addc_u32 s1, s17, s3
	global_load_dword v2, v1, s[0:1]
	s_waitcnt vmcnt(0)
	v_fmac_f32_e32 v0, s12, v2
	global_store_dword v1, v0, s[0:1]
.LBB286_40:
	s_endpgm
.LBB286_41:
	s_branch .LBB286_39
	.section	.rodata,"a",@progbits
	.p2align	6, 0x0
	.amdhsa_kernel _ZN9rocsparseL20bsrxmvn_17_32_kernelILj31EfllaafEEvT2_20rocsparse_direction_NS_24const_host_device_scalarIT0_EES1_PKS1_PKT1_SA_S7_PKT3_PKT4_S5_PT5_21rocsparse_index_base_b
		.amdhsa_group_segment_fixed_size 3844
		.amdhsa_private_segment_fixed_size 0
		.amdhsa_kernarg_size 104
		.amdhsa_user_sgpr_count 6
		.amdhsa_user_sgpr_private_segment_buffer 1
		.amdhsa_user_sgpr_dispatch_ptr 0
		.amdhsa_user_sgpr_queue_ptr 0
		.amdhsa_user_sgpr_kernarg_segment_ptr 1
		.amdhsa_user_sgpr_dispatch_id 0
		.amdhsa_user_sgpr_flat_scratch_init 0
		.amdhsa_user_sgpr_private_segment_size 0
		.amdhsa_uses_dynamic_stack 0
		.amdhsa_system_sgpr_private_segment_wavefront_offset 0
		.amdhsa_system_sgpr_workgroup_id_x 1
		.amdhsa_system_sgpr_workgroup_id_y 0
		.amdhsa_system_sgpr_workgroup_id_z 0
		.amdhsa_system_sgpr_workgroup_info 0
		.amdhsa_system_vgpr_workitem_id 0
		.amdhsa_next_free_vgpr 29
		.amdhsa_next_free_sgpr 61
		.amdhsa_reserve_vcc 1
		.amdhsa_reserve_flat_scratch 0
		.amdhsa_float_round_mode_32 0
		.amdhsa_float_round_mode_16_64 0
		.amdhsa_float_denorm_mode_32 3
		.amdhsa_float_denorm_mode_16_64 3
		.amdhsa_dx10_clamp 1
		.amdhsa_ieee_mode 1
		.amdhsa_fp16_overflow 0
		.amdhsa_exception_fp_ieee_invalid_op 0
		.amdhsa_exception_fp_denorm_src 0
		.amdhsa_exception_fp_ieee_div_zero 0
		.amdhsa_exception_fp_ieee_overflow 0
		.amdhsa_exception_fp_ieee_underflow 0
		.amdhsa_exception_fp_ieee_inexact 0
		.amdhsa_exception_int_div_zero 0
	.end_amdhsa_kernel
	.section	.text._ZN9rocsparseL20bsrxmvn_17_32_kernelILj31EfllaafEEvT2_20rocsparse_direction_NS_24const_host_device_scalarIT0_EES1_PKS1_PKT1_SA_S7_PKT3_PKT4_S5_PT5_21rocsparse_index_base_b,"axG",@progbits,_ZN9rocsparseL20bsrxmvn_17_32_kernelILj31EfllaafEEvT2_20rocsparse_direction_NS_24const_host_device_scalarIT0_EES1_PKS1_PKT1_SA_S7_PKT3_PKT4_S5_PT5_21rocsparse_index_base_b,comdat
.Lfunc_end286:
	.size	_ZN9rocsparseL20bsrxmvn_17_32_kernelILj31EfllaafEEvT2_20rocsparse_direction_NS_24const_host_device_scalarIT0_EES1_PKS1_PKT1_SA_S7_PKT3_PKT4_S5_PT5_21rocsparse_index_base_b, .Lfunc_end286-_ZN9rocsparseL20bsrxmvn_17_32_kernelILj31EfllaafEEvT2_20rocsparse_direction_NS_24const_host_device_scalarIT0_EES1_PKS1_PKT1_SA_S7_PKT3_PKT4_S5_PT5_21rocsparse_index_base_b
                                        ; -- End function
	.set _ZN9rocsparseL20bsrxmvn_17_32_kernelILj31EfllaafEEvT2_20rocsparse_direction_NS_24const_host_device_scalarIT0_EES1_PKS1_PKT1_SA_S7_PKT3_PKT4_S5_PT5_21rocsparse_index_base_b.num_vgpr, 15
	.set _ZN9rocsparseL20bsrxmvn_17_32_kernelILj31EfllaafEEvT2_20rocsparse_direction_NS_24const_host_device_scalarIT0_EES1_PKS1_PKT1_SA_S7_PKT3_PKT4_S5_PT5_21rocsparse_index_base_b.num_agpr, 0
	.set _ZN9rocsparseL20bsrxmvn_17_32_kernelILj31EfllaafEEvT2_20rocsparse_direction_NS_24const_host_device_scalarIT0_EES1_PKS1_PKT1_SA_S7_PKT3_PKT4_S5_PT5_21rocsparse_index_base_b.numbered_sgpr, 26
	.set _ZN9rocsparseL20bsrxmvn_17_32_kernelILj31EfllaafEEvT2_20rocsparse_direction_NS_24const_host_device_scalarIT0_EES1_PKS1_PKT1_SA_S7_PKT3_PKT4_S5_PT5_21rocsparse_index_base_b.num_named_barrier, 0
	.set _ZN9rocsparseL20bsrxmvn_17_32_kernelILj31EfllaafEEvT2_20rocsparse_direction_NS_24const_host_device_scalarIT0_EES1_PKS1_PKT1_SA_S7_PKT3_PKT4_S5_PT5_21rocsparse_index_base_b.private_seg_size, 0
	.set _ZN9rocsparseL20bsrxmvn_17_32_kernelILj31EfllaafEEvT2_20rocsparse_direction_NS_24const_host_device_scalarIT0_EES1_PKS1_PKT1_SA_S7_PKT3_PKT4_S5_PT5_21rocsparse_index_base_b.uses_vcc, 1
	.set _ZN9rocsparseL20bsrxmvn_17_32_kernelILj31EfllaafEEvT2_20rocsparse_direction_NS_24const_host_device_scalarIT0_EES1_PKS1_PKT1_SA_S7_PKT3_PKT4_S5_PT5_21rocsparse_index_base_b.uses_flat_scratch, 0
	.set _ZN9rocsparseL20bsrxmvn_17_32_kernelILj31EfllaafEEvT2_20rocsparse_direction_NS_24const_host_device_scalarIT0_EES1_PKS1_PKT1_SA_S7_PKT3_PKT4_S5_PT5_21rocsparse_index_base_b.has_dyn_sized_stack, 0
	.set _ZN9rocsparseL20bsrxmvn_17_32_kernelILj31EfllaafEEvT2_20rocsparse_direction_NS_24const_host_device_scalarIT0_EES1_PKS1_PKT1_SA_S7_PKT3_PKT4_S5_PT5_21rocsparse_index_base_b.has_recursion, 0
	.set _ZN9rocsparseL20bsrxmvn_17_32_kernelILj31EfllaafEEvT2_20rocsparse_direction_NS_24const_host_device_scalarIT0_EES1_PKS1_PKT1_SA_S7_PKT3_PKT4_S5_PT5_21rocsparse_index_base_b.has_indirect_call, 0
	.section	.AMDGPU.csdata,"",@progbits
; Kernel info:
; codeLenInByte = 1312
; TotalNumSgprs: 30
; NumVgprs: 15
; ScratchSize: 0
; MemoryBound: 0
; FloatMode: 240
; IeeeMode: 1
; LDSByteSize: 3844 bytes/workgroup (compile time only)
; SGPRBlocks: 8
; VGPRBlocks: 7
; NumSGPRsForWavesPerEU: 65
; NumVGPRsForWavesPerEU: 29
; Occupancy: 8
; WaveLimiterHint : 1
; COMPUTE_PGM_RSRC2:SCRATCH_EN: 0
; COMPUTE_PGM_RSRC2:USER_SGPR: 6
; COMPUTE_PGM_RSRC2:TRAP_HANDLER: 0
; COMPUTE_PGM_RSRC2:TGID_X_EN: 1
; COMPUTE_PGM_RSRC2:TGID_Y_EN: 0
; COMPUTE_PGM_RSRC2:TGID_Z_EN: 0
; COMPUTE_PGM_RSRC2:TIDIG_COMP_CNT: 0
	.section	.text._ZN9rocsparseL20bsrxmvn_17_32_kernelILj32EfllaafEEvT2_20rocsparse_direction_NS_24const_host_device_scalarIT0_EES1_PKS1_PKT1_SA_S7_PKT3_PKT4_S5_PT5_21rocsparse_index_base_b,"axG",@progbits,_ZN9rocsparseL20bsrxmvn_17_32_kernelILj32EfllaafEEvT2_20rocsparse_direction_NS_24const_host_device_scalarIT0_EES1_PKS1_PKT1_SA_S7_PKT3_PKT4_S5_PT5_21rocsparse_index_base_b,comdat
	.globl	_ZN9rocsparseL20bsrxmvn_17_32_kernelILj32EfllaafEEvT2_20rocsparse_direction_NS_24const_host_device_scalarIT0_EES1_PKS1_PKT1_SA_S7_PKT3_PKT4_S5_PT5_21rocsparse_index_base_b ; -- Begin function _ZN9rocsparseL20bsrxmvn_17_32_kernelILj32EfllaafEEvT2_20rocsparse_direction_NS_24const_host_device_scalarIT0_EES1_PKS1_PKT1_SA_S7_PKT3_PKT4_S5_PT5_21rocsparse_index_base_b
	.p2align	8
	.type	_ZN9rocsparseL20bsrxmvn_17_32_kernelILj32EfllaafEEvT2_20rocsparse_direction_NS_24const_host_device_scalarIT0_EES1_PKS1_PKT1_SA_S7_PKT3_PKT4_S5_PT5_21rocsparse_index_base_b,@function
_ZN9rocsparseL20bsrxmvn_17_32_kernelILj32EfllaafEEvT2_20rocsparse_direction_NS_24const_host_device_scalarIT0_EES1_PKS1_PKT1_SA_S7_PKT3_PKT4_S5_PT5_21rocsparse_index_base_b: ; @_ZN9rocsparseL20bsrxmvn_17_32_kernelILj32EfllaafEEvT2_20rocsparse_direction_NS_24const_host_device_scalarIT0_EES1_PKS1_PKT1_SA_S7_PKT3_PKT4_S5_PT5_21rocsparse_index_base_b
; %bb.0:
	s_load_dwordx2 s[12:13], s[4:5], 0x60
	s_load_dwordx2 s[10:11], s[4:5], 0x10
	;; [unrolled: 1-line block ×3, first 2 shown]
	s_waitcnt lgkmcnt(0)
	s_bitcmp1_b32 s13, 0
	s_cselect_b64 s[2:3], -1, 0
	s_xor_b64 s[0:1], s[2:3], -1
	s_and_b64 vcc, exec, s[2:3]
	s_cbranch_vccnz .LBB287_2
; %bb.1:
	s_load_dword s10, s[10:11], 0x0
.LBB287_2:
	s_andn2_b64 vcc, exec, s[0:1]
	s_cbranch_vccnz .LBB287_4
; %bb.3:
	s_load_dword s8, s[8:9], 0x0
.LBB287_4:
	s_waitcnt lgkmcnt(0)
	v_cmp_neq_f32_e64 s[0:1], s10, 0
	v_cmp_neq_f32_e64 s[2:3], s8, 1.0
	s_or_b64 s[0:1], s[0:1], s[2:3]
	s_andn2_b64 vcc, exec, s[0:1]
	s_mov_b32 s7, 0
	s_cbranch_vccnz .LBB287_38
; %bb.5:
	s_load_dwordx4 s[0:3], s[4:5], 0x20
	s_load_dwordx2 s[16:17], s[4:5], 0x30
	s_mov_b32 s13, s7
	s_waitcnt lgkmcnt(0)
	s_cmp_eq_u64 s[0:1], 0
	s_cbranch_scc1 .LBB287_7
; %bb.6:
	s_lshl_b64 s[6:7], s[6:7], 3
	s_add_u32 s0, s0, s6
	s_addc_u32 s1, s1, s7
	s_load_dwordx2 s[0:1], s[0:1], 0x0
	s_waitcnt lgkmcnt(0)
	s_sub_u32 s6, s0, s12
	s_subb_u32 s7, s1, 0
.LBB287_7:
	s_load_dword s9, s[4:5], 0x8
	v_and_b32_e32 v6, 31, v0
	v_mov_b32_e32 v5, 0
	s_waitcnt lgkmcnt(0)
	s_cmp_eq_u32 s9, 1
	s_cselect_b64 s[0:1], -1, 0
	s_cmp_lg_u32 s9, 1
	s_cselect_b64 s[14:15], -1, 0
	s_lshl_b64 s[18:19], s[6:7], 3
	s_add_u32 s20, s2, s18
	s_addc_u32 s21, s3, s19
	s_add_u32 s2, s20, 8
	s_addc_u32 s3, s21, 0
	;; [unrolled: 2-line block ×3, first 2 shown]
	s_cmp_eq_u64 s[16:17], 0
	s_cselect_b32 s23, s3, s11
	s_cselect_b32 s22, s2, s9
	s_load_dwordx2 s[18:19], s[22:23], 0x0
	s_load_dwordx2 s[16:17], s[20:21], 0x0
	;; [unrolled: 1-line block ×3, first 2 shown]
	s_waitcnt lgkmcnt(0)
	v_mov_b32_e32 v1, s18
	v_mov_b32_e32 v2, s19
	v_cmp_ge_i64_e32 vcc, s[16:17], v[1:2]
	s_cbranch_vccnz .LBB287_10
; %bb.8:
	s_load_dwordx4 s[20:23], s[4:5], 0x38
	s_load_dwordx2 s[24:25], s[4:5], 0x48
	s_sub_u32 s18, s18, s12
	v_lshrrev_b32_e32 v1, 5, v0
	s_subb_u32 s19, s19, 0
	v_cndmask_b32_e64 v1, v6, v1, s[0:1]
	s_sub_u32 s0, s16, s12
	s_subb_u32 s1, s17, 0
	s_lshl_b64 s[4:5], s[0:1], 10
	s_waitcnt lgkmcnt(0)
	v_mov_b32_e32 v2, s25
	v_add_co_u32_e32 v7, vcc, s24, v1
	s_add_u32 s4, s22, s4
	v_addc_co_u32_e32 v8, vcc, 0, v2, vcc
	s_addc_u32 s5, s23, s5
	v_mov_b32_e32 v2, s5
	v_add_co_u32_e32 v1, vcc, s4, v0
	s_lshl_b64 s[4:5], s[16:17], 3
	s_lshl_b64 s[16:17], s[12:13], 3
	s_sub_u32 s4, s4, s16
	s_subb_u32 s5, s5, s17
	s_add_u32 s4, s20, s4
	v_mov_b32_e32 v3, s18
	v_mov_b32_e32 v5, 0
	v_addc_co_u32_e32 v2, vcc, 0, v2, vcc
	s_addc_u32 s5, s21, s5
	v_mov_b32_e32 v4, s19
.LBB287_9:                              ; =>This Inner Loop Header: Depth=1
	s_load_dwordx2 s[16:17], s[4:5], 0x0
	global_load_sbyte v11, v[1:2], off
	s_waitcnt lgkmcnt(0)
	s_sub_u32 s16, s16, s12
	s_subb_u32 s17, s17, 0
	s_lshl_b64 s[16:17], s[16:17], 5
	v_mov_b32_e32 v10, s17
	v_add_co_u32_e32 v9, vcc, s16, v7
	v_addc_co_u32_e32 v10, vcc, v8, v10, vcc
	global_load_sbyte v9, v[9:10], off
	v_add_co_u32_e32 v1, vcc, 0x400, v1
	s_add_u32 s0, s0, 1
	v_addc_co_u32_e32 v2, vcc, 0, v2, vcc
	s_addc_u32 s1, s1, 0
	v_cmp_lt_i64_e32 vcc, s[0:1], v[3:4]
	s_add_u32 s4, s4, 8
	s_addc_u32 s5, s5, 0
	s_and_b64 vcc, exec, vcc
	s_waitcnt vmcnt(1)
	v_cvt_f32_i32_e32 v10, v11
	s_waitcnt vmcnt(0)
	v_cvt_f32_i32_e32 v9, v9
	v_fmac_f32_e32 v5, v10, v9
	s_cbranch_vccnz .LBB287_9
.LBB287_10:
	v_lshlrev_b32_e32 v1, 2, v0
	s_and_b64 vcc, exec, s[14:15]
	ds_write_b32 v1, v5
	s_waitcnt lgkmcnt(0)
	s_barrier
	s_cbranch_vccz .LBB287_22
; %bb.11:
	v_cmp_gt_u32_e32 vcc, 16, v6
	s_and_saveexec_b64 s[0:1], vcc
	s_cbranch_execz .LBB287_13
; %bb.12:
	ds_read2_b32 v[2:3], v1 offset1:16
	s_waitcnt lgkmcnt(0)
	v_add_f32_e32 v2, v3, v2
	ds_write_b32 v1, v2
.LBB287_13:
	s_or_b64 exec, exec, s[0:1]
	v_cmp_gt_u32_e32 vcc, 8, v6
	s_waitcnt lgkmcnt(0)
	s_barrier
	s_and_saveexec_b64 s[0:1], vcc
	s_cbranch_execz .LBB287_15
; %bb.14:
	ds_read2_b32 v[2:3], v1 offset1:8
	s_waitcnt lgkmcnt(0)
	v_add_f32_e32 v2, v3, v2
	ds_write_b32 v1, v2
.LBB287_15:
	s_or_b64 exec, exec, s[0:1]
	v_cmp_gt_u32_e32 vcc, 4, v6
	s_waitcnt lgkmcnt(0)
	s_barrier
	;; [unrolled: 12-line block ×3, first 2 shown]
	s_and_saveexec_b64 s[0:1], vcc
	s_cbranch_execz .LBB287_19
; %bb.18:
	ds_read2_b32 v[2:3], v1 offset1:2
	s_waitcnt lgkmcnt(0)
	v_add_f32_e32 v2, v3, v2
	ds_write_b32 v1, v2
.LBB287_19:
	s_or_b64 exec, exec, s[0:1]
	v_cmp_gt_u32_e32 vcc, 32, v0
	v_mov_b32_e32 v2, v5
	s_waitcnt lgkmcnt(0)
	s_barrier
	s_and_saveexec_b64 s[0:1], vcc
	s_cbranch_execz .LBB287_21
; %bb.20:
	s_movk_i32 s4, 0x7c
	v_mad_u32_u24 v2, v0, s4, v1
	ds_read_b64 v[2:3], v2
	s_waitcnt lgkmcnt(0)
	v_add_f32_e32 v2, v2, v3
.LBB287_21:
	s_or_b64 exec, exec, s[0:1]
	s_branch .LBB287_34
.LBB287_22:
                                        ; implicit-def: $vgpr2
	s_cbranch_execz .LBB287_34
; %bb.23:
	s_movk_i32 s0, 0x200
	v_cmp_gt_u32_e32 vcc, s0, v0
	s_and_saveexec_b64 s[0:1], vcc
	s_cbranch_execz .LBB287_25
; %bb.24:
	ds_read2st64_b32 v[2:3], v1 offset1:8
	s_waitcnt lgkmcnt(0)
	v_add_f32_e32 v2, v3, v2
	ds_write_b32 v1, v2
.LBB287_25:
	s_or_b64 exec, exec, s[0:1]
	s_movk_i32 s0, 0x100
	v_cmp_gt_u32_e32 vcc, s0, v0
	s_waitcnt lgkmcnt(0)
	s_barrier
	s_and_saveexec_b64 s[0:1], vcc
	s_cbranch_execz .LBB287_27
; %bb.26:
	ds_read2st64_b32 v[2:3], v1 offset1:4
	s_waitcnt lgkmcnt(0)
	v_add_f32_e32 v2, v3, v2
	ds_write_b32 v1, v2
.LBB287_27:
	s_or_b64 exec, exec, s[0:1]
	s_movk_i32 s0, 0x80
	v_cmp_gt_u32_e32 vcc, s0, v0
	s_waitcnt lgkmcnt(0)
	s_barrier
	s_and_saveexec_b64 s[0:1], vcc
	s_cbranch_execz .LBB287_29
; %bb.28:
	ds_read2st64_b32 v[2:3], v1 offset1:2
	s_waitcnt lgkmcnt(0)
	v_add_f32_e32 v2, v3, v2
	ds_write_b32 v1, v2
.LBB287_29:
	s_or_b64 exec, exec, s[0:1]
	v_cmp_gt_u32_e32 vcc, 64, v0
	s_waitcnt lgkmcnt(0)
	s_barrier
	s_and_saveexec_b64 s[0:1], vcc
	s_cbranch_execz .LBB287_31
; %bb.30:
	ds_read2st64_b32 v[2:3], v1 offset1:1
	s_waitcnt lgkmcnt(0)
	v_add_f32_e32 v2, v3, v2
	ds_write_b32 v1, v2
.LBB287_31:
	s_or_b64 exec, exec, s[0:1]
	v_cmp_gt_u32_e32 vcc, 32, v0
	s_waitcnt lgkmcnt(0)
	s_and_saveexec_b64 s[0:1], vcc
	s_cbranch_execz .LBB287_33
; %bb.32:
	ds_read2_b32 v[2:3], v1 offset1:32
	s_waitcnt lgkmcnt(0)
	v_add_f32_e32 v5, v2, v3
.LBB287_33:
	s_or_b64 exec, exec, s[0:1]
	v_mov_b32_e32 v2, v5
.LBB287_34:
	v_cmp_gt_u32_e32 vcc, 32, v0
	s_and_saveexec_b64 s[0:1], vcc
	s_cbranch_execz .LBB287_38
; %bb.35:
	v_cmp_eq_f32_e64 s[0:1], s8, 0
	s_and_b64 vcc, exec, s[0:1]
	v_mul_f32_e32 v0, s10, v2
	s_cbranch_vccz .LBB287_39
; %bb.36:
	s_lshl_b64 s[0:1], s[6:7], 7
	s_add_u32 s0, s2, s0
	s_addc_u32 s1, s3, s1
	global_store_dword v1, v0, s[0:1]
	s_cbranch_execnz .LBB287_38
.LBB287_37:
	s_lshl_b64 s[0:1], s[6:7], 7
	s_add_u32 s0, s2, s0
	s_addc_u32 s1, s3, s1
	global_load_dword v2, v1, s[0:1]
	s_waitcnt vmcnt(0)
	v_fmac_f32_e32 v0, s8, v2
	global_store_dword v1, v0, s[0:1]
.LBB287_38:
	s_endpgm
.LBB287_39:
	s_branch .LBB287_37
	.section	.rodata,"a",@progbits
	.p2align	6, 0x0
	.amdhsa_kernel _ZN9rocsparseL20bsrxmvn_17_32_kernelILj32EfllaafEEvT2_20rocsparse_direction_NS_24const_host_device_scalarIT0_EES1_PKS1_PKT1_SA_S7_PKT3_PKT4_S5_PT5_21rocsparse_index_base_b
		.amdhsa_group_segment_fixed_size 4096
		.amdhsa_private_segment_fixed_size 0
		.amdhsa_kernarg_size 104
		.amdhsa_user_sgpr_count 6
		.amdhsa_user_sgpr_private_segment_buffer 1
		.amdhsa_user_sgpr_dispatch_ptr 0
		.amdhsa_user_sgpr_queue_ptr 0
		.amdhsa_user_sgpr_kernarg_segment_ptr 1
		.amdhsa_user_sgpr_dispatch_id 0
		.amdhsa_user_sgpr_flat_scratch_init 0
		.amdhsa_user_sgpr_private_segment_size 0
		.amdhsa_uses_dynamic_stack 0
		.amdhsa_system_sgpr_private_segment_wavefront_offset 0
		.amdhsa_system_sgpr_workgroup_id_x 1
		.amdhsa_system_sgpr_workgroup_id_y 0
		.amdhsa_system_sgpr_workgroup_id_z 0
		.amdhsa_system_sgpr_workgroup_info 0
		.amdhsa_system_vgpr_workitem_id 0
		.amdhsa_next_free_vgpr 29
		.amdhsa_next_free_sgpr 61
		.amdhsa_reserve_vcc 1
		.amdhsa_reserve_flat_scratch 0
		.amdhsa_float_round_mode_32 0
		.amdhsa_float_round_mode_16_64 0
		.amdhsa_float_denorm_mode_32 3
		.amdhsa_float_denorm_mode_16_64 3
		.amdhsa_dx10_clamp 1
		.amdhsa_ieee_mode 1
		.amdhsa_fp16_overflow 0
		.amdhsa_exception_fp_ieee_invalid_op 0
		.amdhsa_exception_fp_denorm_src 0
		.amdhsa_exception_fp_ieee_div_zero 0
		.amdhsa_exception_fp_ieee_overflow 0
		.amdhsa_exception_fp_ieee_underflow 0
		.amdhsa_exception_fp_ieee_inexact 0
		.amdhsa_exception_int_div_zero 0
	.end_amdhsa_kernel
	.section	.text._ZN9rocsparseL20bsrxmvn_17_32_kernelILj32EfllaafEEvT2_20rocsparse_direction_NS_24const_host_device_scalarIT0_EES1_PKS1_PKT1_SA_S7_PKT3_PKT4_S5_PT5_21rocsparse_index_base_b,"axG",@progbits,_ZN9rocsparseL20bsrxmvn_17_32_kernelILj32EfllaafEEvT2_20rocsparse_direction_NS_24const_host_device_scalarIT0_EES1_PKS1_PKT1_SA_S7_PKT3_PKT4_S5_PT5_21rocsparse_index_base_b,comdat
.Lfunc_end287:
	.size	_ZN9rocsparseL20bsrxmvn_17_32_kernelILj32EfllaafEEvT2_20rocsparse_direction_NS_24const_host_device_scalarIT0_EES1_PKS1_PKT1_SA_S7_PKT3_PKT4_S5_PT5_21rocsparse_index_base_b, .Lfunc_end287-_ZN9rocsparseL20bsrxmvn_17_32_kernelILj32EfllaafEEvT2_20rocsparse_direction_NS_24const_host_device_scalarIT0_EES1_PKS1_PKT1_SA_S7_PKT3_PKT4_S5_PT5_21rocsparse_index_base_b
                                        ; -- End function
	.set _ZN9rocsparseL20bsrxmvn_17_32_kernelILj32EfllaafEEvT2_20rocsparse_direction_NS_24const_host_device_scalarIT0_EES1_PKS1_PKT1_SA_S7_PKT3_PKT4_S5_PT5_21rocsparse_index_base_b.num_vgpr, 12
	.set _ZN9rocsparseL20bsrxmvn_17_32_kernelILj32EfllaafEEvT2_20rocsparse_direction_NS_24const_host_device_scalarIT0_EES1_PKS1_PKT1_SA_S7_PKT3_PKT4_S5_PT5_21rocsparse_index_base_b.num_agpr, 0
	.set _ZN9rocsparseL20bsrxmvn_17_32_kernelILj32EfllaafEEvT2_20rocsparse_direction_NS_24const_host_device_scalarIT0_EES1_PKS1_PKT1_SA_S7_PKT3_PKT4_S5_PT5_21rocsparse_index_base_b.numbered_sgpr, 26
	.set _ZN9rocsparseL20bsrxmvn_17_32_kernelILj32EfllaafEEvT2_20rocsparse_direction_NS_24const_host_device_scalarIT0_EES1_PKS1_PKT1_SA_S7_PKT3_PKT4_S5_PT5_21rocsparse_index_base_b.num_named_barrier, 0
	.set _ZN9rocsparseL20bsrxmvn_17_32_kernelILj32EfllaafEEvT2_20rocsparse_direction_NS_24const_host_device_scalarIT0_EES1_PKS1_PKT1_SA_S7_PKT3_PKT4_S5_PT5_21rocsparse_index_base_b.private_seg_size, 0
	.set _ZN9rocsparseL20bsrxmvn_17_32_kernelILj32EfllaafEEvT2_20rocsparse_direction_NS_24const_host_device_scalarIT0_EES1_PKS1_PKT1_SA_S7_PKT3_PKT4_S5_PT5_21rocsparse_index_base_b.uses_vcc, 1
	.set _ZN9rocsparseL20bsrxmvn_17_32_kernelILj32EfllaafEEvT2_20rocsparse_direction_NS_24const_host_device_scalarIT0_EES1_PKS1_PKT1_SA_S7_PKT3_PKT4_S5_PT5_21rocsparse_index_base_b.uses_flat_scratch, 0
	.set _ZN9rocsparseL20bsrxmvn_17_32_kernelILj32EfllaafEEvT2_20rocsparse_direction_NS_24const_host_device_scalarIT0_EES1_PKS1_PKT1_SA_S7_PKT3_PKT4_S5_PT5_21rocsparse_index_base_b.has_dyn_sized_stack, 0
	.set _ZN9rocsparseL20bsrxmvn_17_32_kernelILj32EfllaafEEvT2_20rocsparse_direction_NS_24const_host_device_scalarIT0_EES1_PKS1_PKT1_SA_S7_PKT3_PKT4_S5_PT5_21rocsparse_index_base_b.has_recursion, 0
	.set _ZN9rocsparseL20bsrxmvn_17_32_kernelILj32EfllaafEEvT2_20rocsparse_direction_NS_24const_host_device_scalarIT0_EES1_PKS1_PKT1_SA_S7_PKT3_PKT4_S5_PT5_21rocsparse_index_base_b.has_indirect_call, 0
	.section	.AMDGPU.csdata,"",@progbits
; Kernel info:
; codeLenInByte = 1136
; TotalNumSgprs: 30
; NumVgprs: 12
; ScratchSize: 0
; MemoryBound: 0
; FloatMode: 240
; IeeeMode: 1
; LDSByteSize: 4096 bytes/workgroup (compile time only)
; SGPRBlocks: 8
; VGPRBlocks: 7
; NumSGPRsForWavesPerEU: 65
; NumVGPRsForWavesPerEU: 29
; Occupancy: 8
; WaveLimiterHint : 1
; COMPUTE_PGM_RSRC2:SCRATCH_EN: 0
; COMPUTE_PGM_RSRC2:USER_SGPR: 6
; COMPUTE_PGM_RSRC2:TRAP_HANDLER: 0
; COMPUTE_PGM_RSRC2:TGID_X_EN: 1
; COMPUTE_PGM_RSRC2:TGID_Y_EN: 0
; COMPUTE_PGM_RSRC2:TGID_Z_EN: 0
; COMPUTE_PGM_RSRC2:TIDIG_COMP_CNT: 0
	.section	.text._ZN9rocsparseL20bsrxmvn_17_32_kernelILj17EfiiDF16_DF16_fEEvT2_20rocsparse_direction_NS_24const_host_device_scalarIT0_EES1_PKS1_PKT1_SA_S7_PKT3_PKT4_S5_PT5_21rocsparse_index_base_b,"axG",@progbits,_ZN9rocsparseL20bsrxmvn_17_32_kernelILj17EfiiDF16_DF16_fEEvT2_20rocsparse_direction_NS_24const_host_device_scalarIT0_EES1_PKS1_PKT1_SA_S7_PKT3_PKT4_S5_PT5_21rocsparse_index_base_b,comdat
	.globl	_ZN9rocsparseL20bsrxmvn_17_32_kernelILj17EfiiDF16_DF16_fEEvT2_20rocsparse_direction_NS_24const_host_device_scalarIT0_EES1_PKS1_PKT1_SA_S7_PKT3_PKT4_S5_PT5_21rocsparse_index_base_b ; -- Begin function _ZN9rocsparseL20bsrxmvn_17_32_kernelILj17EfiiDF16_DF16_fEEvT2_20rocsparse_direction_NS_24const_host_device_scalarIT0_EES1_PKS1_PKT1_SA_S7_PKT3_PKT4_S5_PT5_21rocsparse_index_base_b
	.p2align	8
	.type	_ZN9rocsparseL20bsrxmvn_17_32_kernelILj17EfiiDF16_DF16_fEEvT2_20rocsparse_direction_NS_24const_host_device_scalarIT0_EES1_PKS1_PKT1_SA_S7_PKT3_PKT4_S5_PT5_21rocsparse_index_base_b,@function
_ZN9rocsparseL20bsrxmvn_17_32_kernelILj17EfiiDF16_DF16_fEEvT2_20rocsparse_direction_NS_24const_host_device_scalarIT0_EES1_PKS1_PKT1_SA_S7_PKT3_PKT4_S5_PT5_21rocsparse_index_base_b: ; @_ZN9rocsparseL20bsrxmvn_17_32_kernelILj17EfiiDF16_DF16_fEEvT2_20rocsparse_direction_NS_24const_host_device_scalarIT0_EES1_PKS1_PKT1_SA_S7_PKT3_PKT4_S5_PT5_21rocsparse_index_base_b
; %bb.0:
	s_load_dwordx2 s[14:15], s[4:5], 0x58
	s_load_dwordx2 s[10:11], s[4:5], 0x8
	;; [unrolled: 1-line block ×3, first 2 shown]
	s_waitcnt lgkmcnt(0)
	s_bitcmp1_b32 s15, 0
	s_cselect_b64 s[2:3], -1, 0
	s_xor_b64 s[0:1], s[2:3], -1
	s_and_b64 vcc, exec, s[2:3]
	s_cbranch_vccnz .LBB288_2
; %bb.1:
	s_load_dword s10, s[10:11], 0x0
.LBB288_2:
	s_andn2_b64 vcc, exec, s[0:1]
	s_cbranch_vccnz .LBB288_4
; %bb.3:
	s_load_dword s8, s[8:9], 0x0
.LBB288_4:
	s_waitcnt lgkmcnt(0)
	v_cmp_neq_f32_e64 s[0:1], s10, 0
	v_cmp_neq_f32_e64 s[2:3], s8, 1.0
	s_or_b64 s[0:1], s[0:1], s[2:3]
	s_andn2_b64 vcc, exec, s[0:1]
	s_cbranch_vccnz .LBB288_40
; %bb.5:
	s_load_dwordx4 s[0:3], s[4:5], 0x18
	s_load_dwordx2 s[18:19], s[4:5], 0x28
	s_waitcnt lgkmcnt(0)
	s_cmp_eq_u64 s[0:1], 0
	s_cbranch_scc1 .LBB288_7
; %bb.6:
	s_ashr_i32 s7, s6, 31
	s_lshl_b64 s[6:7], s[6:7], 2
	s_add_u32 s0, s0, s6
	s_addc_u32 s1, s1, s7
	s_load_dword s0, s[0:1], 0x0
	s_waitcnt lgkmcnt(0)
	s_sub_i32 s6, s0, s14
.LBB288_7:
	s_load_dword s0, s[4:5], 0x4
	s_load_dwordx2 s[12:13], s[4:5], 0x50
	v_mul_u32_u24_e32 v1, 0xf10, v0
	v_mov_b32_e32 v2, 17
	v_mul_lo_u16_sdwa v2, v1, v2 dst_sel:DWORD dst_unused:UNUSED_PAD src0_sel:WORD_1 src1_sel:DWORD
	s_waitcnt lgkmcnt(0)
	s_cmp_eq_u32 s0, 1
	s_cselect_b64 vcc, -1, 0
	s_cmp_lg_u32 s0, 1
	s_cselect_b64 s[16:17], -1, 0
	s_ashr_i32 s7, s6, 31
	s_lshl_b64 s[0:1], s[6:7], 2
	s_add_u32 s2, s2, s0
	s_addc_u32 s3, s3, s1
	s_load_dword s7, s[2:3], 0x0
	s_add_u32 s2, s2, 4
	s_addc_u32 s3, s3, 0
	s_add_u32 s0, s18, s0
	s_addc_u32 s1, s19, s1
	s_cmp_eq_u64 s[18:19], 0
	s_cselect_b32 s1, s3, s1
	s_cselect_b32 s0, s2, s0
	s_load_dword s9, s[0:1], 0x0
	v_sub_u16_e32 v7, v0, v2
	v_mov_b32_e32 v6, 0
	s_waitcnt lgkmcnt(0)
	s_cmp_ge_i32 s7, s9
	s_cbranch_scc1 .LBB288_12
; %bb.8:
	s_load_dwordx4 s[0:3], s[4:5], 0x30
	s_load_dwordx2 s[18:19], s[4:5], 0x40
	v_mov_b32_e32 v2, 31
	v_mul_lo_u16_sdwa v2, v1, v2 dst_sel:DWORD dst_unused:UNUSED_PAD src0_sel:WORD_1 src1_sel:DWORD
	v_lshrrev_b16_e32 v2, 9, v2
	s_sub_i32 s5, s7, s14
	s_sub_i32 s4, s9, s14
	v_mul_lo_u16_e32 v2, 17, v2
	s_mul_i32 s9, s5, 0x242
	v_sub_u16_sdwa v1, v1, v2 dst_sel:DWORD dst_unused:UNUSED_PAD src0_sel:WORD_1 src1_sel:DWORD
	s_mul_hi_i32 s7, s5, 0x242
	s_waitcnt lgkmcnt(0)
	s_add_u32 s2, s2, s9
	v_and_b32_e32 v1, 0xff, v1
	s_addc_u32 s3, s3, s7
	v_lshlrev_b32_e32 v2, 1, v0
	v_cndmask_b32_e32 v1, v7, v1, vcc
	v_mov_b32_e32 v3, s3
	v_add_co_u32_e32 v2, vcc, s2, v2
	s_movk_i32 s2, 0xe3
	v_mov_b32_e32 v6, 0
	v_addc_co_u32_e32 v3, vcc, 0, v3, vcc
	v_mul_u32_u24_sdwa v8, v0, s2 dst_sel:DWORD dst_unused:UNUSED_PAD src0_sel:WORD_0 src1_sel:DWORD
	s_branch .LBB288_10
.LBB288_9:                              ;   in Loop: Header=BB288_10 Depth=1
	s_or_b64 exec, exec, s[2:3]
	s_add_i32 s5, s5, 1
	s_cmp_lt_i32 s5, s4
	s_cbranch_scc0 .LBB288_12
.LBB288_10:                             ; =>This Inner Loop Header: Depth=1
	v_add_u32_sdwa v4, v8, s5 dst_sel:DWORD dst_unused:UNUSED_PAD src0_sel:WORD_1 src1_sel:DWORD
	v_cmp_gt_i32_e32 vcc, s4, v4
	s_and_saveexec_b64 s[2:3], vcc
	s_cbranch_execz .LBB288_9
; %bb.11:                               ;   in Loop: Header=BB288_10 Depth=1
	v_ashrrev_i32_e32 v5, 31, v4
	v_lshlrev_b64 v[4:5], 2, v[4:5]
	v_mov_b32_e32 v9, s1
	v_add_co_u32_e32 v4, vcc, s0, v4
	v_addc_co_u32_e32 v5, vcc, v9, v5, vcc
	global_load_dword v4, v[4:5], off
	v_mov_b32_e32 v10, s19
	global_load_ushort v9, v[2:3], off
	s_waitcnt vmcnt(1)
	v_subrev_u32_e32 v4, s14, v4
	v_mad_u64_u32 v[4:5], s[20:21], v4, 17, v[1:2]
	v_ashrrev_i32_e32 v5, 31, v4
	v_lshlrev_b64 v[4:5], 1, v[4:5]
	v_add_co_u32_e32 v4, vcc, s18, v4
	v_addc_co_u32_e32 v5, vcc, v10, v5, vcc
	global_load_ushort v4, v[4:5], off
	v_add_co_u32_e32 v2, vcc, 0x242, v2
	v_addc_co_u32_e32 v3, vcc, 0, v3, vcc
	s_waitcnt vmcnt(0)
	v_fma_mix_f32 v6, v9, v4, v6 op_sel_hi:[1,1,0]
	s_branch .LBB288_9
.LBB288_12:
	v_lshlrev_b32_e32 v1, 2, v0
	s_and_b64 vcc, exec, s[16:17]
	ds_write_b32 v1, v6
	s_waitcnt lgkmcnt(0)
	s_barrier
	s_cbranch_vccz .LBB288_24
; %bb.13:
	v_cmp_eq_u16_e32 vcc, 0, v7
	s_and_saveexec_b64 s[0:1], vcc
	s_cbranch_execz .LBB288_15
; %bb.14:
	ds_read2_b32 v[2:3], v1 offset1:16
	s_waitcnt lgkmcnt(0)
	v_add_f32_e32 v2, v3, v2
	ds_write_b32 v1, v2
.LBB288_15:
	s_or_b64 exec, exec, s[0:1]
	v_cmp_gt_u16_e32 vcc, 8, v7
	s_waitcnt lgkmcnt(0)
	s_barrier
	s_and_saveexec_b64 s[0:1], vcc
	s_cbranch_execz .LBB288_17
; %bb.16:
	ds_read2_b32 v[2:3], v1 offset1:8
	s_waitcnt lgkmcnt(0)
	v_add_f32_e32 v2, v3, v2
	ds_write_b32 v1, v2
.LBB288_17:
	s_or_b64 exec, exec, s[0:1]
	v_cmp_gt_u16_e32 vcc, 4, v7
	s_waitcnt lgkmcnt(0)
	s_barrier
	;; [unrolled: 12-line block ×3, first 2 shown]
	s_and_saveexec_b64 s[0:1], vcc
	s_cbranch_execz .LBB288_21
; %bb.20:
	ds_read2_b32 v[2:3], v1 offset1:2
	s_waitcnt lgkmcnt(0)
	v_add_f32_e32 v2, v3, v2
	ds_write_b32 v1, v2
.LBB288_21:
	s_or_b64 exec, exec, s[0:1]
	v_cmp_gt_u32_e32 vcc, 17, v0
	v_mov_b32_e32 v2, v6
	s_waitcnt lgkmcnt(0)
	s_barrier
	s_and_saveexec_b64 s[0:1], vcc
	s_cbranch_execz .LBB288_23
; %bb.22:
	v_lshl_add_u32 v2, v0, 6, v1
	ds_read2_b32 v[2:3], v2 offset1:1
	s_waitcnt lgkmcnt(0)
	v_add_f32_e32 v2, v2, v3
.LBB288_23:
	s_or_b64 exec, exec, s[0:1]
	v_cmp_gt_u32_e64 s[0:1], 17, v0
	s_branch .LBB288_36
.LBB288_24:
                                        ; implicit-def: $vgpr2
	v_cmp_gt_u32_e64 s[0:1], 17, v0
	s_cbranch_execz .LBB288_36
; %bb.25:
	s_and_saveexec_b64 s[2:3], s[0:1]
	s_cbranch_execz .LBB288_27
; %bb.26:
	ds_read_b32 v2, v1 offset:1088
	ds_read_b32 v3, v1
	s_waitcnt lgkmcnt(0)
	v_add_f32_e32 v2, v2, v3
	ds_write_b32 v1, v2
.LBB288_27:
	s_or_b64 exec, exec, s[2:3]
	s_movk_i32 s2, 0x88
	v_cmp_gt_u32_e32 vcc, s2, v0
	s_waitcnt lgkmcnt(0)
	s_barrier
	s_and_saveexec_b64 s[2:3], vcc
	s_cbranch_execz .LBB288_29
; %bb.28:
	ds_read2_b32 v[2:3], v1 offset1:136
	s_waitcnt lgkmcnt(0)
	v_add_f32_e32 v2, v3, v2
	ds_write_b32 v1, v2
.LBB288_29:
	s_or_b64 exec, exec, s[2:3]
	s_movk_i32 s2, 0x44
	v_cmp_gt_u32_e32 vcc, s2, v0
	s_waitcnt lgkmcnt(0)
	s_barrier
	s_and_saveexec_b64 s[2:3], vcc
	s_cbranch_execz .LBB288_31
; %bb.30:
	ds_read2_b32 v[2:3], v1 offset1:68
	s_waitcnt lgkmcnt(0)
	v_add_f32_e32 v2, v3, v2
	ds_write_b32 v1, v2
.LBB288_31:
	s_or_b64 exec, exec, s[2:3]
	v_cmp_gt_u32_e32 vcc, 34, v0
	s_waitcnt lgkmcnt(0)
	s_barrier
	s_and_saveexec_b64 s[2:3], vcc
	s_cbranch_execz .LBB288_33
; %bb.32:
	ds_read2_b32 v[2:3], v1 offset1:34
	s_waitcnt lgkmcnt(0)
	v_add_f32_e32 v2, v3, v2
	ds_write_b32 v1, v2
.LBB288_33:
	s_or_b64 exec, exec, s[2:3]
	s_waitcnt lgkmcnt(0)
	s_and_saveexec_b64 s[2:3], s[0:1]
	s_cbranch_execz .LBB288_35
; %bb.34:
	ds_read2_b32 v[1:2], v1 offset1:17
	s_waitcnt lgkmcnt(0)
	v_add_f32_e32 v6, v1, v2
.LBB288_35:
	s_or_b64 exec, exec, s[2:3]
	v_mov_b32_e32 v2, v6
.LBB288_36:
	v_cmp_gt_u32_e32 vcc, 17, v0
	s_and_saveexec_b64 s[0:1], vcc
	s_cbranch_execz .LBB288_40
; %bb.37:
	v_cmp_eq_f32_e64 s[0:1], s8, 0
	s_and_b64 vcc, exec, s[0:1]
	v_mul_f32_e32 v1, s10, v2
	s_cbranch_vccz .LBB288_41
; %bb.38:
	v_mad_u64_u32 v[2:3], s[0:1], s6, 17, v[0:1]
	v_mov_b32_e32 v3, 0
	v_mov_b32_e32 v4, s13
	v_lshlrev_b64 v[2:3], 2, v[2:3]
	v_add_co_u32_e32 v2, vcc, s12, v2
	v_addc_co_u32_e32 v3, vcc, v4, v3, vcc
	global_store_dword v[2:3], v1, off
	s_cbranch_execnz .LBB288_40
.LBB288_39:
	v_mad_u64_u32 v[2:3], s[0:1], s6, 17, v[0:1]
	v_mov_b32_e32 v3, 0
	v_mov_b32_e32 v0, s13
	v_lshlrev_b64 v[2:3], 2, v[2:3]
	v_add_co_u32_e32 v2, vcc, s12, v2
	v_addc_co_u32_e32 v3, vcc, v0, v3, vcc
	global_load_dword v0, v[2:3], off
	s_waitcnt vmcnt(0)
	v_fmac_f32_e32 v1, s8, v0
	global_store_dword v[2:3], v1, off
.LBB288_40:
	s_endpgm
.LBB288_41:
	s_branch .LBB288_39
	.section	.rodata,"a",@progbits
	.p2align	6, 0x0
	.amdhsa_kernel _ZN9rocsparseL20bsrxmvn_17_32_kernelILj17EfiiDF16_DF16_fEEvT2_20rocsparse_direction_NS_24const_host_device_scalarIT0_EES1_PKS1_PKT1_SA_S7_PKT3_PKT4_S5_PT5_21rocsparse_index_base_b
		.amdhsa_group_segment_fixed_size 1156
		.amdhsa_private_segment_fixed_size 0
		.amdhsa_kernarg_size 96
		.amdhsa_user_sgpr_count 6
		.amdhsa_user_sgpr_private_segment_buffer 1
		.amdhsa_user_sgpr_dispatch_ptr 0
		.amdhsa_user_sgpr_queue_ptr 0
		.amdhsa_user_sgpr_kernarg_segment_ptr 1
		.amdhsa_user_sgpr_dispatch_id 0
		.amdhsa_user_sgpr_flat_scratch_init 0
		.amdhsa_user_sgpr_private_segment_size 0
		.amdhsa_uses_dynamic_stack 0
		.amdhsa_system_sgpr_private_segment_wavefront_offset 0
		.amdhsa_system_sgpr_workgroup_id_x 1
		.amdhsa_system_sgpr_workgroup_id_y 0
		.amdhsa_system_sgpr_workgroup_id_z 0
		.amdhsa_system_sgpr_workgroup_info 0
		.amdhsa_system_vgpr_workitem_id 0
		.amdhsa_next_free_vgpr 11
		.amdhsa_next_free_sgpr 22
		.amdhsa_reserve_vcc 1
		.amdhsa_reserve_flat_scratch 0
		.amdhsa_float_round_mode_32 0
		.amdhsa_float_round_mode_16_64 0
		.amdhsa_float_denorm_mode_32 3
		.amdhsa_float_denorm_mode_16_64 3
		.amdhsa_dx10_clamp 1
		.amdhsa_ieee_mode 1
		.amdhsa_fp16_overflow 0
		.amdhsa_exception_fp_ieee_invalid_op 0
		.amdhsa_exception_fp_denorm_src 0
		.amdhsa_exception_fp_ieee_div_zero 0
		.amdhsa_exception_fp_ieee_overflow 0
		.amdhsa_exception_fp_ieee_underflow 0
		.amdhsa_exception_fp_ieee_inexact 0
		.amdhsa_exception_int_div_zero 0
	.end_amdhsa_kernel
	.section	.text._ZN9rocsparseL20bsrxmvn_17_32_kernelILj17EfiiDF16_DF16_fEEvT2_20rocsparse_direction_NS_24const_host_device_scalarIT0_EES1_PKS1_PKT1_SA_S7_PKT3_PKT4_S5_PT5_21rocsparse_index_base_b,"axG",@progbits,_ZN9rocsparseL20bsrxmvn_17_32_kernelILj17EfiiDF16_DF16_fEEvT2_20rocsparse_direction_NS_24const_host_device_scalarIT0_EES1_PKS1_PKT1_SA_S7_PKT3_PKT4_S5_PT5_21rocsparse_index_base_b,comdat
.Lfunc_end288:
	.size	_ZN9rocsparseL20bsrxmvn_17_32_kernelILj17EfiiDF16_DF16_fEEvT2_20rocsparse_direction_NS_24const_host_device_scalarIT0_EES1_PKS1_PKT1_SA_S7_PKT3_PKT4_S5_PT5_21rocsparse_index_base_b, .Lfunc_end288-_ZN9rocsparseL20bsrxmvn_17_32_kernelILj17EfiiDF16_DF16_fEEvT2_20rocsparse_direction_NS_24const_host_device_scalarIT0_EES1_PKS1_PKT1_SA_S7_PKT3_PKT4_S5_PT5_21rocsparse_index_base_b
                                        ; -- End function
	.set _ZN9rocsparseL20bsrxmvn_17_32_kernelILj17EfiiDF16_DF16_fEEvT2_20rocsparse_direction_NS_24const_host_device_scalarIT0_EES1_PKS1_PKT1_SA_S7_PKT3_PKT4_S5_PT5_21rocsparse_index_base_b.num_vgpr, 11
	.set _ZN9rocsparseL20bsrxmvn_17_32_kernelILj17EfiiDF16_DF16_fEEvT2_20rocsparse_direction_NS_24const_host_device_scalarIT0_EES1_PKS1_PKT1_SA_S7_PKT3_PKT4_S5_PT5_21rocsparse_index_base_b.num_agpr, 0
	.set _ZN9rocsparseL20bsrxmvn_17_32_kernelILj17EfiiDF16_DF16_fEEvT2_20rocsparse_direction_NS_24const_host_device_scalarIT0_EES1_PKS1_PKT1_SA_S7_PKT3_PKT4_S5_PT5_21rocsparse_index_base_b.numbered_sgpr, 22
	.set _ZN9rocsparseL20bsrxmvn_17_32_kernelILj17EfiiDF16_DF16_fEEvT2_20rocsparse_direction_NS_24const_host_device_scalarIT0_EES1_PKS1_PKT1_SA_S7_PKT3_PKT4_S5_PT5_21rocsparse_index_base_b.num_named_barrier, 0
	.set _ZN9rocsparseL20bsrxmvn_17_32_kernelILj17EfiiDF16_DF16_fEEvT2_20rocsparse_direction_NS_24const_host_device_scalarIT0_EES1_PKS1_PKT1_SA_S7_PKT3_PKT4_S5_PT5_21rocsparse_index_base_b.private_seg_size, 0
	.set _ZN9rocsparseL20bsrxmvn_17_32_kernelILj17EfiiDF16_DF16_fEEvT2_20rocsparse_direction_NS_24const_host_device_scalarIT0_EES1_PKS1_PKT1_SA_S7_PKT3_PKT4_S5_PT5_21rocsparse_index_base_b.uses_vcc, 1
	.set _ZN9rocsparseL20bsrxmvn_17_32_kernelILj17EfiiDF16_DF16_fEEvT2_20rocsparse_direction_NS_24const_host_device_scalarIT0_EES1_PKS1_PKT1_SA_S7_PKT3_PKT4_S5_PT5_21rocsparse_index_base_b.uses_flat_scratch, 0
	.set _ZN9rocsparseL20bsrxmvn_17_32_kernelILj17EfiiDF16_DF16_fEEvT2_20rocsparse_direction_NS_24const_host_device_scalarIT0_EES1_PKS1_PKT1_SA_S7_PKT3_PKT4_S5_PT5_21rocsparse_index_base_b.has_dyn_sized_stack, 0
	.set _ZN9rocsparseL20bsrxmvn_17_32_kernelILj17EfiiDF16_DF16_fEEvT2_20rocsparse_direction_NS_24const_host_device_scalarIT0_EES1_PKS1_PKT1_SA_S7_PKT3_PKT4_S5_PT5_21rocsparse_index_base_b.has_recursion, 0
	.set _ZN9rocsparseL20bsrxmvn_17_32_kernelILj17EfiiDF16_DF16_fEEvT2_20rocsparse_direction_NS_24const_host_device_scalarIT0_EES1_PKS1_PKT1_SA_S7_PKT3_PKT4_S5_PT5_21rocsparse_index_base_b.has_indirect_call, 0
	.section	.AMDGPU.csdata,"",@progbits
; Kernel info:
; codeLenInByte = 1240
; TotalNumSgprs: 26
; NumVgprs: 11
; ScratchSize: 0
; MemoryBound: 0
; FloatMode: 240
; IeeeMode: 1
; LDSByteSize: 1156 bytes/workgroup (compile time only)
; SGPRBlocks: 3
; VGPRBlocks: 2
; NumSGPRsForWavesPerEU: 26
; NumVGPRsForWavesPerEU: 11
; Occupancy: 10
; WaveLimiterHint : 1
; COMPUTE_PGM_RSRC2:SCRATCH_EN: 0
; COMPUTE_PGM_RSRC2:USER_SGPR: 6
; COMPUTE_PGM_RSRC2:TRAP_HANDLER: 0
; COMPUTE_PGM_RSRC2:TGID_X_EN: 1
; COMPUTE_PGM_RSRC2:TGID_Y_EN: 0
; COMPUTE_PGM_RSRC2:TGID_Z_EN: 0
; COMPUTE_PGM_RSRC2:TIDIG_COMP_CNT: 0
	.section	.text._ZN9rocsparseL20bsrxmvn_17_32_kernelILj18EfiiDF16_DF16_fEEvT2_20rocsparse_direction_NS_24const_host_device_scalarIT0_EES1_PKS1_PKT1_SA_S7_PKT3_PKT4_S5_PT5_21rocsparse_index_base_b,"axG",@progbits,_ZN9rocsparseL20bsrxmvn_17_32_kernelILj18EfiiDF16_DF16_fEEvT2_20rocsparse_direction_NS_24const_host_device_scalarIT0_EES1_PKS1_PKT1_SA_S7_PKT3_PKT4_S5_PT5_21rocsparse_index_base_b,comdat
	.globl	_ZN9rocsparseL20bsrxmvn_17_32_kernelILj18EfiiDF16_DF16_fEEvT2_20rocsparse_direction_NS_24const_host_device_scalarIT0_EES1_PKS1_PKT1_SA_S7_PKT3_PKT4_S5_PT5_21rocsparse_index_base_b ; -- Begin function _ZN9rocsparseL20bsrxmvn_17_32_kernelILj18EfiiDF16_DF16_fEEvT2_20rocsparse_direction_NS_24const_host_device_scalarIT0_EES1_PKS1_PKT1_SA_S7_PKT3_PKT4_S5_PT5_21rocsparse_index_base_b
	.p2align	8
	.type	_ZN9rocsparseL20bsrxmvn_17_32_kernelILj18EfiiDF16_DF16_fEEvT2_20rocsparse_direction_NS_24const_host_device_scalarIT0_EES1_PKS1_PKT1_SA_S7_PKT3_PKT4_S5_PT5_21rocsparse_index_base_b,@function
_ZN9rocsparseL20bsrxmvn_17_32_kernelILj18EfiiDF16_DF16_fEEvT2_20rocsparse_direction_NS_24const_host_device_scalarIT0_EES1_PKS1_PKT1_SA_S7_PKT3_PKT4_S5_PT5_21rocsparse_index_base_b: ; @_ZN9rocsparseL20bsrxmvn_17_32_kernelILj18EfiiDF16_DF16_fEEvT2_20rocsparse_direction_NS_24const_host_device_scalarIT0_EES1_PKS1_PKT1_SA_S7_PKT3_PKT4_S5_PT5_21rocsparse_index_base_b
; %bb.0:
	s_load_dwordx2 s[14:15], s[4:5], 0x58
	s_load_dwordx2 s[10:11], s[4:5], 0x8
	;; [unrolled: 1-line block ×3, first 2 shown]
	s_waitcnt lgkmcnt(0)
	s_bitcmp1_b32 s15, 0
	s_cselect_b64 s[2:3], -1, 0
	s_xor_b64 s[0:1], s[2:3], -1
	s_and_b64 vcc, exec, s[2:3]
	s_cbranch_vccnz .LBB289_2
; %bb.1:
	s_load_dword s10, s[10:11], 0x0
.LBB289_2:
	s_andn2_b64 vcc, exec, s[0:1]
	s_cbranch_vccnz .LBB289_4
; %bb.3:
	s_load_dword s8, s[8:9], 0x0
.LBB289_4:
	s_waitcnt lgkmcnt(0)
	v_cmp_neq_f32_e64 s[0:1], s10, 0
	v_cmp_neq_f32_e64 s[2:3], s8, 1.0
	s_or_b64 s[0:1], s[0:1], s[2:3]
	s_andn2_b64 vcc, exec, s[0:1]
	s_cbranch_vccnz .LBB289_40
; %bb.5:
	s_load_dwordx4 s[0:3], s[4:5], 0x18
	s_load_dwordx2 s[18:19], s[4:5], 0x28
	s_waitcnt lgkmcnt(0)
	s_cmp_eq_u64 s[0:1], 0
	s_cbranch_scc1 .LBB289_7
; %bb.6:
	s_ashr_i32 s7, s6, 31
	s_lshl_b64 s[6:7], s[6:7], 2
	s_add_u32 s0, s0, s6
	s_addc_u32 s1, s1, s7
	s_load_dword s0, s[0:1], 0x0
	s_waitcnt lgkmcnt(0)
	s_sub_i32 s6, s0, s14
.LBB289_7:
	s_load_dword s0, s[4:5], 0x4
	s_load_dwordx2 s[12:13], s[4:5], 0x50
	v_mul_u32_u24_e32 v1, 0xe39, v0
	v_mov_b32_e32 v2, 18
	v_mul_lo_u16_sdwa v3, v1, v2 dst_sel:DWORD dst_unused:UNUSED_PAD src0_sel:WORD_1 src1_sel:DWORD
	s_waitcnt lgkmcnt(0)
	s_cmp_eq_u32 s0, 1
	s_cselect_b64 vcc, -1, 0
	s_cmp_lg_u32 s0, 1
	s_cselect_b64 s[16:17], -1, 0
	s_ashr_i32 s7, s6, 31
	s_lshl_b64 s[0:1], s[6:7], 2
	s_add_u32 s2, s2, s0
	s_addc_u32 s3, s3, s1
	s_load_dword s7, s[2:3], 0x0
	s_add_u32 s2, s2, 4
	s_addc_u32 s3, s3, 0
	s_add_u32 s0, s18, s0
	s_addc_u32 s1, s19, s1
	s_cmp_eq_u64 s[18:19], 0
	s_cselect_b32 s1, s3, s1
	s_cselect_b32 s0, s2, s0
	s_load_dword s9, s[0:1], 0x0
	v_sub_u16_e32 v7, v0, v3
	v_mov_b32_e32 v6, 0
	s_waitcnt lgkmcnt(0)
	s_cmp_ge_i32 s7, s9
	s_cbranch_scc1 .LBB289_12
; %bb.8:
	s_load_dwordx4 s[0:3], s[4:5], 0x30
	s_load_dwordx2 s[18:19], s[4:5], 0x40
	v_mov_b32_e32 v3, 15
	v_mul_lo_u16_sdwa v3, v1, v3 dst_sel:DWORD dst_unused:UNUSED_PAD src0_sel:WORD_1 src1_sel:DWORD
	v_mul_lo_u16_sdwa v2, v3, v2 dst_sel:DWORD dst_unused:UNUSED_PAD src0_sel:BYTE_1 src1_sel:DWORD
	s_sub_i32 s5, s7, s14
	s_sub_i32 s4, s9, s14
	v_sub_u16_sdwa v1, v1, v2 dst_sel:DWORD dst_unused:UNUSED_PAD src0_sel:WORD_1 src1_sel:DWORD
	s_mul_i32 s9, s5, 0x288
	v_and_b32_e32 v1, 0xff, v1
	s_mul_hi_i32 s7, s5, 0x288
	s_waitcnt lgkmcnt(0)
	s_add_u32 s2, s2, s9
	v_lshlrev_b32_e32 v2, 1, v0
	v_cndmask_b32_e32 v1, v7, v1, vcc
	s_addc_u32 s3, s3, s7
	v_add_co_u32_e32 v2, vcc, s2, v2
	s_movk_i32 s2, 0x195
	v_mov_b32_e32 v3, s3
	v_mul_u32_u24_sdwa v4, v0, s2 dst_sel:DWORD dst_unused:UNUSED_PAD src0_sel:WORD_0 src1_sel:DWORD
	v_mov_b32_e32 v6, 0
	v_addc_co_u32_e32 v3, vcc, 0, v3, vcc
	v_lshrrev_b32_e32 v8, 17, v4
	s_branch .LBB289_10
.LBB289_9:                              ;   in Loop: Header=BB289_10 Depth=1
	s_or_b64 exec, exec, s[2:3]
	s_add_i32 s5, s5, 1
	s_cmp_lt_i32 s5, s4
	s_cbranch_scc0 .LBB289_12
.LBB289_10:                             ; =>This Inner Loop Header: Depth=1
	v_add_u32_e32 v4, s5, v8
	v_cmp_gt_i32_e32 vcc, s4, v4
	s_and_saveexec_b64 s[2:3], vcc
	s_cbranch_execz .LBB289_9
; %bb.11:                               ;   in Loop: Header=BB289_10 Depth=1
	v_ashrrev_i32_e32 v5, 31, v4
	v_lshlrev_b64 v[4:5], 2, v[4:5]
	v_mov_b32_e32 v9, s1
	v_add_co_u32_e32 v4, vcc, s0, v4
	v_addc_co_u32_e32 v5, vcc, v9, v5, vcc
	global_load_dword v4, v[4:5], off
	v_mov_b32_e32 v10, s19
	global_load_ushort v9, v[2:3], off
	s_waitcnt vmcnt(1)
	v_subrev_u32_e32 v4, s14, v4
	v_mad_u64_u32 v[4:5], s[20:21], v4, 18, v[1:2]
	v_ashrrev_i32_e32 v5, 31, v4
	v_lshlrev_b64 v[4:5], 1, v[4:5]
	v_add_co_u32_e32 v4, vcc, s18, v4
	v_addc_co_u32_e32 v5, vcc, v10, v5, vcc
	global_load_ushort v4, v[4:5], off
	v_add_co_u32_e32 v2, vcc, 0x288, v2
	v_addc_co_u32_e32 v3, vcc, 0, v3, vcc
	s_waitcnt vmcnt(0)
	v_fma_mix_f32 v6, v9, v4, v6 op_sel_hi:[1,1,0]
	s_branch .LBB289_9
.LBB289_12:
	v_lshlrev_b32_e32 v1, 2, v0
	s_and_b64 vcc, exec, s[16:17]
	ds_write_b32 v1, v6
	s_waitcnt lgkmcnt(0)
	s_barrier
	s_cbranch_vccz .LBB289_24
; %bb.13:
	v_cmp_gt_u16_e32 vcc, 2, v7
	s_and_saveexec_b64 s[0:1], vcc
	s_cbranch_execz .LBB289_15
; %bb.14:
	ds_read2_b32 v[2:3], v1 offset1:16
	s_waitcnt lgkmcnt(0)
	v_add_f32_e32 v2, v3, v2
	ds_write_b32 v1, v2
.LBB289_15:
	s_or_b64 exec, exec, s[0:1]
	v_cmp_gt_u16_e64 s[0:1], 8, v7
	s_waitcnt lgkmcnt(0)
	s_barrier
	s_and_saveexec_b64 s[2:3], s[0:1]
	s_cbranch_execz .LBB289_17
; %bb.16:
	ds_read2_b32 v[2:3], v1 offset1:8
	s_waitcnt lgkmcnt(0)
	v_add_f32_e32 v2, v3, v2
	ds_write_b32 v1, v2
.LBB289_17:
	s_or_b64 exec, exec, s[2:3]
	v_cmp_gt_u16_e64 s[0:1], 4, v7
	s_waitcnt lgkmcnt(0)
	s_barrier
	s_and_saveexec_b64 s[2:3], s[0:1]
	s_cbranch_execz .LBB289_19
; %bb.18:
	ds_read2_b32 v[2:3], v1 offset1:4
	s_waitcnt lgkmcnt(0)
	v_add_f32_e32 v2, v3, v2
	ds_write_b32 v1, v2
.LBB289_19:
	s_or_b64 exec, exec, s[2:3]
	s_waitcnt lgkmcnt(0)
	s_barrier
	s_and_saveexec_b64 s[0:1], vcc
	s_cbranch_execz .LBB289_21
; %bb.20:
	ds_read2_b32 v[2:3], v1 offset1:2
	s_waitcnt lgkmcnt(0)
	v_add_f32_e32 v2, v3, v2
	ds_write_b32 v1, v2
.LBB289_21:
	s_or_b64 exec, exec, s[0:1]
	v_cmp_gt_u32_e32 vcc, 18, v0
	v_mov_b32_e32 v2, v6
	s_waitcnt lgkmcnt(0)
	s_barrier
	s_and_saveexec_b64 s[0:1], vcc
	s_cbranch_execz .LBB289_23
; %bb.22:
	s_movk_i32 s2, 0x44
	v_mad_u32_u24 v2, v0, s2, v1
	ds_read_b64 v[2:3], v2
	s_waitcnt lgkmcnt(0)
	v_add_f32_e32 v2, v2, v3
.LBB289_23:
	s_or_b64 exec, exec, s[0:1]
	s_branch .LBB289_36
.LBB289_24:
                                        ; implicit-def: $vgpr2
	s_cbranch_execz .LBB289_36
; %bb.25:
	v_cmp_gt_u32_e32 vcc, 36, v0
	s_and_saveexec_b64 s[0:1], vcc
	s_cbranch_execz .LBB289_27
; %bb.26:
	ds_read_b32 v2, v1 offset:1152
	ds_read_b32 v3, v1
	s_waitcnt lgkmcnt(0)
	v_add_f32_e32 v2, v2, v3
	ds_write_b32 v1, v2
.LBB289_27:
	s_or_b64 exec, exec, s[0:1]
	s_movk_i32 s0, 0x90
	v_cmp_gt_u32_e64 s[0:1], s0, v0
	s_waitcnt lgkmcnt(0)
	s_barrier
	s_and_saveexec_b64 s[2:3], s[0:1]
	s_cbranch_execz .LBB289_29
; %bb.28:
	ds_read2_b32 v[2:3], v1 offset1:144
	s_waitcnt lgkmcnt(0)
	v_add_f32_e32 v2, v3, v2
	ds_write_b32 v1, v2
.LBB289_29:
	s_or_b64 exec, exec, s[2:3]
	s_movk_i32 s0, 0x48
	v_cmp_gt_u32_e64 s[0:1], s0, v0
	s_waitcnt lgkmcnt(0)
	s_barrier
	s_and_saveexec_b64 s[2:3], s[0:1]
	s_cbranch_execz .LBB289_31
; %bb.30:
	ds_read2_b32 v[2:3], v1 offset1:72
	s_waitcnt lgkmcnt(0)
	v_add_f32_e32 v2, v3, v2
	ds_write_b32 v1, v2
.LBB289_31:
	s_or_b64 exec, exec, s[2:3]
	s_waitcnt lgkmcnt(0)
	s_barrier
	s_and_saveexec_b64 s[0:1], vcc
	s_cbranch_execz .LBB289_33
; %bb.32:
	ds_read2_b32 v[2:3], v1 offset1:36
	s_waitcnt lgkmcnt(0)
	v_add_f32_e32 v2, v3, v2
	ds_write_b32 v1, v2
.LBB289_33:
	s_or_b64 exec, exec, s[0:1]
	v_cmp_gt_u32_e32 vcc, 18, v0
	s_waitcnt lgkmcnt(0)
	s_and_saveexec_b64 s[0:1], vcc
	s_cbranch_execz .LBB289_35
; %bb.34:
	ds_read2_b32 v[1:2], v1 offset1:18
	s_waitcnt lgkmcnt(0)
	v_add_f32_e32 v6, v1, v2
.LBB289_35:
	s_or_b64 exec, exec, s[0:1]
	v_mov_b32_e32 v2, v6
.LBB289_36:
	v_cmp_gt_u32_e32 vcc, 18, v0
	s_and_saveexec_b64 s[0:1], vcc
	s_cbranch_execz .LBB289_40
; %bb.37:
	v_cmp_eq_f32_e64 s[0:1], s8, 0
	s_and_b64 vcc, exec, s[0:1]
	v_mul_f32_e32 v1, s10, v2
	s_cbranch_vccz .LBB289_41
; %bb.38:
	v_mad_u64_u32 v[2:3], s[0:1], s6, 18, v[0:1]
	v_mov_b32_e32 v3, 0
	v_mov_b32_e32 v4, s13
	v_lshlrev_b64 v[2:3], 2, v[2:3]
	v_add_co_u32_e32 v2, vcc, s12, v2
	v_addc_co_u32_e32 v3, vcc, v4, v3, vcc
	global_store_dword v[2:3], v1, off
	s_cbranch_execnz .LBB289_40
.LBB289_39:
	v_mad_u64_u32 v[2:3], s[0:1], s6, 18, v[0:1]
	v_mov_b32_e32 v3, 0
	v_mov_b32_e32 v0, s13
	v_lshlrev_b64 v[2:3], 2, v[2:3]
	v_add_co_u32_e32 v2, vcc, s12, v2
	v_addc_co_u32_e32 v3, vcc, v0, v3, vcc
	global_load_dword v0, v[2:3], off
	s_waitcnt vmcnt(0)
	v_fmac_f32_e32 v1, s8, v0
	global_store_dword v[2:3], v1, off
.LBB289_40:
	s_endpgm
.LBB289_41:
	s_branch .LBB289_39
	.section	.rodata,"a",@progbits
	.p2align	6, 0x0
	.amdhsa_kernel _ZN9rocsparseL20bsrxmvn_17_32_kernelILj18EfiiDF16_DF16_fEEvT2_20rocsparse_direction_NS_24const_host_device_scalarIT0_EES1_PKS1_PKT1_SA_S7_PKT3_PKT4_S5_PT5_21rocsparse_index_base_b
		.amdhsa_group_segment_fixed_size 1296
		.amdhsa_private_segment_fixed_size 0
		.amdhsa_kernarg_size 96
		.amdhsa_user_sgpr_count 6
		.amdhsa_user_sgpr_private_segment_buffer 1
		.amdhsa_user_sgpr_dispatch_ptr 0
		.amdhsa_user_sgpr_queue_ptr 0
		.amdhsa_user_sgpr_kernarg_segment_ptr 1
		.amdhsa_user_sgpr_dispatch_id 0
		.amdhsa_user_sgpr_flat_scratch_init 0
		.amdhsa_user_sgpr_private_segment_size 0
		.amdhsa_uses_dynamic_stack 0
		.amdhsa_system_sgpr_private_segment_wavefront_offset 0
		.amdhsa_system_sgpr_workgroup_id_x 1
		.amdhsa_system_sgpr_workgroup_id_y 0
		.amdhsa_system_sgpr_workgroup_id_z 0
		.amdhsa_system_sgpr_workgroup_info 0
		.amdhsa_system_vgpr_workitem_id 0
		.amdhsa_next_free_vgpr 11
		.amdhsa_next_free_sgpr 22
		.amdhsa_reserve_vcc 1
		.amdhsa_reserve_flat_scratch 0
		.amdhsa_float_round_mode_32 0
		.amdhsa_float_round_mode_16_64 0
		.amdhsa_float_denorm_mode_32 3
		.amdhsa_float_denorm_mode_16_64 3
		.amdhsa_dx10_clamp 1
		.amdhsa_ieee_mode 1
		.amdhsa_fp16_overflow 0
		.amdhsa_exception_fp_ieee_invalid_op 0
		.amdhsa_exception_fp_denorm_src 0
		.amdhsa_exception_fp_ieee_div_zero 0
		.amdhsa_exception_fp_ieee_overflow 0
		.amdhsa_exception_fp_ieee_underflow 0
		.amdhsa_exception_fp_ieee_inexact 0
		.amdhsa_exception_int_div_zero 0
	.end_amdhsa_kernel
	.section	.text._ZN9rocsparseL20bsrxmvn_17_32_kernelILj18EfiiDF16_DF16_fEEvT2_20rocsparse_direction_NS_24const_host_device_scalarIT0_EES1_PKS1_PKT1_SA_S7_PKT3_PKT4_S5_PT5_21rocsparse_index_base_b,"axG",@progbits,_ZN9rocsparseL20bsrxmvn_17_32_kernelILj18EfiiDF16_DF16_fEEvT2_20rocsparse_direction_NS_24const_host_device_scalarIT0_EES1_PKS1_PKT1_SA_S7_PKT3_PKT4_S5_PT5_21rocsparse_index_base_b,comdat
.Lfunc_end289:
	.size	_ZN9rocsparseL20bsrxmvn_17_32_kernelILj18EfiiDF16_DF16_fEEvT2_20rocsparse_direction_NS_24const_host_device_scalarIT0_EES1_PKS1_PKT1_SA_S7_PKT3_PKT4_S5_PT5_21rocsparse_index_base_b, .Lfunc_end289-_ZN9rocsparseL20bsrxmvn_17_32_kernelILj18EfiiDF16_DF16_fEEvT2_20rocsparse_direction_NS_24const_host_device_scalarIT0_EES1_PKS1_PKT1_SA_S7_PKT3_PKT4_S5_PT5_21rocsparse_index_base_b
                                        ; -- End function
	.set _ZN9rocsparseL20bsrxmvn_17_32_kernelILj18EfiiDF16_DF16_fEEvT2_20rocsparse_direction_NS_24const_host_device_scalarIT0_EES1_PKS1_PKT1_SA_S7_PKT3_PKT4_S5_PT5_21rocsparse_index_base_b.num_vgpr, 11
	.set _ZN9rocsparseL20bsrxmvn_17_32_kernelILj18EfiiDF16_DF16_fEEvT2_20rocsparse_direction_NS_24const_host_device_scalarIT0_EES1_PKS1_PKT1_SA_S7_PKT3_PKT4_S5_PT5_21rocsparse_index_base_b.num_agpr, 0
	.set _ZN9rocsparseL20bsrxmvn_17_32_kernelILj18EfiiDF16_DF16_fEEvT2_20rocsparse_direction_NS_24const_host_device_scalarIT0_EES1_PKS1_PKT1_SA_S7_PKT3_PKT4_S5_PT5_21rocsparse_index_base_b.numbered_sgpr, 22
	.set _ZN9rocsparseL20bsrxmvn_17_32_kernelILj18EfiiDF16_DF16_fEEvT2_20rocsparse_direction_NS_24const_host_device_scalarIT0_EES1_PKS1_PKT1_SA_S7_PKT3_PKT4_S5_PT5_21rocsparse_index_base_b.num_named_barrier, 0
	.set _ZN9rocsparseL20bsrxmvn_17_32_kernelILj18EfiiDF16_DF16_fEEvT2_20rocsparse_direction_NS_24const_host_device_scalarIT0_EES1_PKS1_PKT1_SA_S7_PKT3_PKT4_S5_PT5_21rocsparse_index_base_b.private_seg_size, 0
	.set _ZN9rocsparseL20bsrxmvn_17_32_kernelILj18EfiiDF16_DF16_fEEvT2_20rocsparse_direction_NS_24const_host_device_scalarIT0_EES1_PKS1_PKT1_SA_S7_PKT3_PKT4_S5_PT5_21rocsparse_index_base_b.uses_vcc, 1
	.set _ZN9rocsparseL20bsrxmvn_17_32_kernelILj18EfiiDF16_DF16_fEEvT2_20rocsparse_direction_NS_24const_host_device_scalarIT0_EES1_PKS1_PKT1_SA_S7_PKT3_PKT4_S5_PT5_21rocsparse_index_base_b.uses_flat_scratch, 0
	.set _ZN9rocsparseL20bsrxmvn_17_32_kernelILj18EfiiDF16_DF16_fEEvT2_20rocsparse_direction_NS_24const_host_device_scalarIT0_EES1_PKS1_PKT1_SA_S7_PKT3_PKT4_S5_PT5_21rocsparse_index_base_b.has_dyn_sized_stack, 0
	.set _ZN9rocsparseL20bsrxmvn_17_32_kernelILj18EfiiDF16_DF16_fEEvT2_20rocsparse_direction_NS_24const_host_device_scalarIT0_EES1_PKS1_PKT1_SA_S7_PKT3_PKT4_S5_PT5_21rocsparse_index_base_b.has_recursion, 0
	.set _ZN9rocsparseL20bsrxmvn_17_32_kernelILj18EfiiDF16_DF16_fEEvT2_20rocsparse_direction_NS_24const_host_device_scalarIT0_EES1_PKS1_PKT1_SA_S7_PKT3_PKT4_S5_PT5_21rocsparse_index_base_b.has_indirect_call, 0
	.section	.AMDGPU.csdata,"",@progbits
; Kernel info:
; codeLenInByte = 1244
; TotalNumSgprs: 26
; NumVgprs: 11
; ScratchSize: 0
; MemoryBound: 0
; FloatMode: 240
; IeeeMode: 1
; LDSByteSize: 1296 bytes/workgroup (compile time only)
; SGPRBlocks: 3
; VGPRBlocks: 2
; NumSGPRsForWavesPerEU: 26
; NumVGPRsForWavesPerEU: 11
; Occupancy: 10
; WaveLimiterHint : 1
; COMPUTE_PGM_RSRC2:SCRATCH_EN: 0
; COMPUTE_PGM_RSRC2:USER_SGPR: 6
; COMPUTE_PGM_RSRC2:TRAP_HANDLER: 0
; COMPUTE_PGM_RSRC2:TGID_X_EN: 1
; COMPUTE_PGM_RSRC2:TGID_Y_EN: 0
; COMPUTE_PGM_RSRC2:TGID_Z_EN: 0
; COMPUTE_PGM_RSRC2:TIDIG_COMP_CNT: 0
	.section	.text._ZN9rocsparseL20bsrxmvn_17_32_kernelILj19EfiiDF16_DF16_fEEvT2_20rocsparse_direction_NS_24const_host_device_scalarIT0_EES1_PKS1_PKT1_SA_S7_PKT3_PKT4_S5_PT5_21rocsparse_index_base_b,"axG",@progbits,_ZN9rocsparseL20bsrxmvn_17_32_kernelILj19EfiiDF16_DF16_fEEvT2_20rocsparse_direction_NS_24const_host_device_scalarIT0_EES1_PKS1_PKT1_SA_S7_PKT3_PKT4_S5_PT5_21rocsparse_index_base_b,comdat
	.globl	_ZN9rocsparseL20bsrxmvn_17_32_kernelILj19EfiiDF16_DF16_fEEvT2_20rocsparse_direction_NS_24const_host_device_scalarIT0_EES1_PKS1_PKT1_SA_S7_PKT3_PKT4_S5_PT5_21rocsparse_index_base_b ; -- Begin function _ZN9rocsparseL20bsrxmvn_17_32_kernelILj19EfiiDF16_DF16_fEEvT2_20rocsparse_direction_NS_24const_host_device_scalarIT0_EES1_PKS1_PKT1_SA_S7_PKT3_PKT4_S5_PT5_21rocsparse_index_base_b
	.p2align	8
	.type	_ZN9rocsparseL20bsrxmvn_17_32_kernelILj19EfiiDF16_DF16_fEEvT2_20rocsparse_direction_NS_24const_host_device_scalarIT0_EES1_PKS1_PKT1_SA_S7_PKT3_PKT4_S5_PT5_21rocsparse_index_base_b,@function
_ZN9rocsparseL20bsrxmvn_17_32_kernelILj19EfiiDF16_DF16_fEEvT2_20rocsparse_direction_NS_24const_host_device_scalarIT0_EES1_PKS1_PKT1_SA_S7_PKT3_PKT4_S5_PT5_21rocsparse_index_base_b: ; @_ZN9rocsparseL20bsrxmvn_17_32_kernelILj19EfiiDF16_DF16_fEEvT2_20rocsparse_direction_NS_24const_host_device_scalarIT0_EES1_PKS1_PKT1_SA_S7_PKT3_PKT4_S5_PT5_21rocsparse_index_base_b
; %bb.0:
	s_load_dwordx2 s[14:15], s[4:5], 0x58
	s_load_dwordx2 s[10:11], s[4:5], 0x8
	;; [unrolled: 1-line block ×3, first 2 shown]
	s_waitcnt lgkmcnt(0)
	s_bitcmp1_b32 s15, 0
	s_cselect_b64 s[2:3], -1, 0
	s_xor_b64 s[0:1], s[2:3], -1
	s_and_b64 vcc, exec, s[2:3]
	s_cbranch_vccnz .LBB290_2
; %bb.1:
	s_load_dword s10, s[10:11], 0x0
.LBB290_2:
	s_andn2_b64 vcc, exec, s[0:1]
	s_cbranch_vccnz .LBB290_4
; %bb.3:
	s_load_dword s8, s[8:9], 0x0
.LBB290_4:
	s_waitcnt lgkmcnt(0)
	v_cmp_neq_f32_e64 s[0:1], s10, 0
	v_cmp_neq_f32_e64 s[2:3], s8, 1.0
	s_or_b64 s[0:1], s[0:1], s[2:3]
	s_andn2_b64 vcc, exec, s[0:1]
	s_cbranch_vccnz .LBB290_40
; %bb.5:
	s_load_dwordx4 s[0:3], s[4:5], 0x18
	s_load_dwordx2 s[18:19], s[4:5], 0x28
	s_waitcnt lgkmcnt(0)
	s_cmp_eq_u64 s[0:1], 0
	s_cbranch_scc1 .LBB290_7
; %bb.6:
	s_ashr_i32 s7, s6, 31
	s_lshl_b64 s[6:7], s[6:7], 2
	s_add_u32 s0, s0, s6
	s_addc_u32 s1, s1, s7
	s_load_dword s0, s[0:1], 0x0
	s_waitcnt lgkmcnt(0)
	s_sub_i32 s6, s0, s14
.LBB290_7:
	s_load_dword s0, s[4:5], 0x4
	s_load_dwordx2 s[12:13], s[4:5], 0x50
	v_mul_u32_u24_e32 v1, 0xd7a, v0
	v_mov_b32_e32 v2, 19
	v_mul_lo_u16_sdwa v3, v1, v2 dst_sel:DWORD dst_unused:UNUSED_PAD src0_sel:WORD_1 src1_sel:DWORD
	s_waitcnt lgkmcnt(0)
	s_cmp_eq_u32 s0, 1
	s_cselect_b64 vcc, -1, 0
	s_cmp_lg_u32 s0, 1
	s_cselect_b64 s[16:17], -1, 0
	s_ashr_i32 s7, s6, 31
	s_lshl_b64 s[0:1], s[6:7], 2
	s_add_u32 s2, s2, s0
	s_addc_u32 s3, s3, s1
	s_load_dword s7, s[2:3], 0x0
	s_add_u32 s2, s2, 4
	s_addc_u32 s3, s3, 0
	s_add_u32 s0, s18, s0
	s_addc_u32 s1, s19, s1
	s_cmp_eq_u64 s[18:19], 0
	s_cselect_b32 s1, s3, s1
	s_cselect_b32 s0, s2, s0
	s_load_dword s9, s[0:1], 0x0
	v_sub_u16_e32 v7, v0, v3
	v_mov_b32_e32 v6, 0
	s_waitcnt lgkmcnt(0)
	s_cmp_ge_i32 s7, s9
	s_cbranch_scc1 .LBB290_12
; %bb.8:
	s_load_dwordx4 s[0:3], s[4:5], 0x30
	s_load_dwordx2 s[18:19], s[4:5], 0x40
	v_mov_b32_e32 v3, 14
	v_mul_lo_u16_sdwa v3, v1, v3 dst_sel:DWORD dst_unused:UNUSED_PAD src0_sel:WORD_1 src1_sel:DWORD
	s_sub_i32 s5, s7, s14
	s_sub_i32 s4, s9, s14
	v_mul_lo_u16_sdwa v2, v3, v2 dst_sel:DWORD dst_unused:UNUSED_PAD src0_sel:BYTE_1 src1_sel:DWORD
	s_mul_i32 s9, s5, 0x2d2
	v_sub_u16_sdwa v1, v1, v2 dst_sel:DWORD dst_unused:UNUSED_PAD src0_sel:WORD_1 src1_sel:DWORD
	s_mul_hi_i32 s7, s5, 0x2d2
	s_waitcnt lgkmcnt(0)
	s_add_u32 s2, s2, s9
	v_and_b32_e32 v1, 0xff, v1
	s_addc_u32 s3, s3, s7
	v_lshlrev_b32_e32 v2, 1, v0
	v_cndmask_b32_e32 v1, v7, v1, vcc
	v_mov_b32_e32 v3, s3
	v_add_co_u32_e32 v2, vcc, s2, v2
	s_movk_i32 s2, 0xb6
	v_mov_b32_e32 v6, 0
	v_addc_co_u32_e32 v3, vcc, 0, v3, vcc
	v_mul_u32_u24_sdwa v8, v0, s2 dst_sel:DWORD dst_unused:UNUSED_PAD src0_sel:WORD_0 src1_sel:DWORD
	s_branch .LBB290_10
.LBB290_9:                              ;   in Loop: Header=BB290_10 Depth=1
	s_or_b64 exec, exec, s[2:3]
	s_add_i32 s5, s5, 1
	s_cmp_lt_i32 s5, s4
	s_cbranch_scc0 .LBB290_12
.LBB290_10:                             ; =>This Inner Loop Header: Depth=1
	v_add_u32_sdwa v4, v8, s5 dst_sel:DWORD dst_unused:UNUSED_PAD src0_sel:WORD_1 src1_sel:DWORD
	v_cmp_gt_i32_e32 vcc, s4, v4
	s_and_saveexec_b64 s[2:3], vcc
	s_cbranch_execz .LBB290_9
; %bb.11:                               ;   in Loop: Header=BB290_10 Depth=1
	v_ashrrev_i32_e32 v5, 31, v4
	v_lshlrev_b64 v[4:5], 2, v[4:5]
	v_mov_b32_e32 v9, s1
	v_add_co_u32_e32 v4, vcc, s0, v4
	v_addc_co_u32_e32 v5, vcc, v9, v5, vcc
	global_load_dword v4, v[4:5], off
	v_mov_b32_e32 v10, s19
	global_load_ushort v9, v[2:3], off
	s_waitcnt vmcnt(1)
	v_subrev_u32_e32 v4, s14, v4
	v_mad_u64_u32 v[4:5], s[20:21], v4, 19, v[1:2]
	v_ashrrev_i32_e32 v5, 31, v4
	v_lshlrev_b64 v[4:5], 1, v[4:5]
	v_add_co_u32_e32 v4, vcc, s18, v4
	v_addc_co_u32_e32 v5, vcc, v10, v5, vcc
	global_load_ushort v4, v[4:5], off
	v_add_co_u32_e32 v2, vcc, 0x2d2, v2
	v_addc_co_u32_e32 v3, vcc, 0, v3, vcc
	s_waitcnt vmcnt(0)
	v_fma_mix_f32 v6, v9, v4, v6 op_sel_hi:[1,1,0]
	s_branch .LBB290_9
.LBB290_12:
	v_lshlrev_b32_e32 v1, 2, v0
	s_and_b64 vcc, exec, s[16:17]
	ds_write_b32 v1, v6
	s_waitcnt lgkmcnt(0)
	s_barrier
	s_cbranch_vccz .LBB290_24
; %bb.13:
	v_cmp_gt_u16_e32 vcc, 3, v7
	s_and_saveexec_b64 s[0:1], vcc
	s_cbranch_execz .LBB290_15
; %bb.14:
	ds_read2_b32 v[2:3], v1 offset1:16
	s_waitcnt lgkmcnt(0)
	v_add_f32_e32 v2, v3, v2
	ds_write_b32 v1, v2
.LBB290_15:
	s_or_b64 exec, exec, s[0:1]
	v_cmp_gt_u16_e32 vcc, 8, v7
	s_waitcnt lgkmcnt(0)
	s_barrier
	s_and_saveexec_b64 s[0:1], vcc
	s_cbranch_execz .LBB290_17
; %bb.16:
	ds_read2_b32 v[2:3], v1 offset1:8
	s_waitcnt lgkmcnt(0)
	v_add_f32_e32 v2, v3, v2
	ds_write_b32 v1, v2
.LBB290_17:
	s_or_b64 exec, exec, s[0:1]
	v_cmp_gt_u16_e32 vcc, 4, v7
	s_waitcnt lgkmcnt(0)
	s_barrier
	;; [unrolled: 12-line block ×3, first 2 shown]
	s_and_saveexec_b64 s[0:1], vcc
	s_cbranch_execz .LBB290_21
; %bb.20:
	ds_read2_b32 v[2:3], v1 offset1:2
	s_waitcnt lgkmcnt(0)
	v_add_f32_e32 v2, v3, v2
	ds_write_b32 v1, v2
.LBB290_21:
	s_or_b64 exec, exec, s[0:1]
	v_cmp_gt_u32_e32 vcc, 19, v0
	v_mov_b32_e32 v2, v6
	s_waitcnt lgkmcnt(0)
	s_barrier
	s_and_saveexec_b64 s[0:1], vcc
	s_cbranch_execz .LBB290_23
; %bb.22:
	s_movk_i32 s2, 0x48
	v_mad_u32_u24 v2, v0, s2, v1
	ds_read2_b32 v[2:3], v2 offset1:1
	s_waitcnt lgkmcnt(0)
	v_add_f32_e32 v2, v2, v3
.LBB290_23:
	s_or_b64 exec, exec, s[0:1]
	s_branch .LBB290_36
.LBB290_24:
                                        ; implicit-def: $vgpr2
	s_cbranch_execz .LBB290_36
; %bb.25:
	v_cmp_gt_u32_e32 vcc, 57, v0
	s_and_saveexec_b64 s[0:1], vcc
	s_cbranch_execz .LBB290_27
; %bb.26:
	ds_read_b32 v2, v1 offset:1216
	ds_read_b32 v3, v1
	s_waitcnt lgkmcnt(0)
	v_add_f32_e32 v2, v2, v3
	ds_write_b32 v1, v2
.LBB290_27:
	s_or_b64 exec, exec, s[0:1]
	s_movk_i32 s0, 0x98
	v_cmp_gt_u32_e32 vcc, s0, v0
	s_waitcnt lgkmcnt(0)
	s_barrier
	s_and_saveexec_b64 s[0:1], vcc
	s_cbranch_execz .LBB290_29
; %bb.28:
	ds_read2_b32 v[2:3], v1 offset1:152
	s_waitcnt lgkmcnt(0)
	v_add_f32_e32 v2, v3, v2
	ds_write_b32 v1, v2
.LBB290_29:
	s_or_b64 exec, exec, s[0:1]
	s_movk_i32 s0, 0x4c
	v_cmp_gt_u32_e32 vcc, s0, v0
	s_waitcnt lgkmcnt(0)
	s_barrier
	s_and_saveexec_b64 s[0:1], vcc
	s_cbranch_execz .LBB290_31
; %bb.30:
	ds_read2_b32 v[2:3], v1 offset1:76
	s_waitcnt lgkmcnt(0)
	v_add_f32_e32 v2, v3, v2
	ds_write_b32 v1, v2
.LBB290_31:
	s_or_b64 exec, exec, s[0:1]
	v_cmp_gt_u32_e32 vcc, 38, v0
	s_waitcnt lgkmcnt(0)
	s_barrier
	s_and_saveexec_b64 s[0:1], vcc
	s_cbranch_execz .LBB290_33
; %bb.32:
	ds_read2_b32 v[2:3], v1 offset1:38
	s_waitcnt lgkmcnt(0)
	v_add_f32_e32 v2, v3, v2
	ds_write_b32 v1, v2
.LBB290_33:
	s_or_b64 exec, exec, s[0:1]
	v_cmp_gt_u32_e32 vcc, 19, v0
	s_waitcnt lgkmcnt(0)
	s_and_saveexec_b64 s[0:1], vcc
	s_cbranch_execz .LBB290_35
; %bb.34:
	ds_read2_b32 v[1:2], v1 offset1:19
	s_waitcnt lgkmcnt(0)
	v_add_f32_e32 v6, v1, v2
.LBB290_35:
	s_or_b64 exec, exec, s[0:1]
	v_mov_b32_e32 v2, v6
.LBB290_36:
	v_cmp_gt_u32_e32 vcc, 19, v0
	s_and_saveexec_b64 s[0:1], vcc
	s_cbranch_execz .LBB290_40
; %bb.37:
	v_cmp_eq_f32_e64 s[0:1], s8, 0
	s_and_b64 vcc, exec, s[0:1]
	v_mul_f32_e32 v1, s10, v2
	s_cbranch_vccz .LBB290_41
; %bb.38:
	v_mad_u64_u32 v[2:3], s[0:1], s6, 19, v[0:1]
	v_mov_b32_e32 v3, 0
	v_mov_b32_e32 v4, s13
	v_lshlrev_b64 v[2:3], 2, v[2:3]
	v_add_co_u32_e32 v2, vcc, s12, v2
	v_addc_co_u32_e32 v3, vcc, v4, v3, vcc
	global_store_dword v[2:3], v1, off
	s_cbranch_execnz .LBB290_40
.LBB290_39:
	v_mad_u64_u32 v[2:3], s[0:1], s6, 19, v[0:1]
	v_mov_b32_e32 v3, 0
	v_mov_b32_e32 v0, s13
	v_lshlrev_b64 v[2:3], 2, v[2:3]
	v_add_co_u32_e32 v2, vcc, s12, v2
	v_addc_co_u32_e32 v3, vcc, v0, v3, vcc
	global_load_dword v0, v[2:3], off
	s_waitcnt vmcnt(0)
	v_fmac_f32_e32 v1, s8, v0
	global_store_dword v[2:3], v1, off
.LBB290_40:
	s_endpgm
.LBB290_41:
	s_branch .LBB290_39
	.section	.rodata,"a",@progbits
	.p2align	6, 0x0
	.amdhsa_kernel _ZN9rocsparseL20bsrxmvn_17_32_kernelILj19EfiiDF16_DF16_fEEvT2_20rocsparse_direction_NS_24const_host_device_scalarIT0_EES1_PKS1_PKT1_SA_S7_PKT3_PKT4_S5_PT5_21rocsparse_index_base_b
		.amdhsa_group_segment_fixed_size 1444
		.amdhsa_private_segment_fixed_size 0
		.amdhsa_kernarg_size 96
		.amdhsa_user_sgpr_count 6
		.amdhsa_user_sgpr_private_segment_buffer 1
		.amdhsa_user_sgpr_dispatch_ptr 0
		.amdhsa_user_sgpr_queue_ptr 0
		.amdhsa_user_sgpr_kernarg_segment_ptr 1
		.amdhsa_user_sgpr_dispatch_id 0
		.amdhsa_user_sgpr_flat_scratch_init 0
		.amdhsa_user_sgpr_private_segment_size 0
		.amdhsa_uses_dynamic_stack 0
		.amdhsa_system_sgpr_private_segment_wavefront_offset 0
		.amdhsa_system_sgpr_workgroup_id_x 1
		.amdhsa_system_sgpr_workgroup_id_y 0
		.amdhsa_system_sgpr_workgroup_id_z 0
		.amdhsa_system_sgpr_workgroup_info 0
		.amdhsa_system_vgpr_workitem_id 0
		.amdhsa_next_free_vgpr 11
		.amdhsa_next_free_sgpr 22
		.amdhsa_reserve_vcc 1
		.amdhsa_reserve_flat_scratch 0
		.amdhsa_float_round_mode_32 0
		.amdhsa_float_round_mode_16_64 0
		.amdhsa_float_denorm_mode_32 3
		.amdhsa_float_denorm_mode_16_64 3
		.amdhsa_dx10_clamp 1
		.amdhsa_ieee_mode 1
		.amdhsa_fp16_overflow 0
		.amdhsa_exception_fp_ieee_invalid_op 0
		.amdhsa_exception_fp_denorm_src 0
		.amdhsa_exception_fp_ieee_div_zero 0
		.amdhsa_exception_fp_ieee_overflow 0
		.amdhsa_exception_fp_ieee_underflow 0
		.amdhsa_exception_fp_ieee_inexact 0
		.amdhsa_exception_int_div_zero 0
	.end_amdhsa_kernel
	.section	.text._ZN9rocsparseL20bsrxmvn_17_32_kernelILj19EfiiDF16_DF16_fEEvT2_20rocsparse_direction_NS_24const_host_device_scalarIT0_EES1_PKS1_PKT1_SA_S7_PKT3_PKT4_S5_PT5_21rocsparse_index_base_b,"axG",@progbits,_ZN9rocsparseL20bsrxmvn_17_32_kernelILj19EfiiDF16_DF16_fEEvT2_20rocsparse_direction_NS_24const_host_device_scalarIT0_EES1_PKS1_PKT1_SA_S7_PKT3_PKT4_S5_PT5_21rocsparse_index_base_b,comdat
.Lfunc_end290:
	.size	_ZN9rocsparseL20bsrxmvn_17_32_kernelILj19EfiiDF16_DF16_fEEvT2_20rocsparse_direction_NS_24const_host_device_scalarIT0_EES1_PKS1_PKT1_SA_S7_PKT3_PKT4_S5_PT5_21rocsparse_index_base_b, .Lfunc_end290-_ZN9rocsparseL20bsrxmvn_17_32_kernelILj19EfiiDF16_DF16_fEEvT2_20rocsparse_direction_NS_24const_host_device_scalarIT0_EES1_PKS1_PKT1_SA_S7_PKT3_PKT4_S5_PT5_21rocsparse_index_base_b
                                        ; -- End function
	.set _ZN9rocsparseL20bsrxmvn_17_32_kernelILj19EfiiDF16_DF16_fEEvT2_20rocsparse_direction_NS_24const_host_device_scalarIT0_EES1_PKS1_PKT1_SA_S7_PKT3_PKT4_S5_PT5_21rocsparse_index_base_b.num_vgpr, 11
	.set _ZN9rocsparseL20bsrxmvn_17_32_kernelILj19EfiiDF16_DF16_fEEvT2_20rocsparse_direction_NS_24const_host_device_scalarIT0_EES1_PKS1_PKT1_SA_S7_PKT3_PKT4_S5_PT5_21rocsparse_index_base_b.num_agpr, 0
	.set _ZN9rocsparseL20bsrxmvn_17_32_kernelILj19EfiiDF16_DF16_fEEvT2_20rocsparse_direction_NS_24const_host_device_scalarIT0_EES1_PKS1_PKT1_SA_S7_PKT3_PKT4_S5_PT5_21rocsparse_index_base_b.numbered_sgpr, 22
	.set _ZN9rocsparseL20bsrxmvn_17_32_kernelILj19EfiiDF16_DF16_fEEvT2_20rocsparse_direction_NS_24const_host_device_scalarIT0_EES1_PKS1_PKT1_SA_S7_PKT3_PKT4_S5_PT5_21rocsparse_index_base_b.num_named_barrier, 0
	.set _ZN9rocsparseL20bsrxmvn_17_32_kernelILj19EfiiDF16_DF16_fEEvT2_20rocsparse_direction_NS_24const_host_device_scalarIT0_EES1_PKS1_PKT1_SA_S7_PKT3_PKT4_S5_PT5_21rocsparse_index_base_b.private_seg_size, 0
	.set _ZN9rocsparseL20bsrxmvn_17_32_kernelILj19EfiiDF16_DF16_fEEvT2_20rocsparse_direction_NS_24const_host_device_scalarIT0_EES1_PKS1_PKT1_SA_S7_PKT3_PKT4_S5_PT5_21rocsparse_index_base_b.uses_vcc, 1
	.set _ZN9rocsparseL20bsrxmvn_17_32_kernelILj19EfiiDF16_DF16_fEEvT2_20rocsparse_direction_NS_24const_host_device_scalarIT0_EES1_PKS1_PKT1_SA_S7_PKT3_PKT4_S5_PT5_21rocsparse_index_base_b.uses_flat_scratch, 0
	.set _ZN9rocsparseL20bsrxmvn_17_32_kernelILj19EfiiDF16_DF16_fEEvT2_20rocsparse_direction_NS_24const_host_device_scalarIT0_EES1_PKS1_PKT1_SA_S7_PKT3_PKT4_S5_PT5_21rocsparse_index_base_b.has_dyn_sized_stack, 0
	.set _ZN9rocsparseL20bsrxmvn_17_32_kernelILj19EfiiDF16_DF16_fEEvT2_20rocsparse_direction_NS_24const_host_device_scalarIT0_EES1_PKS1_PKT1_SA_S7_PKT3_PKT4_S5_PT5_21rocsparse_index_base_b.has_recursion, 0
	.set _ZN9rocsparseL20bsrxmvn_17_32_kernelILj19EfiiDF16_DF16_fEEvT2_20rocsparse_direction_NS_24const_host_device_scalarIT0_EES1_PKS1_PKT1_SA_S7_PKT3_PKT4_S5_PT5_21rocsparse_index_base_b.has_indirect_call, 0
	.section	.AMDGPU.csdata,"",@progbits
; Kernel info:
; codeLenInByte = 1236
; TotalNumSgprs: 26
; NumVgprs: 11
; ScratchSize: 0
; MemoryBound: 0
; FloatMode: 240
; IeeeMode: 1
; LDSByteSize: 1444 bytes/workgroup (compile time only)
; SGPRBlocks: 3
; VGPRBlocks: 2
; NumSGPRsForWavesPerEU: 26
; NumVGPRsForWavesPerEU: 11
; Occupancy: 10
; WaveLimiterHint : 1
; COMPUTE_PGM_RSRC2:SCRATCH_EN: 0
; COMPUTE_PGM_RSRC2:USER_SGPR: 6
; COMPUTE_PGM_RSRC2:TRAP_HANDLER: 0
; COMPUTE_PGM_RSRC2:TGID_X_EN: 1
; COMPUTE_PGM_RSRC2:TGID_Y_EN: 0
; COMPUTE_PGM_RSRC2:TGID_Z_EN: 0
; COMPUTE_PGM_RSRC2:TIDIG_COMP_CNT: 0
	.section	.text._ZN9rocsparseL20bsrxmvn_17_32_kernelILj20EfiiDF16_DF16_fEEvT2_20rocsparse_direction_NS_24const_host_device_scalarIT0_EES1_PKS1_PKT1_SA_S7_PKT3_PKT4_S5_PT5_21rocsparse_index_base_b,"axG",@progbits,_ZN9rocsparseL20bsrxmvn_17_32_kernelILj20EfiiDF16_DF16_fEEvT2_20rocsparse_direction_NS_24const_host_device_scalarIT0_EES1_PKS1_PKT1_SA_S7_PKT3_PKT4_S5_PT5_21rocsparse_index_base_b,comdat
	.globl	_ZN9rocsparseL20bsrxmvn_17_32_kernelILj20EfiiDF16_DF16_fEEvT2_20rocsparse_direction_NS_24const_host_device_scalarIT0_EES1_PKS1_PKT1_SA_S7_PKT3_PKT4_S5_PT5_21rocsparse_index_base_b ; -- Begin function _ZN9rocsparseL20bsrxmvn_17_32_kernelILj20EfiiDF16_DF16_fEEvT2_20rocsparse_direction_NS_24const_host_device_scalarIT0_EES1_PKS1_PKT1_SA_S7_PKT3_PKT4_S5_PT5_21rocsparse_index_base_b
	.p2align	8
	.type	_ZN9rocsparseL20bsrxmvn_17_32_kernelILj20EfiiDF16_DF16_fEEvT2_20rocsparse_direction_NS_24const_host_device_scalarIT0_EES1_PKS1_PKT1_SA_S7_PKT3_PKT4_S5_PT5_21rocsparse_index_base_b,@function
_ZN9rocsparseL20bsrxmvn_17_32_kernelILj20EfiiDF16_DF16_fEEvT2_20rocsparse_direction_NS_24const_host_device_scalarIT0_EES1_PKS1_PKT1_SA_S7_PKT3_PKT4_S5_PT5_21rocsparse_index_base_b: ; @_ZN9rocsparseL20bsrxmvn_17_32_kernelILj20EfiiDF16_DF16_fEEvT2_20rocsparse_direction_NS_24const_host_device_scalarIT0_EES1_PKS1_PKT1_SA_S7_PKT3_PKT4_S5_PT5_21rocsparse_index_base_b
; %bb.0:
	s_load_dwordx2 s[14:15], s[4:5], 0x58
	s_load_dwordx2 s[10:11], s[4:5], 0x8
	s_load_dwordx2 s[8:9], s[4:5], 0x48
	s_waitcnt lgkmcnt(0)
	s_bitcmp1_b32 s15, 0
	s_cselect_b64 s[2:3], -1, 0
	s_xor_b64 s[0:1], s[2:3], -1
	s_and_b64 vcc, exec, s[2:3]
	s_cbranch_vccnz .LBB291_2
; %bb.1:
	s_load_dword s10, s[10:11], 0x0
.LBB291_2:
	s_andn2_b64 vcc, exec, s[0:1]
	s_cbranch_vccnz .LBB291_4
; %bb.3:
	s_load_dword s8, s[8:9], 0x0
.LBB291_4:
	s_waitcnt lgkmcnt(0)
	v_cmp_neq_f32_e64 s[0:1], s10, 0
	v_cmp_neq_f32_e64 s[2:3], s8, 1.0
	s_or_b64 s[0:1], s[0:1], s[2:3]
	s_andn2_b64 vcc, exec, s[0:1]
	s_cbranch_vccnz .LBB291_40
; %bb.5:
	s_load_dwordx4 s[0:3], s[4:5], 0x18
	s_load_dwordx2 s[18:19], s[4:5], 0x28
	s_waitcnt lgkmcnt(0)
	s_cmp_eq_u64 s[0:1], 0
	s_cbranch_scc1 .LBB291_7
; %bb.6:
	s_ashr_i32 s7, s6, 31
	s_lshl_b64 s[6:7], s[6:7], 2
	s_add_u32 s0, s0, s6
	s_addc_u32 s1, s1, s7
	s_load_dword s0, s[0:1], 0x0
	s_waitcnt lgkmcnt(0)
	s_sub_i32 s6, s0, s14
.LBB291_7:
	s_load_dword s0, s[4:5], 0x4
	s_load_dwordx2 s[12:13], s[4:5], 0x50
	v_mul_u32_u24_e32 v1, 0xccd, v0
	v_mov_b32_e32 v2, 20
	v_mul_lo_u16_sdwa v3, v1, v2 dst_sel:DWORD dst_unused:UNUSED_PAD src0_sel:WORD_1 src1_sel:DWORD
	s_waitcnt lgkmcnt(0)
	s_cmp_eq_u32 s0, 1
	s_cselect_b64 vcc, -1, 0
	s_cmp_lg_u32 s0, 1
	s_cselect_b64 s[16:17], -1, 0
	s_ashr_i32 s7, s6, 31
	s_lshl_b64 s[0:1], s[6:7], 2
	s_add_u32 s2, s2, s0
	s_addc_u32 s3, s3, s1
	s_load_dword s7, s[2:3], 0x0
	s_add_u32 s2, s2, 4
	s_addc_u32 s3, s3, 0
	s_add_u32 s0, s18, s0
	s_addc_u32 s1, s19, s1
	s_cmp_eq_u64 s[18:19], 0
	s_cselect_b32 s1, s3, s1
	s_cselect_b32 s0, s2, s0
	s_load_dword s9, s[0:1], 0x0
	v_sub_u16_e32 v7, v0, v3
	v_mov_b32_e32 v6, 0
	s_waitcnt lgkmcnt(0)
	s_cmp_ge_i32 s7, s9
	s_cbranch_scc1 .LBB291_12
; %bb.8:
	s_load_dwordx4 s[0:3], s[4:5], 0x30
	s_load_dwordx2 s[18:19], s[4:5], 0x40
	v_mov_b32_e32 v3, 13
	v_mul_lo_u16_sdwa v3, v1, v3 dst_sel:DWORD dst_unused:UNUSED_PAD src0_sel:WORD_1 src1_sel:DWORD
	s_sub_i32 s5, s7, s14
	s_sub_i32 s4, s9, s14
	v_mul_lo_u16_sdwa v2, v3, v2 dst_sel:DWORD dst_unused:UNUSED_PAD src0_sel:BYTE_1 src1_sel:DWORD
	s_mul_i32 s9, s5, 0x320
	v_sub_u16_sdwa v1, v1, v2 dst_sel:DWORD dst_unused:UNUSED_PAD src0_sel:WORD_1 src1_sel:DWORD
	s_mul_hi_i32 s7, s5, 0x320
	s_waitcnt lgkmcnt(0)
	s_add_u32 s2, s2, s9
	v_and_b32_e32 v1, 0xff, v1
	s_addc_u32 s3, s3, s7
	v_lshlrev_b32_e32 v2, 1, v0
	v_cndmask_b32_e32 v1, v7, v1, vcc
	v_mov_b32_e32 v3, s3
	v_add_co_u32_e32 v2, vcc, s2, v2
	s_movk_i32 s2, 0xa4
	v_mov_b32_e32 v6, 0
	v_addc_co_u32_e32 v3, vcc, 0, v3, vcc
	v_mul_u32_u24_sdwa v8, v0, s2 dst_sel:DWORD dst_unused:UNUSED_PAD src0_sel:WORD_0 src1_sel:DWORD
	s_branch .LBB291_10
.LBB291_9:                              ;   in Loop: Header=BB291_10 Depth=1
	s_or_b64 exec, exec, s[2:3]
	s_add_i32 s5, s5, 1
	s_cmp_lt_i32 s5, s4
	s_cbranch_scc0 .LBB291_12
.LBB291_10:                             ; =>This Inner Loop Header: Depth=1
	v_add_u32_sdwa v4, v8, s5 dst_sel:DWORD dst_unused:UNUSED_PAD src0_sel:WORD_1 src1_sel:DWORD
	v_cmp_gt_i32_e32 vcc, s4, v4
	s_and_saveexec_b64 s[2:3], vcc
	s_cbranch_execz .LBB291_9
; %bb.11:                               ;   in Loop: Header=BB291_10 Depth=1
	v_ashrrev_i32_e32 v5, 31, v4
	v_lshlrev_b64 v[4:5], 2, v[4:5]
	v_mov_b32_e32 v9, s1
	v_add_co_u32_e32 v4, vcc, s0, v4
	v_addc_co_u32_e32 v5, vcc, v9, v5, vcc
	global_load_dword v4, v[4:5], off
	v_mov_b32_e32 v10, s19
	global_load_ushort v9, v[2:3], off
	s_waitcnt vmcnt(1)
	v_subrev_u32_e32 v4, s14, v4
	v_mad_u64_u32 v[4:5], s[20:21], v4, 20, v[1:2]
	v_ashrrev_i32_e32 v5, 31, v4
	v_lshlrev_b64 v[4:5], 1, v[4:5]
	v_add_co_u32_e32 v4, vcc, s18, v4
	v_addc_co_u32_e32 v5, vcc, v10, v5, vcc
	global_load_ushort v4, v[4:5], off
	v_add_co_u32_e32 v2, vcc, 0x320, v2
	v_addc_co_u32_e32 v3, vcc, 0, v3, vcc
	s_waitcnt vmcnt(0)
	v_fma_mix_f32 v6, v9, v4, v6 op_sel_hi:[1,1,0]
	s_branch .LBB291_9
.LBB291_12:
	v_lshlrev_b32_e32 v1, 2, v0
	s_and_b64 vcc, exec, s[16:17]
	ds_write_b32 v1, v6
	s_waitcnt lgkmcnt(0)
	s_barrier
	s_cbranch_vccz .LBB291_24
; %bb.13:
	v_cmp_gt_u16_e32 vcc, 4, v7
	s_and_saveexec_b64 s[0:1], vcc
	s_cbranch_execz .LBB291_15
; %bb.14:
	ds_read2_b32 v[2:3], v1 offset1:16
	s_waitcnt lgkmcnt(0)
	v_add_f32_e32 v2, v3, v2
	ds_write_b32 v1, v2
.LBB291_15:
	s_or_b64 exec, exec, s[0:1]
	v_cmp_gt_u16_e64 s[0:1], 8, v7
	s_waitcnt lgkmcnt(0)
	s_barrier
	s_and_saveexec_b64 s[2:3], s[0:1]
	s_cbranch_execz .LBB291_17
; %bb.16:
	ds_read2_b32 v[2:3], v1 offset1:8
	s_waitcnt lgkmcnt(0)
	v_add_f32_e32 v2, v3, v2
	ds_write_b32 v1, v2
.LBB291_17:
	s_or_b64 exec, exec, s[2:3]
	s_waitcnt lgkmcnt(0)
	s_barrier
	s_and_saveexec_b64 s[0:1], vcc
	s_cbranch_execz .LBB291_19
; %bb.18:
	ds_read2_b32 v[2:3], v1 offset1:4
	s_waitcnt lgkmcnt(0)
	v_add_f32_e32 v2, v3, v2
	ds_write_b32 v1, v2
.LBB291_19:
	s_or_b64 exec, exec, s[0:1]
	v_cmp_gt_u16_e32 vcc, 2, v7
	s_waitcnt lgkmcnt(0)
	s_barrier
	s_and_saveexec_b64 s[0:1], vcc
	s_cbranch_execz .LBB291_21
; %bb.20:
	ds_read2_b32 v[2:3], v1 offset1:2
	s_waitcnt lgkmcnt(0)
	v_add_f32_e32 v2, v3, v2
	ds_write_b32 v1, v2
.LBB291_21:
	s_or_b64 exec, exec, s[0:1]
	v_cmp_gt_u32_e32 vcc, 20, v0
	v_mov_b32_e32 v2, v6
	s_waitcnt lgkmcnt(0)
	s_barrier
	s_and_saveexec_b64 s[0:1], vcc
	s_cbranch_execz .LBB291_23
; %bb.22:
	s_movk_i32 s2, 0x4c
	v_mad_u32_u24 v2, v0, s2, v1
	ds_read_b64 v[2:3], v2
	s_waitcnt lgkmcnt(0)
	v_add_f32_e32 v2, v2, v3
.LBB291_23:
	s_or_b64 exec, exec, s[0:1]
	s_branch .LBB291_36
.LBB291_24:
                                        ; implicit-def: $vgpr2
	s_cbranch_execz .LBB291_36
; %bb.25:
	s_movk_i32 s0, 0x50
	v_cmp_gt_u32_e32 vcc, s0, v0
	s_and_saveexec_b64 s[0:1], vcc
	s_cbranch_execz .LBB291_27
; %bb.26:
	ds_read2st64_b32 v[2:3], v1 offset1:5
	s_waitcnt lgkmcnt(0)
	v_add_f32_e32 v2, v3, v2
	ds_write_b32 v1, v2
.LBB291_27:
	s_or_b64 exec, exec, s[0:1]
	s_movk_i32 s0, 0xa0
	v_cmp_gt_u32_e64 s[0:1], s0, v0
	s_waitcnt lgkmcnt(0)
	s_barrier
	s_and_saveexec_b64 s[2:3], s[0:1]
	s_cbranch_execz .LBB291_29
; %bb.28:
	ds_read2_b32 v[2:3], v1 offset1:160
	s_waitcnt lgkmcnt(0)
	v_add_f32_e32 v2, v3, v2
	ds_write_b32 v1, v2
.LBB291_29:
	s_or_b64 exec, exec, s[2:3]
	s_waitcnt lgkmcnt(0)
	s_barrier
	s_and_saveexec_b64 s[0:1], vcc
	s_cbranch_execz .LBB291_31
; %bb.30:
	ds_read2_b32 v[2:3], v1 offset1:80
	s_waitcnt lgkmcnt(0)
	v_add_f32_e32 v2, v3, v2
	ds_write_b32 v1, v2
.LBB291_31:
	s_or_b64 exec, exec, s[0:1]
	v_cmp_gt_u32_e32 vcc, 40, v0
	s_waitcnt lgkmcnt(0)
	s_barrier
	s_and_saveexec_b64 s[0:1], vcc
	s_cbranch_execz .LBB291_33
; %bb.32:
	ds_read2_b32 v[2:3], v1 offset1:40
	s_waitcnt lgkmcnt(0)
	v_add_f32_e32 v2, v3, v2
	ds_write_b32 v1, v2
.LBB291_33:
	s_or_b64 exec, exec, s[0:1]
	v_cmp_gt_u32_e32 vcc, 20, v0
	s_waitcnt lgkmcnt(0)
	s_and_saveexec_b64 s[0:1], vcc
	s_cbranch_execz .LBB291_35
; %bb.34:
	ds_read2_b32 v[1:2], v1 offset1:20
	s_waitcnt lgkmcnt(0)
	v_add_f32_e32 v6, v1, v2
.LBB291_35:
	s_or_b64 exec, exec, s[0:1]
	v_mov_b32_e32 v2, v6
.LBB291_36:
	v_cmp_gt_u32_e32 vcc, 20, v0
	s_and_saveexec_b64 s[0:1], vcc
	s_cbranch_execz .LBB291_40
; %bb.37:
	v_cmp_eq_f32_e64 s[0:1], s8, 0
	s_and_b64 vcc, exec, s[0:1]
	v_mul_f32_e32 v1, s10, v2
	s_cbranch_vccz .LBB291_41
; %bb.38:
	v_mad_u64_u32 v[2:3], s[0:1], s6, 20, v[0:1]
	v_mov_b32_e32 v3, 0
	v_mov_b32_e32 v4, s13
	v_lshlrev_b64 v[2:3], 2, v[2:3]
	v_add_co_u32_e32 v2, vcc, s12, v2
	v_addc_co_u32_e32 v3, vcc, v4, v3, vcc
	global_store_dword v[2:3], v1, off
	s_cbranch_execnz .LBB291_40
.LBB291_39:
	v_mad_u64_u32 v[2:3], s[0:1], s6, 20, v[0:1]
	v_mov_b32_e32 v3, 0
	v_mov_b32_e32 v0, s13
	v_lshlrev_b64 v[2:3], 2, v[2:3]
	v_add_co_u32_e32 v2, vcc, s12, v2
	v_addc_co_u32_e32 v3, vcc, v0, v3, vcc
	global_load_dword v0, v[2:3], off
	s_waitcnt vmcnt(0)
	v_fmac_f32_e32 v1, s8, v0
	global_store_dword v[2:3], v1, off
.LBB291_40:
	s_endpgm
.LBB291_41:
	s_branch .LBB291_39
	.section	.rodata,"a",@progbits
	.p2align	6, 0x0
	.amdhsa_kernel _ZN9rocsparseL20bsrxmvn_17_32_kernelILj20EfiiDF16_DF16_fEEvT2_20rocsparse_direction_NS_24const_host_device_scalarIT0_EES1_PKS1_PKT1_SA_S7_PKT3_PKT4_S5_PT5_21rocsparse_index_base_b
		.amdhsa_group_segment_fixed_size 1600
		.amdhsa_private_segment_fixed_size 0
		.amdhsa_kernarg_size 96
		.amdhsa_user_sgpr_count 6
		.amdhsa_user_sgpr_private_segment_buffer 1
		.amdhsa_user_sgpr_dispatch_ptr 0
		.amdhsa_user_sgpr_queue_ptr 0
		.amdhsa_user_sgpr_kernarg_segment_ptr 1
		.amdhsa_user_sgpr_dispatch_id 0
		.amdhsa_user_sgpr_flat_scratch_init 0
		.amdhsa_user_sgpr_private_segment_size 0
		.amdhsa_uses_dynamic_stack 0
		.amdhsa_system_sgpr_private_segment_wavefront_offset 0
		.amdhsa_system_sgpr_workgroup_id_x 1
		.amdhsa_system_sgpr_workgroup_id_y 0
		.amdhsa_system_sgpr_workgroup_id_z 0
		.amdhsa_system_sgpr_workgroup_info 0
		.amdhsa_system_vgpr_workitem_id 0
		.amdhsa_next_free_vgpr 11
		.amdhsa_next_free_sgpr 22
		.amdhsa_reserve_vcc 1
		.amdhsa_reserve_flat_scratch 0
		.amdhsa_float_round_mode_32 0
		.amdhsa_float_round_mode_16_64 0
		.amdhsa_float_denorm_mode_32 3
		.amdhsa_float_denorm_mode_16_64 3
		.amdhsa_dx10_clamp 1
		.amdhsa_ieee_mode 1
		.amdhsa_fp16_overflow 0
		.amdhsa_exception_fp_ieee_invalid_op 0
		.amdhsa_exception_fp_denorm_src 0
		.amdhsa_exception_fp_ieee_div_zero 0
		.amdhsa_exception_fp_ieee_overflow 0
		.amdhsa_exception_fp_ieee_underflow 0
		.amdhsa_exception_fp_ieee_inexact 0
		.amdhsa_exception_int_div_zero 0
	.end_amdhsa_kernel
	.section	.text._ZN9rocsparseL20bsrxmvn_17_32_kernelILj20EfiiDF16_DF16_fEEvT2_20rocsparse_direction_NS_24const_host_device_scalarIT0_EES1_PKS1_PKT1_SA_S7_PKT3_PKT4_S5_PT5_21rocsparse_index_base_b,"axG",@progbits,_ZN9rocsparseL20bsrxmvn_17_32_kernelILj20EfiiDF16_DF16_fEEvT2_20rocsparse_direction_NS_24const_host_device_scalarIT0_EES1_PKS1_PKT1_SA_S7_PKT3_PKT4_S5_PT5_21rocsparse_index_base_b,comdat
.Lfunc_end291:
	.size	_ZN9rocsparseL20bsrxmvn_17_32_kernelILj20EfiiDF16_DF16_fEEvT2_20rocsparse_direction_NS_24const_host_device_scalarIT0_EES1_PKS1_PKT1_SA_S7_PKT3_PKT4_S5_PT5_21rocsparse_index_base_b, .Lfunc_end291-_ZN9rocsparseL20bsrxmvn_17_32_kernelILj20EfiiDF16_DF16_fEEvT2_20rocsparse_direction_NS_24const_host_device_scalarIT0_EES1_PKS1_PKT1_SA_S7_PKT3_PKT4_S5_PT5_21rocsparse_index_base_b
                                        ; -- End function
	.set _ZN9rocsparseL20bsrxmvn_17_32_kernelILj20EfiiDF16_DF16_fEEvT2_20rocsparse_direction_NS_24const_host_device_scalarIT0_EES1_PKS1_PKT1_SA_S7_PKT3_PKT4_S5_PT5_21rocsparse_index_base_b.num_vgpr, 11
	.set _ZN9rocsparseL20bsrxmvn_17_32_kernelILj20EfiiDF16_DF16_fEEvT2_20rocsparse_direction_NS_24const_host_device_scalarIT0_EES1_PKS1_PKT1_SA_S7_PKT3_PKT4_S5_PT5_21rocsparse_index_base_b.num_agpr, 0
	.set _ZN9rocsparseL20bsrxmvn_17_32_kernelILj20EfiiDF16_DF16_fEEvT2_20rocsparse_direction_NS_24const_host_device_scalarIT0_EES1_PKS1_PKT1_SA_S7_PKT3_PKT4_S5_PT5_21rocsparse_index_base_b.numbered_sgpr, 22
	.set _ZN9rocsparseL20bsrxmvn_17_32_kernelILj20EfiiDF16_DF16_fEEvT2_20rocsparse_direction_NS_24const_host_device_scalarIT0_EES1_PKS1_PKT1_SA_S7_PKT3_PKT4_S5_PT5_21rocsparse_index_base_b.num_named_barrier, 0
	.set _ZN9rocsparseL20bsrxmvn_17_32_kernelILj20EfiiDF16_DF16_fEEvT2_20rocsparse_direction_NS_24const_host_device_scalarIT0_EES1_PKS1_PKT1_SA_S7_PKT3_PKT4_S5_PT5_21rocsparse_index_base_b.private_seg_size, 0
	.set _ZN9rocsparseL20bsrxmvn_17_32_kernelILj20EfiiDF16_DF16_fEEvT2_20rocsparse_direction_NS_24const_host_device_scalarIT0_EES1_PKS1_PKT1_SA_S7_PKT3_PKT4_S5_PT5_21rocsparse_index_base_b.uses_vcc, 1
	.set _ZN9rocsparseL20bsrxmvn_17_32_kernelILj20EfiiDF16_DF16_fEEvT2_20rocsparse_direction_NS_24const_host_device_scalarIT0_EES1_PKS1_PKT1_SA_S7_PKT3_PKT4_S5_PT5_21rocsparse_index_base_b.uses_flat_scratch, 0
	.set _ZN9rocsparseL20bsrxmvn_17_32_kernelILj20EfiiDF16_DF16_fEEvT2_20rocsparse_direction_NS_24const_host_device_scalarIT0_EES1_PKS1_PKT1_SA_S7_PKT3_PKT4_S5_PT5_21rocsparse_index_base_b.has_dyn_sized_stack, 0
	.set _ZN9rocsparseL20bsrxmvn_17_32_kernelILj20EfiiDF16_DF16_fEEvT2_20rocsparse_direction_NS_24const_host_device_scalarIT0_EES1_PKS1_PKT1_SA_S7_PKT3_PKT4_S5_PT5_21rocsparse_index_base_b.has_recursion, 0
	.set _ZN9rocsparseL20bsrxmvn_17_32_kernelILj20EfiiDF16_DF16_fEEvT2_20rocsparse_direction_NS_24const_host_device_scalarIT0_EES1_PKS1_PKT1_SA_S7_PKT3_PKT4_S5_PT5_21rocsparse_index_base_b.has_indirect_call, 0
	.section	.AMDGPU.csdata,"",@progbits
; Kernel info:
; codeLenInByte = 1228
; TotalNumSgprs: 26
; NumVgprs: 11
; ScratchSize: 0
; MemoryBound: 0
; FloatMode: 240
; IeeeMode: 1
; LDSByteSize: 1600 bytes/workgroup (compile time only)
; SGPRBlocks: 3
; VGPRBlocks: 2
; NumSGPRsForWavesPerEU: 26
; NumVGPRsForWavesPerEU: 11
; Occupancy: 10
; WaveLimiterHint : 1
; COMPUTE_PGM_RSRC2:SCRATCH_EN: 0
; COMPUTE_PGM_RSRC2:USER_SGPR: 6
; COMPUTE_PGM_RSRC2:TRAP_HANDLER: 0
; COMPUTE_PGM_RSRC2:TGID_X_EN: 1
; COMPUTE_PGM_RSRC2:TGID_Y_EN: 0
; COMPUTE_PGM_RSRC2:TGID_Z_EN: 0
; COMPUTE_PGM_RSRC2:TIDIG_COMP_CNT: 0
	.section	.text._ZN9rocsparseL20bsrxmvn_17_32_kernelILj21EfiiDF16_DF16_fEEvT2_20rocsparse_direction_NS_24const_host_device_scalarIT0_EES1_PKS1_PKT1_SA_S7_PKT3_PKT4_S5_PT5_21rocsparse_index_base_b,"axG",@progbits,_ZN9rocsparseL20bsrxmvn_17_32_kernelILj21EfiiDF16_DF16_fEEvT2_20rocsparse_direction_NS_24const_host_device_scalarIT0_EES1_PKS1_PKT1_SA_S7_PKT3_PKT4_S5_PT5_21rocsparse_index_base_b,comdat
	.globl	_ZN9rocsparseL20bsrxmvn_17_32_kernelILj21EfiiDF16_DF16_fEEvT2_20rocsparse_direction_NS_24const_host_device_scalarIT0_EES1_PKS1_PKT1_SA_S7_PKT3_PKT4_S5_PT5_21rocsparse_index_base_b ; -- Begin function _ZN9rocsparseL20bsrxmvn_17_32_kernelILj21EfiiDF16_DF16_fEEvT2_20rocsparse_direction_NS_24const_host_device_scalarIT0_EES1_PKS1_PKT1_SA_S7_PKT3_PKT4_S5_PT5_21rocsparse_index_base_b
	.p2align	8
	.type	_ZN9rocsparseL20bsrxmvn_17_32_kernelILj21EfiiDF16_DF16_fEEvT2_20rocsparse_direction_NS_24const_host_device_scalarIT0_EES1_PKS1_PKT1_SA_S7_PKT3_PKT4_S5_PT5_21rocsparse_index_base_b,@function
_ZN9rocsparseL20bsrxmvn_17_32_kernelILj21EfiiDF16_DF16_fEEvT2_20rocsparse_direction_NS_24const_host_device_scalarIT0_EES1_PKS1_PKT1_SA_S7_PKT3_PKT4_S5_PT5_21rocsparse_index_base_b: ; @_ZN9rocsparseL20bsrxmvn_17_32_kernelILj21EfiiDF16_DF16_fEEvT2_20rocsparse_direction_NS_24const_host_device_scalarIT0_EES1_PKS1_PKT1_SA_S7_PKT3_PKT4_S5_PT5_21rocsparse_index_base_b
; %bb.0:
	s_load_dwordx2 s[14:15], s[4:5], 0x58
	s_load_dwordx2 s[10:11], s[4:5], 0x8
	;; [unrolled: 1-line block ×3, first 2 shown]
	s_waitcnt lgkmcnt(0)
	s_bitcmp1_b32 s15, 0
	s_cselect_b64 s[2:3], -1, 0
	s_xor_b64 s[0:1], s[2:3], -1
	s_and_b64 vcc, exec, s[2:3]
	s_cbranch_vccnz .LBB292_2
; %bb.1:
	s_load_dword s10, s[10:11], 0x0
.LBB292_2:
	s_andn2_b64 vcc, exec, s[0:1]
	s_cbranch_vccnz .LBB292_4
; %bb.3:
	s_load_dword s8, s[8:9], 0x0
.LBB292_4:
	s_waitcnt lgkmcnt(0)
	v_cmp_neq_f32_e64 s[0:1], s10, 0
	v_cmp_neq_f32_e64 s[2:3], s8, 1.0
	s_or_b64 s[0:1], s[0:1], s[2:3]
	s_andn2_b64 vcc, exec, s[0:1]
	s_cbranch_vccnz .LBB292_40
; %bb.5:
	s_load_dwordx4 s[0:3], s[4:5], 0x18
	s_load_dwordx2 s[18:19], s[4:5], 0x28
	s_waitcnt lgkmcnt(0)
	s_cmp_eq_u64 s[0:1], 0
	s_cbranch_scc1 .LBB292_7
; %bb.6:
	s_ashr_i32 s7, s6, 31
	s_lshl_b64 s[6:7], s[6:7], 2
	s_add_u32 s0, s0, s6
	s_addc_u32 s1, s1, s7
	s_load_dword s0, s[0:1], 0x0
	s_waitcnt lgkmcnt(0)
	s_sub_i32 s6, s0, s14
.LBB292_7:
	s_load_dword s0, s[4:5], 0x4
	s_load_dwordx2 s[12:13], s[4:5], 0x50
	v_mul_u32_u24_e32 v1, 0xc31, v0
	v_mov_b32_e32 v2, 21
	v_mul_lo_u16_sdwa v2, v1, v2 dst_sel:DWORD dst_unused:UNUSED_PAD src0_sel:WORD_1 src1_sel:DWORD
	s_waitcnt lgkmcnt(0)
	s_cmp_eq_u32 s0, 1
	s_cselect_b64 vcc, -1, 0
	s_cmp_lg_u32 s0, 1
	s_cselect_b64 s[16:17], -1, 0
	s_ashr_i32 s7, s6, 31
	s_lshl_b64 s[0:1], s[6:7], 2
	s_add_u32 s2, s2, s0
	s_addc_u32 s3, s3, s1
	s_load_dword s7, s[2:3], 0x0
	s_add_u32 s2, s2, 4
	s_addc_u32 s3, s3, 0
	s_add_u32 s0, s18, s0
	s_addc_u32 s1, s19, s1
	s_cmp_eq_u64 s[18:19], 0
	s_cselect_b32 s1, s3, s1
	s_cselect_b32 s0, s2, s0
	s_load_dword s9, s[0:1], 0x0
	v_sub_u16_e32 v7, v0, v2
	v_mov_b32_e32 v6, 0
	s_waitcnt lgkmcnt(0)
	s_cmp_ge_i32 s7, s9
	s_cbranch_scc1 .LBB292_12
; %bb.8:
	v_mov_b32_e32 v2, 25
	s_load_dwordx4 s[0:3], s[4:5], 0x30
	s_load_dwordx2 s[18:19], s[4:5], 0x40
	v_mul_lo_u16_sdwa v2, v1, v2 dst_sel:DWORD dst_unused:UNUSED_PAD src0_sel:WORD_1 src1_sel:DWORD
	v_lshrrev_b16_e32 v2, 9, v2
	v_mul_lo_u16_e32 v2, 21, v2
	s_sub_i32 s5, s7, s14
	s_sub_i32 s4, s9, s14
	v_sub_u16_sdwa v1, v1, v2 dst_sel:DWORD dst_unused:UNUSED_PAD src0_sel:WORD_1 src1_sel:DWORD
	s_mul_i32 s9, s5, 0x372
	v_and_b32_e32 v1, 0xff, v1
	s_mul_hi_i32 s7, s5, 0x372
	s_waitcnt lgkmcnt(0)
	s_add_u32 s2, s2, s9
	v_lshlrev_b32_e32 v2, 1, v0
	v_cndmask_b32_e32 v1, v7, v1, vcc
	s_addc_u32 s3, s3, s7
	v_add_co_u32_e32 v2, vcc, s2, v2
	s_movk_i32 s2, 0x253
	v_mov_b32_e32 v3, s3
	v_mul_u32_u24_sdwa v4, v0, s2 dst_sel:DWORD dst_unused:UNUSED_PAD src0_sel:WORD_0 src1_sel:DWORD
	v_mov_b32_e32 v6, 0
	v_addc_co_u32_e32 v3, vcc, 0, v3, vcc
	v_lshrrev_b32_e32 v8, 18, v4
	s_branch .LBB292_10
.LBB292_9:                              ;   in Loop: Header=BB292_10 Depth=1
	s_or_b64 exec, exec, s[2:3]
	s_add_i32 s5, s5, 1
	s_cmp_lt_i32 s5, s4
	s_cbranch_scc0 .LBB292_12
.LBB292_10:                             ; =>This Inner Loop Header: Depth=1
	v_add_u32_e32 v4, s5, v8
	v_cmp_gt_i32_e32 vcc, s4, v4
	s_and_saveexec_b64 s[2:3], vcc
	s_cbranch_execz .LBB292_9
; %bb.11:                               ;   in Loop: Header=BB292_10 Depth=1
	v_ashrrev_i32_e32 v5, 31, v4
	v_lshlrev_b64 v[4:5], 2, v[4:5]
	v_mov_b32_e32 v9, s1
	v_add_co_u32_e32 v4, vcc, s0, v4
	v_addc_co_u32_e32 v5, vcc, v9, v5, vcc
	global_load_dword v4, v[4:5], off
	v_mov_b32_e32 v10, s19
	global_load_ushort v9, v[2:3], off
	s_waitcnt vmcnt(1)
	v_subrev_u32_e32 v4, s14, v4
	v_mad_u64_u32 v[4:5], s[20:21], v4, 21, v[1:2]
	v_ashrrev_i32_e32 v5, 31, v4
	v_lshlrev_b64 v[4:5], 1, v[4:5]
	v_add_co_u32_e32 v4, vcc, s18, v4
	v_addc_co_u32_e32 v5, vcc, v10, v5, vcc
	global_load_ushort v4, v[4:5], off
	v_add_co_u32_e32 v2, vcc, 0x372, v2
	v_addc_co_u32_e32 v3, vcc, 0, v3, vcc
	s_waitcnt vmcnt(0)
	v_fma_mix_f32 v6, v9, v4, v6 op_sel_hi:[1,1,0]
	s_branch .LBB292_9
.LBB292_12:
	v_lshlrev_b32_e32 v1, 2, v0
	s_and_b64 vcc, exec, s[16:17]
	ds_write_b32 v1, v6
	s_waitcnt lgkmcnt(0)
	s_barrier
	s_cbranch_vccz .LBB292_24
; %bb.13:
	v_cmp_gt_u16_e32 vcc, 5, v7
	s_and_saveexec_b64 s[0:1], vcc
	s_cbranch_execz .LBB292_15
; %bb.14:
	ds_read2_b32 v[2:3], v1 offset1:16
	s_waitcnt lgkmcnt(0)
	v_add_f32_e32 v2, v3, v2
	ds_write_b32 v1, v2
.LBB292_15:
	s_or_b64 exec, exec, s[0:1]
	v_cmp_gt_u16_e32 vcc, 8, v7
	s_waitcnt lgkmcnt(0)
	s_barrier
	s_and_saveexec_b64 s[0:1], vcc
	s_cbranch_execz .LBB292_17
; %bb.16:
	ds_read2_b32 v[2:3], v1 offset1:8
	s_waitcnt lgkmcnt(0)
	v_add_f32_e32 v2, v3, v2
	ds_write_b32 v1, v2
.LBB292_17:
	s_or_b64 exec, exec, s[0:1]
	v_cmp_gt_u16_e32 vcc, 4, v7
	s_waitcnt lgkmcnt(0)
	s_barrier
	;; [unrolled: 12-line block ×3, first 2 shown]
	s_and_saveexec_b64 s[0:1], vcc
	s_cbranch_execz .LBB292_21
; %bb.20:
	ds_read2_b32 v[2:3], v1 offset1:2
	s_waitcnt lgkmcnt(0)
	v_add_f32_e32 v2, v3, v2
	ds_write_b32 v1, v2
.LBB292_21:
	s_or_b64 exec, exec, s[0:1]
	v_cmp_gt_u32_e32 vcc, 21, v0
	v_mov_b32_e32 v2, v6
	s_waitcnt lgkmcnt(0)
	s_barrier
	s_and_saveexec_b64 s[0:1], vcc
	s_cbranch_execz .LBB292_23
; %bb.22:
	s_movk_i32 s2, 0x50
	v_mad_u32_u24 v2, v0, s2, v1
	ds_read2_b32 v[2:3], v2 offset1:1
	s_waitcnt lgkmcnt(0)
	v_add_f32_e32 v2, v2, v3
.LBB292_23:
	s_or_b64 exec, exec, s[0:1]
	s_branch .LBB292_36
.LBB292_24:
                                        ; implicit-def: $vgpr2
	s_cbranch_execz .LBB292_36
; %bb.25:
	s_movk_i32 s0, 0x69
	v_cmp_gt_u32_e32 vcc, s0, v0
	s_and_saveexec_b64 s[0:1], vcc
	s_cbranch_execz .LBB292_27
; %bb.26:
	ds_read_b32 v2, v1 offset:1344
	ds_read_b32 v3, v1
	s_waitcnt lgkmcnt(0)
	v_add_f32_e32 v2, v2, v3
	ds_write_b32 v1, v2
.LBB292_27:
	s_or_b64 exec, exec, s[0:1]
	s_movk_i32 s0, 0xa8
	v_cmp_gt_u32_e32 vcc, s0, v0
	s_waitcnt lgkmcnt(0)
	s_barrier
	s_and_saveexec_b64 s[0:1], vcc
	s_cbranch_execz .LBB292_29
; %bb.28:
	ds_read2_b32 v[2:3], v1 offset1:168
	s_waitcnt lgkmcnt(0)
	v_add_f32_e32 v2, v3, v2
	ds_write_b32 v1, v2
.LBB292_29:
	s_or_b64 exec, exec, s[0:1]
	s_movk_i32 s0, 0x54
	v_cmp_gt_u32_e32 vcc, s0, v0
	s_waitcnt lgkmcnt(0)
	s_barrier
	s_and_saveexec_b64 s[0:1], vcc
	s_cbranch_execz .LBB292_31
; %bb.30:
	ds_read2_b32 v[2:3], v1 offset1:84
	s_waitcnt lgkmcnt(0)
	v_add_f32_e32 v2, v3, v2
	ds_write_b32 v1, v2
.LBB292_31:
	s_or_b64 exec, exec, s[0:1]
	v_cmp_gt_u32_e32 vcc, 42, v0
	s_waitcnt lgkmcnt(0)
	s_barrier
	s_and_saveexec_b64 s[0:1], vcc
	s_cbranch_execz .LBB292_33
; %bb.32:
	ds_read2_b32 v[2:3], v1 offset1:42
	s_waitcnt lgkmcnt(0)
	v_add_f32_e32 v2, v3, v2
	ds_write_b32 v1, v2
.LBB292_33:
	s_or_b64 exec, exec, s[0:1]
	v_cmp_gt_u32_e32 vcc, 21, v0
	s_waitcnt lgkmcnt(0)
	s_and_saveexec_b64 s[0:1], vcc
	s_cbranch_execz .LBB292_35
; %bb.34:
	ds_read2_b32 v[1:2], v1 offset1:21
	s_waitcnt lgkmcnt(0)
	v_add_f32_e32 v6, v1, v2
.LBB292_35:
	s_or_b64 exec, exec, s[0:1]
	v_mov_b32_e32 v2, v6
.LBB292_36:
	v_cmp_gt_u32_e32 vcc, 21, v0
	s_and_saveexec_b64 s[0:1], vcc
	s_cbranch_execz .LBB292_40
; %bb.37:
	v_cmp_eq_f32_e64 s[0:1], s8, 0
	s_and_b64 vcc, exec, s[0:1]
	v_mul_f32_e32 v1, s10, v2
	s_cbranch_vccz .LBB292_41
; %bb.38:
	v_mad_u64_u32 v[2:3], s[0:1], s6, 21, v[0:1]
	v_mov_b32_e32 v3, 0
	v_mov_b32_e32 v4, s13
	v_lshlrev_b64 v[2:3], 2, v[2:3]
	v_add_co_u32_e32 v2, vcc, s12, v2
	v_addc_co_u32_e32 v3, vcc, v4, v3, vcc
	global_store_dword v[2:3], v1, off
	s_cbranch_execnz .LBB292_40
.LBB292_39:
	v_mad_u64_u32 v[2:3], s[0:1], s6, 21, v[0:1]
	v_mov_b32_e32 v3, 0
	v_mov_b32_e32 v0, s13
	v_lshlrev_b64 v[2:3], 2, v[2:3]
	v_add_co_u32_e32 v2, vcc, s12, v2
	v_addc_co_u32_e32 v3, vcc, v0, v3, vcc
	global_load_dword v0, v[2:3], off
	s_waitcnt vmcnt(0)
	v_fmac_f32_e32 v1, s8, v0
	global_store_dword v[2:3], v1, off
.LBB292_40:
	s_endpgm
.LBB292_41:
	s_branch .LBB292_39
	.section	.rodata,"a",@progbits
	.p2align	6, 0x0
	.amdhsa_kernel _ZN9rocsparseL20bsrxmvn_17_32_kernelILj21EfiiDF16_DF16_fEEvT2_20rocsparse_direction_NS_24const_host_device_scalarIT0_EES1_PKS1_PKT1_SA_S7_PKT3_PKT4_S5_PT5_21rocsparse_index_base_b
		.amdhsa_group_segment_fixed_size 1764
		.amdhsa_private_segment_fixed_size 0
		.amdhsa_kernarg_size 96
		.amdhsa_user_sgpr_count 6
		.amdhsa_user_sgpr_private_segment_buffer 1
		.amdhsa_user_sgpr_dispatch_ptr 0
		.amdhsa_user_sgpr_queue_ptr 0
		.amdhsa_user_sgpr_kernarg_segment_ptr 1
		.amdhsa_user_sgpr_dispatch_id 0
		.amdhsa_user_sgpr_flat_scratch_init 0
		.amdhsa_user_sgpr_private_segment_size 0
		.amdhsa_uses_dynamic_stack 0
		.amdhsa_system_sgpr_private_segment_wavefront_offset 0
		.amdhsa_system_sgpr_workgroup_id_x 1
		.amdhsa_system_sgpr_workgroup_id_y 0
		.amdhsa_system_sgpr_workgroup_id_z 0
		.amdhsa_system_sgpr_workgroup_info 0
		.amdhsa_system_vgpr_workitem_id 0
		.amdhsa_next_free_vgpr 11
		.amdhsa_next_free_sgpr 22
		.amdhsa_reserve_vcc 1
		.amdhsa_reserve_flat_scratch 0
		.amdhsa_float_round_mode_32 0
		.amdhsa_float_round_mode_16_64 0
		.amdhsa_float_denorm_mode_32 3
		.amdhsa_float_denorm_mode_16_64 3
		.amdhsa_dx10_clamp 1
		.amdhsa_ieee_mode 1
		.amdhsa_fp16_overflow 0
		.amdhsa_exception_fp_ieee_invalid_op 0
		.amdhsa_exception_fp_denorm_src 0
		.amdhsa_exception_fp_ieee_div_zero 0
		.amdhsa_exception_fp_ieee_overflow 0
		.amdhsa_exception_fp_ieee_underflow 0
		.amdhsa_exception_fp_ieee_inexact 0
		.amdhsa_exception_int_div_zero 0
	.end_amdhsa_kernel
	.section	.text._ZN9rocsparseL20bsrxmvn_17_32_kernelILj21EfiiDF16_DF16_fEEvT2_20rocsparse_direction_NS_24const_host_device_scalarIT0_EES1_PKS1_PKT1_SA_S7_PKT3_PKT4_S5_PT5_21rocsparse_index_base_b,"axG",@progbits,_ZN9rocsparseL20bsrxmvn_17_32_kernelILj21EfiiDF16_DF16_fEEvT2_20rocsparse_direction_NS_24const_host_device_scalarIT0_EES1_PKS1_PKT1_SA_S7_PKT3_PKT4_S5_PT5_21rocsparse_index_base_b,comdat
.Lfunc_end292:
	.size	_ZN9rocsparseL20bsrxmvn_17_32_kernelILj21EfiiDF16_DF16_fEEvT2_20rocsparse_direction_NS_24const_host_device_scalarIT0_EES1_PKS1_PKT1_SA_S7_PKT3_PKT4_S5_PT5_21rocsparse_index_base_b, .Lfunc_end292-_ZN9rocsparseL20bsrxmvn_17_32_kernelILj21EfiiDF16_DF16_fEEvT2_20rocsparse_direction_NS_24const_host_device_scalarIT0_EES1_PKS1_PKT1_SA_S7_PKT3_PKT4_S5_PT5_21rocsparse_index_base_b
                                        ; -- End function
	.set _ZN9rocsparseL20bsrxmvn_17_32_kernelILj21EfiiDF16_DF16_fEEvT2_20rocsparse_direction_NS_24const_host_device_scalarIT0_EES1_PKS1_PKT1_SA_S7_PKT3_PKT4_S5_PT5_21rocsparse_index_base_b.num_vgpr, 11
	.set _ZN9rocsparseL20bsrxmvn_17_32_kernelILj21EfiiDF16_DF16_fEEvT2_20rocsparse_direction_NS_24const_host_device_scalarIT0_EES1_PKS1_PKT1_SA_S7_PKT3_PKT4_S5_PT5_21rocsparse_index_base_b.num_agpr, 0
	.set _ZN9rocsparseL20bsrxmvn_17_32_kernelILj21EfiiDF16_DF16_fEEvT2_20rocsparse_direction_NS_24const_host_device_scalarIT0_EES1_PKS1_PKT1_SA_S7_PKT3_PKT4_S5_PT5_21rocsparse_index_base_b.numbered_sgpr, 22
	.set _ZN9rocsparseL20bsrxmvn_17_32_kernelILj21EfiiDF16_DF16_fEEvT2_20rocsparse_direction_NS_24const_host_device_scalarIT0_EES1_PKS1_PKT1_SA_S7_PKT3_PKT4_S5_PT5_21rocsparse_index_base_b.num_named_barrier, 0
	.set _ZN9rocsparseL20bsrxmvn_17_32_kernelILj21EfiiDF16_DF16_fEEvT2_20rocsparse_direction_NS_24const_host_device_scalarIT0_EES1_PKS1_PKT1_SA_S7_PKT3_PKT4_S5_PT5_21rocsparse_index_base_b.private_seg_size, 0
	.set _ZN9rocsparseL20bsrxmvn_17_32_kernelILj21EfiiDF16_DF16_fEEvT2_20rocsparse_direction_NS_24const_host_device_scalarIT0_EES1_PKS1_PKT1_SA_S7_PKT3_PKT4_S5_PT5_21rocsparse_index_base_b.uses_vcc, 1
	.set _ZN9rocsparseL20bsrxmvn_17_32_kernelILj21EfiiDF16_DF16_fEEvT2_20rocsparse_direction_NS_24const_host_device_scalarIT0_EES1_PKS1_PKT1_SA_S7_PKT3_PKT4_S5_PT5_21rocsparse_index_base_b.uses_flat_scratch, 0
	.set _ZN9rocsparseL20bsrxmvn_17_32_kernelILj21EfiiDF16_DF16_fEEvT2_20rocsparse_direction_NS_24const_host_device_scalarIT0_EES1_PKS1_PKT1_SA_S7_PKT3_PKT4_S5_PT5_21rocsparse_index_base_b.has_dyn_sized_stack, 0
	.set _ZN9rocsparseL20bsrxmvn_17_32_kernelILj21EfiiDF16_DF16_fEEvT2_20rocsparse_direction_NS_24const_host_device_scalarIT0_EES1_PKS1_PKT1_SA_S7_PKT3_PKT4_S5_PT5_21rocsparse_index_base_b.has_recursion, 0
	.set _ZN9rocsparseL20bsrxmvn_17_32_kernelILj21EfiiDF16_DF16_fEEvT2_20rocsparse_direction_NS_24const_host_device_scalarIT0_EES1_PKS1_PKT1_SA_S7_PKT3_PKT4_S5_PT5_21rocsparse_index_base_b.has_indirect_call, 0
	.section	.AMDGPU.csdata,"",@progbits
; Kernel info:
; codeLenInByte = 1240
; TotalNumSgprs: 26
; NumVgprs: 11
; ScratchSize: 0
; MemoryBound: 0
; FloatMode: 240
; IeeeMode: 1
; LDSByteSize: 1764 bytes/workgroup (compile time only)
; SGPRBlocks: 3
; VGPRBlocks: 2
; NumSGPRsForWavesPerEU: 26
; NumVGPRsForWavesPerEU: 11
; Occupancy: 10
; WaveLimiterHint : 1
; COMPUTE_PGM_RSRC2:SCRATCH_EN: 0
; COMPUTE_PGM_RSRC2:USER_SGPR: 6
; COMPUTE_PGM_RSRC2:TRAP_HANDLER: 0
; COMPUTE_PGM_RSRC2:TGID_X_EN: 1
; COMPUTE_PGM_RSRC2:TGID_Y_EN: 0
; COMPUTE_PGM_RSRC2:TGID_Z_EN: 0
; COMPUTE_PGM_RSRC2:TIDIG_COMP_CNT: 0
	.section	.text._ZN9rocsparseL20bsrxmvn_17_32_kernelILj22EfiiDF16_DF16_fEEvT2_20rocsparse_direction_NS_24const_host_device_scalarIT0_EES1_PKS1_PKT1_SA_S7_PKT3_PKT4_S5_PT5_21rocsparse_index_base_b,"axG",@progbits,_ZN9rocsparseL20bsrxmvn_17_32_kernelILj22EfiiDF16_DF16_fEEvT2_20rocsparse_direction_NS_24const_host_device_scalarIT0_EES1_PKS1_PKT1_SA_S7_PKT3_PKT4_S5_PT5_21rocsparse_index_base_b,comdat
	.globl	_ZN9rocsparseL20bsrxmvn_17_32_kernelILj22EfiiDF16_DF16_fEEvT2_20rocsparse_direction_NS_24const_host_device_scalarIT0_EES1_PKS1_PKT1_SA_S7_PKT3_PKT4_S5_PT5_21rocsparse_index_base_b ; -- Begin function _ZN9rocsparseL20bsrxmvn_17_32_kernelILj22EfiiDF16_DF16_fEEvT2_20rocsparse_direction_NS_24const_host_device_scalarIT0_EES1_PKS1_PKT1_SA_S7_PKT3_PKT4_S5_PT5_21rocsparse_index_base_b
	.p2align	8
	.type	_ZN9rocsparseL20bsrxmvn_17_32_kernelILj22EfiiDF16_DF16_fEEvT2_20rocsparse_direction_NS_24const_host_device_scalarIT0_EES1_PKS1_PKT1_SA_S7_PKT3_PKT4_S5_PT5_21rocsparse_index_base_b,@function
_ZN9rocsparseL20bsrxmvn_17_32_kernelILj22EfiiDF16_DF16_fEEvT2_20rocsparse_direction_NS_24const_host_device_scalarIT0_EES1_PKS1_PKT1_SA_S7_PKT3_PKT4_S5_PT5_21rocsparse_index_base_b: ; @_ZN9rocsparseL20bsrxmvn_17_32_kernelILj22EfiiDF16_DF16_fEEvT2_20rocsparse_direction_NS_24const_host_device_scalarIT0_EES1_PKS1_PKT1_SA_S7_PKT3_PKT4_S5_PT5_21rocsparse_index_base_b
; %bb.0:
	s_load_dwordx2 s[14:15], s[4:5], 0x58
	s_load_dwordx2 s[10:11], s[4:5], 0x8
	s_load_dwordx2 s[8:9], s[4:5], 0x48
	s_waitcnt lgkmcnt(0)
	s_bitcmp1_b32 s15, 0
	s_cselect_b64 s[2:3], -1, 0
	s_xor_b64 s[0:1], s[2:3], -1
	s_and_b64 vcc, exec, s[2:3]
	s_cbranch_vccnz .LBB293_2
; %bb.1:
	s_load_dword s10, s[10:11], 0x0
.LBB293_2:
	s_andn2_b64 vcc, exec, s[0:1]
	s_cbranch_vccnz .LBB293_4
; %bb.3:
	s_load_dword s8, s[8:9], 0x0
.LBB293_4:
	s_waitcnt lgkmcnt(0)
	v_cmp_neq_f32_e64 s[0:1], s10, 0
	v_cmp_neq_f32_e64 s[2:3], s8, 1.0
	s_or_b64 s[0:1], s[0:1], s[2:3]
	s_andn2_b64 vcc, exec, s[0:1]
	s_cbranch_vccnz .LBB293_40
; %bb.5:
	s_load_dwordx4 s[0:3], s[4:5], 0x18
	s_load_dwordx2 s[18:19], s[4:5], 0x28
	s_waitcnt lgkmcnt(0)
	s_cmp_eq_u64 s[0:1], 0
	s_cbranch_scc1 .LBB293_7
; %bb.6:
	s_ashr_i32 s7, s6, 31
	s_lshl_b64 s[6:7], s[6:7], 2
	s_add_u32 s0, s0, s6
	s_addc_u32 s1, s1, s7
	s_load_dword s0, s[0:1], 0x0
	s_waitcnt lgkmcnt(0)
	s_sub_i32 s6, s0, s14
.LBB293_7:
	s_load_dword s0, s[4:5], 0x4
	s_load_dwordx2 s[12:13], s[4:5], 0x50
	v_mul_u32_u24_e32 v1, 0xba3, v0
	v_mov_b32_e32 v2, 22
	v_mul_lo_u16_sdwa v3, v1, v2 dst_sel:DWORD dst_unused:UNUSED_PAD src0_sel:WORD_1 src1_sel:DWORD
	s_waitcnt lgkmcnt(0)
	s_cmp_eq_u32 s0, 1
	s_cselect_b64 vcc, -1, 0
	s_cmp_lg_u32 s0, 1
	s_cselect_b64 s[16:17], -1, 0
	s_ashr_i32 s7, s6, 31
	s_lshl_b64 s[0:1], s[6:7], 2
	s_add_u32 s2, s2, s0
	s_addc_u32 s3, s3, s1
	s_load_dword s7, s[2:3], 0x0
	s_add_u32 s2, s2, 4
	s_addc_u32 s3, s3, 0
	s_add_u32 s0, s18, s0
	s_addc_u32 s1, s19, s1
	s_cmp_eq_u64 s[18:19], 0
	s_cselect_b32 s1, s3, s1
	s_cselect_b32 s0, s2, s0
	s_load_dword s9, s[0:1], 0x0
	v_sub_u16_e32 v7, v0, v3
	v_mov_b32_e32 v6, 0
	s_waitcnt lgkmcnt(0)
	s_cmp_ge_i32 s7, s9
	s_cbranch_scc1 .LBB293_12
; %bb.8:
	s_load_dwordx4 s[0:3], s[4:5], 0x30
	s_load_dwordx2 s[18:19], s[4:5], 0x40
	v_mov_b32_e32 v3, 12
	v_mul_lo_u16_sdwa v3, v1, v3 dst_sel:DWORD dst_unused:UNUSED_PAD src0_sel:WORD_1 src1_sel:DWORD
	v_mul_lo_u16_sdwa v2, v3, v2 dst_sel:DWORD dst_unused:UNUSED_PAD src0_sel:BYTE_1 src1_sel:DWORD
	s_sub_i32 s5, s7, s14
	s_sub_i32 s4, s9, s14
	v_sub_u16_sdwa v1, v1, v2 dst_sel:DWORD dst_unused:UNUSED_PAD src0_sel:WORD_1 src1_sel:DWORD
	s_mul_i32 s9, s5, 0x3c8
	v_and_b32_e32 v1, 0xff, v1
	s_mul_hi_i32 s7, s5, 0x3c8
	s_waitcnt lgkmcnt(0)
	s_add_u32 s2, s2, s9
	v_lshlrev_b32_e32 v2, 1, v0
	v_cndmask_b32_e32 v1, v7, v1, vcc
	s_addc_u32 s3, s3, s7
	v_add_co_u32_e32 v2, vcc, s2, v2
	s_movk_i32 s2, 0x10f
	v_mov_b32_e32 v3, s3
	v_mul_u32_u24_sdwa v4, v0, s2 dst_sel:DWORD dst_unused:UNUSED_PAD src0_sel:WORD_0 src1_sel:DWORD
	v_mov_b32_e32 v6, 0
	v_addc_co_u32_e32 v3, vcc, 0, v3, vcc
	v_lshrrev_b32_e32 v8, 17, v4
	s_branch .LBB293_10
.LBB293_9:                              ;   in Loop: Header=BB293_10 Depth=1
	s_or_b64 exec, exec, s[2:3]
	s_add_i32 s5, s5, 1
	s_cmp_lt_i32 s5, s4
	s_cbranch_scc0 .LBB293_12
.LBB293_10:                             ; =>This Inner Loop Header: Depth=1
	v_add_u32_e32 v4, s5, v8
	v_cmp_gt_i32_e32 vcc, s4, v4
	s_and_saveexec_b64 s[2:3], vcc
	s_cbranch_execz .LBB293_9
; %bb.11:                               ;   in Loop: Header=BB293_10 Depth=1
	v_ashrrev_i32_e32 v5, 31, v4
	v_lshlrev_b64 v[4:5], 2, v[4:5]
	v_mov_b32_e32 v9, s1
	v_add_co_u32_e32 v4, vcc, s0, v4
	v_addc_co_u32_e32 v5, vcc, v9, v5, vcc
	global_load_dword v4, v[4:5], off
	v_mov_b32_e32 v10, s19
	global_load_ushort v9, v[2:3], off
	s_waitcnt vmcnt(1)
	v_subrev_u32_e32 v4, s14, v4
	v_mad_u64_u32 v[4:5], s[20:21], v4, 22, v[1:2]
	v_ashrrev_i32_e32 v5, 31, v4
	v_lshlrev_b64 v[4:5], 1, v[4:5]
	v_add_co_u32_e32 v4, vcc, s18, v4
	v_addc_co_u32_e32 v5, vcc, v10, v5, vcc
	global_load_ushort v4, v[4:5], off
	v_add_co_u32_e32 v2, vcc, 0x3c8, v2
	v_addc_co_u32_e32 v3, vcc, 0, v3, vcc
	s_waitcnt vmcnt(0)
	v_fma_mix_f32 v6, v9, v4, v6 op_sel_hi:[1,1,0]
	s_branch .LBB293_9
.LBB293_12:
	v_lshlrev_b32_e32 v1, 2, v0
	s_and_b64 vcc, exec, s[16:17]
	ds_write_b32 v1, v6
	s_waitcnt lgkmcnt(0)
	s_barrier
	s_cbranch_vccz .LBB293_24
; %bb.13:
	v_cmp_gt_u16_e32 vcc, 6, v7
	s_and_saveexec_b64 s[0:1], vcc
	s_cbranch_execz .LBB293_15
; %bb.14:
	ds_read2_b32 v[2:3], v1 offset1:16
	s_waitcnt lgkmcnt(0)
	v_add_f32_e32 v2, v3, v2
	ds_write_b32 v1, v2
.LBB293_15:
	s_or_b64 exec, exec, s[0:1]
	v_cmp_gt_u16_e32 vcc, 8, v7
	s_waitcnt lgkmcnt(0)
	s_barrier
	s_and_saveexec_b64 s[0:1], vcc
	s_cbranch_execz .LBB293_17
; %bb.16:
	ds_read2_b32 v[2:3], v1 offset1:8
	s_waitcnt lgkmcnt(0)
	v_add_f32_e32 v2, v3, v2
	ds_write_b32 v1, v2
.LBB293_17:
	s_or_b64 exec, exec, s[0:1]
	v_cmp_gt_u16_e32 vcc, 4, v7
	s_waitcnt lgkmcnt(0)
	s_barrier
	;; [unrolled: 12-line block ×3, first 2 shown]
	s_and_saveexec_b64 s[0:1], vcc
	s_cbranch_execz .LBB293_21
; %bb.20:
	ds_read2_b32 v[2:3], v1 offset1:2
	s_waitcnt lgkmcnt(0)
	v_add_f32_e32 v2, v3, v2
	ds_write_b32 v1, v2
.LBB293_21:
	s_or_b64 exec, exec, s[0:1]
	v_cmp_gt_u32_e32 vcc, 22, v0
	v_mov_b32_e32 v2, v6
	s_waitcnt lgkmcnt(0)
	s_barrier
	s_and_saveexec_b64 s[0:1], vcc
	s_cbranch_execz .LBB293_23
; %bb.22:
	s_movk_i32 s2, 0x54
	v_mad_u32_u24 v2, v0, s2, v1
	ds_read_b64 v[2:3], v2
	s_waitcnt lgkmcnt(0)
	v_add_f32_e32 v2, v2, v3
.LBB293_23:
	s_or_b64 exec, exec, s[0:1]
	s_branch .LBB293_36
.LBB293_24:
                                        ; implicit-def: $vgpr2
	s_cbranch_execz .LBB293_36
; %bb.25:
	s_movk_i32 s0, 0x84
	v_cmp_gt_u32_e32 vcc, s0, v0
	s_and_saveexec_b64 s[0:1], vcc
	s_cbranch_execz .LBB293_27
; %bb.26:
	ds_read_b32 v2, v1 offset:1408
	ds_read_b32 v3, v1
	s_waitcnt lgkmcnt(0)
	v_add_f32_e32 v2, v2, v3
	ds_write_b32 v1, v2
.LBB293_27:
	s_or_b64 exec, exec, s[0:1]
	s_movk_i32 s0, 0xb0
	v_cmp_gt_u32_e32 vcc, s0, v0
	s_waitcnt lgkmcnt(0)
	s_barrier
	s_and_saveexec_b64 s[0:1], vcc
	s_cbranch_execz .LBB293_29
; %bb.28:
	ds_read2_b32 v[2:3], v1 offset1:176
	s_waitcnt lgkmcnt(0)
	v_add_f32_e32 v2, v3, v2
	ds_write_b32 v1, v2
.LBB293_29:
	s_or_b64 exec, exec, s[0:1]
	s_movk_i32 s0, 0x58
	v_cmp_gt_u32_e32 vcc, s0, v0
	s_waitcnt lgkmcnt(0)
	s_barrier
	s_and_saveexec_b64 s[0:1], vcc
	s_cbranch_execz .LBB293_31
; %bb.30:
	ds_read2_b32 v[2:3], v1 offset1:88
	s_waitcnt lgkmcnt(0)
	v_add_f32_e32 v2, v3, v2
	ds_write_b32 v1, v2
.LBB293_31:
	s_or_b64 exec, exec, s[0:1]
	v_cmp_gt_u32_e32 vcc, 44, v0
	s_waitcnt lgkmcnt(0)
	s_barrier
	s_and_saveexec_b64 s[0:1], vcc
	s_cbranch_execz .LBB293_33
; %bb.32:
	ds_read2_b32 v[2:3], v1 offset1:44
	s_waitcnt lgkmcnt(0)
	v_add_f32_e32 v2, v3, v2
	ds_write_b32 v1, v2
.LBB293_33:
	s_or_b64 exec, exec, s[0:1]
	v_cmp_gt_u32_e32 vcc, 22, v0
	s_waitcnt lgkmcnt(0)
	s_and_saveexec_b64 s[0:1], vcc
	s_cbranch_execz .LBB293_35
; %bb.34:
	ds_read2_b32 v[1:2], v1 offset1:22
	s_waitcnt lgkmcnt(0)
	v_add_f32_e32 v6, v1, v2
.LBB293_35:
	s_or_b64 exec, exec, s[0:1]
	v_mov_b32_e32 v2, v6
.LBB293_36:
	v_cmp_gt_u32_e32 vcc, 22, v0
	s_and_saveexec_b64 s[0:1], vcc
	s_cbranch_execz .LBB293_40
; %bb.37:
	v_cmp_eq_f32_e64 s[0:1], s8, 0
	s_and_b64 vcc, exec, s[0:1]
	v_mul_f32_e32 v1, s10, v2
	s_cbranch_vccz .LBB293_41
; %bb.38:
	v_mad_u64_u32 v[2:3], s[0:1], s6, 22, v[0:1]
	v_mov_b32_e32 v3, 0
	v_mov_b32_e32 v4, s13
	v_lshlrev_b64 v[2:3], 2, v[2:3]
	v_add_co_u32_e32 v2, vcc, s12, v2
	v_addc_co_u32_e32 v3, vcc, v4, v3, vcc
	global_store_dword v[2:3], v1, off
	s_cbranch_execnz .LBB293_40
.LBB293_39:
	v_mad_u64_u32 v[2:3], s[0:1], s6, 22, v[0:1]
	v_mov_b32_e32 v3, 0
	v_mov_b32_e32 v0, s13
	v_lshlrev_b64 v[2:3], 2, v[2:3]
	v_add_co_u32_e32 v2, vcc, s12, v2
	v_addc_co_u32_e32 v3, vcc, v0, v3, vcc
	global_load_dword v0, v[2:3], off
	s_waitcnt vmcnt(0)
	v_fmac_f32_e32 v1, s8, v0
	global_store_dword v[2:3], v1, off
.LBB293_40:
	s_endpgm
.LBB293_41:
	s_branch .LBB293_39
	.section	.rodata,"a",@progbits
	.p2align	6, 0x0
	.amdhsa_kernel _ZN9rocsparseL20bsrxmvn_17_32_kernelILj22EfiiDF16_DF16_fEEvT2_20rocsparse_direction_NS_24const_host_device_scalarIT0_EES1_PKS1_PKT1_SA_S7_PKT3_PKT4_S5_PT5_21rocsparse_index_base_b
		.amdhsa_group_segment_fixed_size 1936
		.amdhsa_private_segment_fixed_size 0
		.amdhsa_kernarg_size 96
		.amdhsa_user_sgpr_count 6
		.amdhsa_user_sgpr_private_segment_buffer 1
		.amdhsa_user_sgpr_dispatch_ptr 0
		.amdhsa_user_sgpr_queue_ptr 0
		.amdhsa_user_sgpr_kernarg_segment_ptr 1
		.amdhsa_user_sgpr_dispatch_id 0
		.amdhsa_user_sgpr_flat_scratch_init 0
		.amdhsa_user_sgpr_private_segment_size 0
		.amdhsa_uses_dynamic_stack 0
		.amdhsa_system_sgpr_private_segment_wavefront_offset 0
		.amdhsa_system_sgpr_workgroup_id_x 1
		.amdhsa_system_sgpr_workgroup_id_y 0
		.amdhsa_system_sgpr_workgroup_id_z 0
		.amdhsa_system_sgpr_workgroup_info 0
		.amdhsa_system_vgpr_workitem_id 0
		.amdhsa_next_free_vgpr 11
		.amdhsa_next_free_sgpr 22
		.amdhsa_reserve_vcc 1
		.amdhsa_reserve_flat_scratch 0
		.amdhsa_float_round_mode_32 0
		.amdhsa_float_round_mode_16_64 0
		.amdhsa_float_denorm_mode_32 3
		.amdhsa_float_denorm_mode_16_64 3
		.amdhsa_dx10_clamp 1
		.amdhsa_ieee_mode 1
		.amdhsa_fp16_overflow 0
		.amdhsa_exception_fp_ieee_invalid_op 0
		.amdhsa_exception_fp_denorm_src 0
		.amdhsa_exception_fp_ieee_div_zero 0
		.amdhsa_exception_fp_ieee_overflow 0
		.amdhsa_exception_fp_ieee_underflow 0
		.amdhsa_exception_fp_ieee_inexact 0
		.amdhsa_exception_int_div_zero 0
	.end_amdhsa_kernel
	.section	.text._ZN9rocsparseL20bsrxmvn_17_32_kernelILj22EfiiDF16_DF16_fEEvT2_20rocsparse_direction_NS_24const_host_device_scalarIT0_EES1_PKS1_PKT1_SA_S7_PKT3_PKT4_S5_PT5_21rocsparse_index_base_b,"axG",@progbits,_ZN9rocsparseL20bsrxmvn_17_32_kernelILj22EfiiDF16_DF16_fEEvT2_20rocsparse_direction_NS_24const_host_device_scalarIT0_EES1_PKS1_PKT1_SA_S7_PKT3_PKT4_S5_PT5_21rocsparse_index_base_b,comdat
.Lfunc_end293:
	.size	_ZN9rocsparseL20bsrxmvn_17_32_kernelILj22EfiiDF16_DF16_fEEvT2_20rocsparse_direction_NS_24const_host_device_scalarIT0_EES1_PKS1_PKT1_SA_S7_PKT3_PKT4_S5_PT5_21rocsparse_index_base_b, .Lfunc_end293-_ZN9rocsparseL20bsrxmvn_17_32_kernelILj22EfiiDF16_DF16_fEEvT2_20rocsparse_direction_NS_24const_host_device_scalarIT0_EES1_PKS1_PKT1_SA_S7_PKT3_PKT4_S5_PT5_21rocsparse_index_base_b
                                        ; -- End function
	.set _ZN9rocsparseL20bsrxmvn_17_32_kernelILj22EfiiDF16_DF16_fEEvT2_20rocsparse_direction_NS_24const_host_device_scalarIT0_EES1_PKS1_PKT1_SA_S7_PKT3_PKT4_S5_PT5_21rocsparse_index_base_b.num_vgpr, 11
	.set _ZN9rocsparseL20bsrxmvn_17_32_kernelILj22EfiiDF16_DF16_fEEvT2_20rocsparse_direction_NS_24const_host_device_scalarIT0_EES1_PKS1_PKT1_SA_S7_PKT3_PKT4_S5_PT5_21rocsparse_index_base_b.num_agpr, 0
	.set _ZN9rocsparseL20bsrxmvn_17_32_kernelILj22EfiiDF16_DF16_fEEvT2_20rocsparse_direction_NS_24const_host_device_scalarIT0_EES1_PKS1_PKT1_SA_S7_PKT3_PKT4_S5_PT5_21rocsparse_index_base_b.numbered_sgpr, 22
	.set _ZN9rocsparseL20bsrxmvn_17_32_kernelILj22EfiiDF16_DF16_fEEvT2_20rocsparse_direction_NS_24const_host_device_scalarIT0_EES1_PKS1_PKT1_SA_S7_PKT3_PKT4_S5_PT5_21rocsparse_index_base_b.num_named_barrier, 0
	.set _ZN9rocsparseL20bsrxmvn_17_32_kernelILj22EfiiDF16_DF16_fEEvT2_20rocsparse_direction_NS_24const_host_device_scalarIT0_EES1_PKS1_PKT1_SA_S7_PKT3_PKT4_S5_PT5_21rocsparse_index_base_b.private_seg_size, 0
	.set _ZN9rocsparseL20bsrxmvn_17_32_kernelILj22EfiiDF16_DF16_fEEvT2_20rocsparse_direction_NS_24const_host_device_scalarIT0_EES1_PKS1_PKT1_SA_S7_PKT3_PKT4_S5_PT5_21rocsparse_index_base_b.uses_vcc, 1
	.set _ZN9rocsparseL20bsrxmvn_17_32_kernelILj22EfiiDF16_DF16_fEEvT2_20rocsparse_direction_NS_24const_host_device_scalarIT0_EES1_PKS1_PKT1_SA_S7_PKT3_PKT4_S5_PT5_21rocsparse_index_base_b.uses_flat_scratch, 0
	.set _ZN9rocsparseL20bsrxmvn_17_32_kernelILj22EfiiDF16_DF16_fEEvT2_20rocsparse_direction_NS_24const_host_device_scalarIT0_EES1_PKS1_PKT1_SA_S7_PKT3_PKT4_S5_PT5_21rocsparse_index_base_b.has_dyn_sized_stack, 0
	.set _ZN9rocsparseL20bsrxmvn_17_32_kernelILj22EfiiDF16_DF16_fEEvT2_20rocsparse_direction_NS_24const_host_device_scalarIT0_EES1_PKS1_PKT1_SA_S7_PKT3_PKT4_S5_PT5_21rocsparse_index_base_b.has_recursion, 0
	.set _ZN9rocsparseL20bsrxmvn_17_32_kernelILj22EfiiDF16_DF16_fEEvT2_20rocsparse_direction_NS_24const_host_device_scalarIT0_EES1_PKS1_PKT1_SA_S7_PKT3_PKT4_S5_PT5_21rocsparse_index_base_b.has_indirect_call, 0
	.section	.AMDGPU.csdata,"",@progbits
; Kernel info:
; codeLenInByte = 1240
; TotalNumSgprs: 26
; NumVgprs: 11
; ScratchSize: 0
; MemoryBound: 0
; FloatMode: 240
; IeeeMode: 1
; LDSByteSize: 1936 bytes/workgroup (compile time only)
; SGPRBlocks: 3
; VGPRBlocks: 2
; NumSGPRsForWavesPerEU: 26
; NumVGPRsForWavesPerEU: 11
; Occupancy: 10
; WaveLimiterHint : 1
; COMPUTE_PGM_RSRC2:SCRATCH_EN: 0
; COMPUTE_PGM_RSRC2:USER_SGPR: 6
; COMPUTE_PGM_RSRC2:TRAP_HANDLER: 0
; COMPUTE_PGM_RSRC2:TGID_X_EN: 1
; COMPUTE_PGM_RSRC2:TGID_Y_EN: 0
; COMPUTE_PGM_RSRC2:TGID_Z_EN: 0
; COMPUTE_PGM_RSRC2:TIDIG_COMP_CNT: 0
	.section	.text._ZN9rocsparseL20bsrxmvn_17_32_kernelILj23EfiiDF16_DF16_fEEvT2_20rocsparse_direction_NS_24const_host_device_scalarIT0_EES1_PKS1_PKT1_SA_S7_PKT3_PKT4_S5_PT5_21rocsparse_index_base_b,"axG",@progbits,_ZN9rocsparseL20bsrxmvn_17_32_kernelILj23EfiiDF16_DF16_fEEvT2_20rocsparse_direction_NS_24const_host_device_scalarIT0_EES1_PKS1_PKT1_SA_S7_PKT3_PKT4_S5_PT5_21rocsparse_index_base_b,comdat
	.globl	_ZN9rocsparseL20bsrxmvn_17_32_kernelILj23EfiiDF16_DF16_fEEvT2_20rocsparse_direction_NS_24const_host_device_scalarIT0_EES1_PKS1_PKT1_SA_S7_PKT3_PKT4_S5_PT5_21rocsparse_index_base_b ; -- Begin function _ZN9rocsparseL20bsrxmvn_17_32_kernelILj23EfiiDF16_DF16_fEEvT2_20rocsparse_direction_NS_24const_host_device_scalarIT0_EES1_PKS1_PKT1_SA_S7_PKT3_PKT4_S5_PT5_21rocsparse_index_base_b
	.p2align	8
	.type	_ZN9rocsparseL20bsrxmvn_17_32_kernelILj23EfiiDF16_DF16_fEEvT2_20rocsparse_direction_NS_24const_host_device_scalarIT0_EES1_PKS1_PKT1_SA_S7_PKT3_PKT4_S5_PT5_21rocsparse_index_base_b,@function
_ZN9rocsparseL20bsrxmvn_17_32_kernelILj23EfiiDF16_DF16_fEEvT2_20rocsparse_direction_NS_24const_host_device_scalarIT0_EES1_PKS1_PKT1_SA_S7_PKT3_PKT4_S5_PT5_21rocsparse_index_base_b: ; @_ZN9rocsparseL20bsrxmvn_17_32_kernelILj23EfiiDF16_DF16_fEEvT2_20rocsparse_direction_NS_24const_host_device_scalarIT0_EES1_PKS1_PKT1_SA_S7_PKT3_PKT4_S5_PT5_21rocsparse_index_base_b
; %bb.0:
	s_load_dwordx2 s[18:19], s[4:5], 0x58
	s_load_dwordx2 s[14:15], s[4:5], 0x8
	;; [unrolled: 1-line block ×3, first 2 shown]
	s_waitcnt lgkmcnt(0)
	s_bitcmp1_b32 s19, 0
	s_cselect_b64 s[2:3], -1, 0
	s_xor_b64 s[0:1], s[2:3], -1
	s_and_b64 vcc, exec, s[2:3]
	s_cbranch_vccnz .LBB294_2
; %bb.1:
	s_load_dword s14, s[14:15], 0x0
.LBB294_2:
	s_andn2_b64 vcc, exec, s[0:1]
	s_cbranch_vccnz .LBB294_4
; %bb.3:
	s_load_dword s12, s[12:13], 0x0
.LBB294_4:
	s_waitcnt lgkmcnt(0)
	v_cmp_neq_f32_e64 s[0:1], s14, 0
	v_cmp_neq_f32_e64 s[2:3], s12, 1.0
	s_or_b64 s[0:1], s[0:1], s[2:3]
	s_andn2_b64 vcc, exec, s[0:1]
	s_cbranch_vccnz .LBB294_40
; %bb.5:
	s_load_dwordx4 s[0:3], s[4:5], 0x18
	s_load_dwordx2 s[8:9], s[4:5], 0x28
	s_waitcnt lgkmcnt(0)
	s_cmp_eq_u64 s[0:1], 0
	s_cbranch_scc1 .LBB294_7
; %bb.6:
	s_ashr_i32 s7, s6, 31
	s_lshl_b64 s[6:7], s[6:7], 2
	s_add_u32 s0, s0, s6
	s_addc_u32 s1, s1, s7
	s_load_dword s0, s[0:1], 0x0
	s_waitcnt lgkmcnt(0)
	s_sub_i32 s6, s0, s18
.LBB294_7:
	s_load_dword s0, s[4:5], 0x4
	s_load_dwordx2 s[16:17], s[4:5], 0x50
	v_mul_u32_u24_e32 v1, 0xb22, v0
	v_mov_b32_e32 v2, 23
	v_mul_lo_u16_sdwa v2, v1, v2 dst_sel:DWORD dst_unused:UNUSED_PAD src0_sel:WORD_1 src1_sel:DWORD
	s_waitcnt lgkmcnt(0)
	s_cmp_eq_u32 s0, 1
	s_cselect_b64 vcc, -1, 0
	s_cmp_lg_u32 s0, 1
	s_cselect_b64 s[20:21], -1, 0
	s_ashr_i32 s7, s6, 31
	s_lshl_b64 s[0:1], s[6:7], 2
	s_add_u32 s2, s2, s0
	s_addc_u32 s3, s3, s1
	s_load_dword s7, s[2:3], 0x0
	s_add_u32 s2, s2, 4
	s_addc_u32 s3, s3, 0
	s_add_u32 s0, s8, s0
	s_addc_u32 s1, s9, s1
	s_cmp_eq_u64 s[8:9], 0
	s_cselect_b32 s1, s3, s1
	s_cselect_b32 s0, s2, s0
	s_load_dword s0, s[0:1], 0x0
	v_sub_u16_e32 v7, v0, v2
	v_mov_b32_e32 v6, 0
	s_waitcnt lgkmcnt(0)
	s_cmp_ge_i32 s7, s0
	s_cbranch_scc1 .LBB294_12
; %bb.8:
	s_load_dwordx4 s[8:11], s[4:5], 0x30
	s_load_dwordx2 s[2:3], s[4:5], 0x40
	s_sub_i32 s4, s0, s18
	s_mov_b32 s0, 0xffff
	s_movk_i32 s1, 0x211
	v_and_b32_sdwa v1, s0, v1 dst_sel:DWORD dst_unused:UNUSED_PAD src0_sel:DWORD src1_sel:WORD_1
	v_subrev_u32_e32 v2, 23, v1
	v_cmp_gt_u32_e64 s[0:1], s1, v0
	s_sub_i32 s5, s7, s18
	v_cndmask_b32_e64 v1, v2, v1, s[0:1]
	s_mul_i32 s1, s5, 0x422
	s_mul_hi_i32 s0, s5, 0x422
	s_waitcnt lgkmcnt(0)
	s_add_u32 s1, s10, s1
	s_addc_u32 s0, s11, s0
	v_lshlrev_b32_e32 v2, 1, v0
	v_cndmask_b32_e32 v1, v7, v1, vcc
	v_mov_b32_e32 v3, s0
	v_add_co_u32_e32 v2, vcc, s1, v2
	v_addc_co_u32_e32 v3, vcc, 0, v3, vcc
	s_movk_i32 s0, 0x210
	v_cmp_lt_u32_e32 vcc, s0, v0
	v_mov_b32_e32 v6, 0
	v_cndmask_b32_e64 v8, 0, 1, vcc
	s_branch .LBB294_10
.LBB294_9:                              ;   in Loop: Header=BB294_10 Depth=1
	s_or_b64 exec, exec, s[0:1]
	s_add_i32 s5, s5, 1
	s_cmp_lt_i32 s5, s4
	s_cbranch_scc0 .LBB294_12
.LBB294_10:                             ; =>This Inner Loop Header: Depth=1
	v_add_u32_e32 v4, s5, v8
	v_cmp_gt_i32_e32 vcc, s4, v4
	s_and_saveexec_b64 s[0:1], vcc
	s_cbranch_execz .LBB294_9
; %bb.11:                               ;   in Loop: Header=BB294_10 Depth=1
	v_ashrrev_i32_e32 v5, 31, v4
	v_lshlrev_b64 v[4:5], 2, v[4:5]
	v_mov_b32_e32 v9, s9
	v_add_co_u32_e32 v4, vcc, s8, v4
	v_addc_co_u32_e32 v5, vcc, v9, v5, vcc
	global_load_dword v4, v[4:5], off
	v_mov_b32_e32 v10, s3
	global_load_ushort v9, v[2:3], off
	s_waitcnt vmcnt(1)
	v_subrev_u32_e32 v4, s18, v4
	v_mad_u64_u32 v[4:5], s[10:11], v4, 23, v[1:2]
	v_ashrrev_i32_e32 v5, 31, v4
	v_lshlrev_b64 v[4:5], 1, v[4:5]
	v_add_co_u32_e32 v4, vcc, s2, v4
	v_addc_co_u32_e32 v5, vcc, v10, v5, vcc
	global_load_ushort v4, v[4:5], off
	v_add_co_u32_e32 v2, vcc, 0x422, v2
	v_addc_co_u32_e32 v3, vcc, 0, v3, vcc
	s_waitcnt vmcnt(0)
	v_fma_mix_f32 v6, v9, v4, v6 op_sel_hi:[1,1,0]
	s_branch .LBB294_9
.LBB294_12:
	v_lshlrev_b32_e32 v1, 2, v0
	s_and_b64 vcc, exec, s[20:21]
	ds_write_b32 v1, v6
	s_waitcnt lgkmcnt(0)
	s_barrier
	s_cbranch_vccz .LBB294_24
; %bb.13:
	v_cmp_gt_u16_e32 vcc, 7, v7
	s_and_saveexec_b64 s[0:1], vcc
	s_cbranch_execz .LBB294_15
; %bb.14:
	ds_read2_b32 v[2:3], v1 offset1:16
	s_waitcnt lgkmcnt(0)
	v_add_f32_e32 v2, v3, v2
	ds_write_b32 v1, v2
.LBB294_15:
	s_or_b64 exec, exec, s[0:1]
	v_cmp_gt_u16_e32 vcc, 8, v7
	s_waitcnt lgkmcnt(0)
	s_barrier
	s_and_saveexec_b64 s[0:1], vcc
	s_cbranch_execz .LBB294_17
; %bb.16:
	ds_read2_b32 v[2:3], v1 offset1:8
	s_waitcnt lgkmcnt(0)
	v_add_f32_e32 v2, v3, v2
	ds_write_b32 v1, v2
.LBB294_17:
	s_or_b64 exec, exec, s[0:1]
	v_cmp_gt_u16_e32 vcc, 4, v7
	s_waitcnt lgkmcnt(0)
	s_barrier
	;; [unrolled: 12-line block ×3, first 2 shown]
	s_and_saveexec_b64 s[0:1], vcc
	s_cbranch_execz .LBB294_21
; %bb.20:
	ds_read2_b32 v[2:3], v1 offset1:2
	s_waitcnt lgkmcnt(0)
	v_add_f32_e32 v2, v3, v2
	ds_write_b32 v1, v2
.LBB294_21:
	s_or_b64 exec, exec, s[0:1]
	v_cmp_gt_u32_e32 vcc, 23, v0
	v_mov_b32_e32 v2, v6
	s_waitcnt lgkmcnt(0)
	s_barrier
	s_and_saveexec_b64 s[0:1], vcc
	s_cbranch_execz .LBB294_23
; %bb.22:
	s_movk_i32 s2, 0x58
	v_mad_u32_u24 v2, v0, s2, v1
	ds_read2_b32 v[2:3], v2 offset1:1
	s_waitcnt lgkmcnt(0)
	v_add_f32_e32 v2, v2, v3
.LBB294_23:
	s_or_b64 exec, exec, s[0:1]
	s_branch .LBB294_36
.LBB294_24:
                                        ; implicit-def: $vgpr2
	s_cbranch_execz .LBB294_36
; %bb.25:
	s_movk_i32 s0, 0xa1
	v_cmp_gt_u32_e32 vcc, s0, v0
	s_and_saveexec_b64 s[0:1], vcc
	s_cbranch_execz .LBB294_27
; %bb.26:
	ds_read_b32 v2, v1 offset:1472
	ds_read_b32 v3, v1
	s_waitcnt lgkmcnt(0)
	v_add_f32_e32 v2, v2, v3
	ds_write_b32 v1, v2
.LBB294_27:
	s_or_b64 exec, exec, s[0:1]
	s_movk_i32 s0, 0xb8
	v_cmp_gt_u32_e32 vcc, s0, v0
	s_waitcnt lgkmcnt(0)
	s_barrier
	s_and_saveexec_b64 s[0:1], vcc
	s_cbranch_execz .LBB294_29
; %bb.28:
	ds_read2_b32 v[2:3], v1 offset1:184
	s_waitcnt lgkmcnt(0)
	v_add_f32_e32 v2, v3, v2
	ds_write_b32 v1, v2
.LBB294_29:
	s_or_b64 exec, exec, s[0:1]
	s_movk_i32 s0, 0x5c
	v_cmp_gt_u32_e32 vcc, s0, v0
	s_waitcnt lgkmcnt(0)
	s_barrier
	s_and_saveexec_b64 s[0:1], vcc
	s_cbranch_execz .LBB294_31
; %bb.30:
	ds_read2_b32 v[2:3], v1 offset1:92
	s_waitcnt lgkmcnt(0)
	v_add_f32_e32 v2, v3, v2
	ds_write_b32 v1, v2
.LBB294_31:
	s_or_b64 exec, exec, s[0:1]
	v_cmp_gt_u32_e32 vcc, 46, v0
	s_waitcnt lgkmcnt(0)
	s_barrier
	s_and_saveexec_b64 s[0:1], vcc
	s_cbranch_execz .LBB294_33
; %bb.32:
	ds_read2_b32 v[2:3], v1 offset1:46
	s_waitcnt lgkmcnt(0)
	v_add_f32_e32 v2, v3, v2
	ds_write_b32 v1, v2
.LBB294_33:
	s_or_b64 exec, exec, s[0:1]
	v_cmp_gt_u32_e32 vcc, 23, v0
	s_waitcnt lgkmcnt(0)
	s_and_saveexec_b64 s[0:1], vcc
	s_cbranch_execz .LBB294_35
; %bb.34:
	ds_read2_b32 v[1:2], v1 offset1:23
	s_waitcnt lgkmcnt(0)
	v_add_f32_e32 v6, v1, v2
.LBB294_35:
	s_or_b64 exec, exec, s[0:1]
	v_mov_b32_e32 v2, v6
.LBB294_36:
	v_cmp_gt_u32_e32 vcc, 23, v0
	s_and_saveexec_b64 s[0:1], vcc
	s_cbranch_execz .LBB294_40
; %bb.37:
	v_cmp_eq_f32_e64 s[0:1], s12, 0
	s_and_b64 vcc, exec, s[0:1]
	v_mul_f32_e32 v1, s14, v2
	s_cbranch_vccz .LBB294_41
; %bb.38:
	v_mad_u64_u32 v[2:3], s[0:1], s6, 23, v[0:1]
	v_mov_b32_e32 v3, 0
	v_mov_b32_e32 v4, s17
	v_lshlrev_b64 v[2:3], 2, v[2:3]
	v_add_co_u32_e32 v2, vcc, s16, v2
	v_addc_co_u32_e32 v3, vcc, v4, v3, vcc
	global_store_dword v[2:3], v1, off
	s_cbranch_execnz .LBB294_40
.LBB294_39:
	v_mad_u64_u32 v[2:3], s[0:1], s6, 23, v[0:1]
	v_mov_b32_e32 v3, 0
	v_mov_b32_e32 v0, s17
	v_lshlrev_b64 v[2:3], 2, v[2:3]
	v_add_co_u32_e32 v2, vcc, s16, v2
	v_addc_co_u32_e32 v3, vcc, v0, v3, vcc
	global_load_dword v0, v[2:3], off
	s_waitcnt vmcnt(0)
	v_fmac_f32_e32 v1, s12, v0
	global_store_dword v[2:3], v1, off
.LBB294_40:
	s_endpgm
.LBB294_41:
	s_branch .LBB294_39
	.section	.rodata,"a",@progbits
	.p2align	6, 0x0
	.amdhsa_kernel _ZN9rocsparseL20bsrxmvn_17_32_kernelILj23EfiiDF16_DF16_fEEvT2_20rocsparse_direction_NS_24const_host_device_scalarIT0_EES1_PKS1_PKT1_SA_S7_PKT3_PKT4_S5_PT5_21rocsparse_index_base_b
		.amdhsa_group_segment_fixed_size 2116
		.amdhsa_private_segment_fixed_size 0
		.amdhsa_kernarg_size 96
		.amdhsa_user_sgpr_count 6
		.amdhsa_user_sgpr_private_segment_buffer 1
		.amdhsa_user_sgpr_dispatch_ptr 0
		.amdhsa_user_sgpr_queue_ptr 0
		.amdhsa_user_sgpr_kernarg_segment_ptr 1
		.amdhsa_user_sgpr_dispatch_id 0
		.amdhsa_user_sgpr_flat_scratch_init 0
		.amdhsa_user_sgpr_private_segment_size 0
		.amdhsa_uses_dynamic_stack 0
		.amdhsa_system_sgpr_private_segment_wavefront_offset 0
		.amdhsa_system_sgpr_workgroup_id_x 1
		.amdhsa_system_sgpr_workgroup_id_y 0
		.amdhsa_system_sgpr_workgroup_id_z 0
		.amdhsa_system_sgpr_workgroup_info 0
		.amdhsa_system_vgpr_workitem_id 0
		.amdhsa_next_free_vgpr 25
		.amdhsa_next_free_sgpr 61
		.amdhsa_reserve_vcc 1
		.amdhsa_reserve_flat_scratch 0
		.amdhsa_float_round_mode_32 0
		.amdhsa_float_round_mode_16_64 0
		.amdhsa_float_denorm_mode_32 3
		.amdhsa_float_denorm_mode_16_64 3
		.amdhsa_dx10_clamp 1
		.amdhsa_ieee_mode 1
		.amdhsa_fp16_overflow 0
		.amdhsa_exception_fp_ieee_invalid_op 0
		.amdhsa_exception_fp_denorm_src 0
		.amdhsa_exception_fp_ieee_div_zero 0
		.amdhsa_exception_fp_ieee_overflow 0
		.amdhsa_exception_fp_ieee_underflow 0
		.amdhsa_exception_fp_ieee_inexact 0
		.amdhsa_exception_int_div_zero 0
	.end_amdhsa_kernel
	.section	.text._ZN9rocsparseL20bsrxmvn_17_32_kernelILj23EfiiDF16_DF16_fEEvT2_20rocsparse_direction_NS_24const_host_device_scalarIT0_EES1_PKS1_PKT1_SA_S7_PKT3_PKT4_S5_PT5_21rocsparse_index_base_b,"axG",@progbits,_ZN9rocsparseL20bsrxmvn_17_32_kernelILj23EfiiDF16_DF16_fEEvT2_20rocsparse_direction_NS_24const_host_device_scalarIT0_EES1_PKS1_PKT1_SA_S7_PKT3_PKT4_S5_PT5_21rocsparse_index_base_b,comdat
.Lfunc_end294:
	.size	_ZN9rocsparseL20bsrxmvn_17_32_kernelILj23EfiiDF16_DF16_fEEvT2_20rocsparse_direction_NS_24const_host_device_scalarIT0_EES1_PKS1_PKT1_SA_S7_PKT3_PKT4_S5_PT5_21rocsparse_index_base_b, .Lfunc_end294-_ZN9rocsparseL20bsrxmvn_17_32_kernelILj23EfiiDF16_DF16_fEEvT2_20rocsparse_direction_NS_24const_host_device_scalarIT0_EES1_PKS1_PKT1_SA_S7_PKT3_PKT4_S5_PT5_21rocsparse_index_base_b
                                        ; -- End function
	.set _ZN9rocsparseL20bsrxmvn_17_32_kernelILj23EfiiDF16_DF16_fEEvT2_20rocsparse_direction_NS_24const_host_device_scalarIT0_EES1_PKS1_PKT1_SA_S7_PKT3_PKT4_S5_PT5_21rocsparse_index_base_b.num_vgpr, 11
	.set _ZN9rocsparseL20bsrxmvn_17_32_kernelILj23EfiiDF16_DF16_fEEvT2_20rocsparse_direction_NS_24const_host_device_scalarIT0_EES1_PKS1_PKT1_SA_S7_PKT3_PKT4_S5_PT5_21rocsparse_index_base_b.num_agpr, 0
	.set _ZN9rocsparseL20bsrxmvn_17_32_kernelILj23EfiiDF16_DF16_fEEvT2_20rocsparse_direction_NS_24const_host_device_scalarIT0_EES1_PKS1_PKT1_SA_S7_PKT3_PKT4_S5_PT5_21rocsparse_index_base_b.numbered_sgpr, 22
	.set _ZN9rocsparseL20bsrxmvn_17_32_kernelILj23EfiiDF16_DF16_fEEvT2_20rocsparse_direction_NS_24const_host_device_scalarIT0_EES1_PKS1_PKT1_SA_S7_PKT3_PKT4_S5_PT5_21rocsparse_index_base_b.num_named_barrier, 0
	.set _ZN9rocsparseL20bsrxmvn_17_32_kernelILj23EfiiDF16_DF16_fEEvT2_20rocsparse_direction_NS_24const_host_device_scalarIT0_EES1_PKS1_PKT1_SA_S7_PKT3_PKT4_S5_PT5_21rocsparse_index_base_b.private_seg_size, 0
	.set _ZN9rocsparseL20bsrxmvn_17_32_kernelILj23EfiiDF16_DF16_fEEvT2_20rocsparse_direction_NS_24const_host_device_scalarIT0_EES1_PKS1_PKT1_SA_S7_PKT3_PKT4_S5_PT5_21rocsparse_index_base_b.uses_vcc, 1
	.set _ZN9rocsparseL20bsrxmvn_17_32_kernelILj23EfiiDF16_DF16_fEEvT2_20rocsparse_direction_NS_24const_host_device_scalarIT0_EES1_PKS1_PKT1_SA_S7_PKT3_PKT4_S5_PT5_21rocsparse_index_base_b.uses_flat_scratch, 0
	.set _ZN9rocsparseL20bsrxmvn_17_32_kernelILj23EfiiDF16_DF16_fEEvT2_20rocsparse_direction_NS_24const_host_device_scalarIT0_EES1_PKS1_PKT1_SA_S7_PKT3_PKT4_S5_PT5_21rocsparse_index_base_b.has_dyn_sized_stack, 0
	.set _ZN9rocsparseL20bsrxmvn_17_32_kernelILj23EfiiDF16_DF16_fEEvT2_20rocsparse_direction_NS_24const_host_device_scalarIT0_EES1_PKS1_PKT1_SA_S7_PKT3_PKT4_S5_PT5_21rocsparse_index_base_b.has_recursion, 0
	.set _ZN9rocsparseL20bsrxmvn_17_32_kernelILj23EfiiDF16_DF16_fEEvT2_20rocsparse_direction_NS_24const_host_device_scalarIT0_EES1_PKS1_PKT1_SA_S7_PKT3_PKT4_S5_PT5_21rocsparse_index_base_b.has_indirect_call, 0
	.section	.AMDGPU.csdata,"",@progbits
; Kernel info:
; codeLenInByte = 1244
; TotalNumSgprs: 26
; NumVgprs: 11
; ScratchSize: 0
; MemoryBound: 0
; FloatMode: 240
; IeeeMode: 1
; LDSByteSize: 2116 bytes/workgroup (compile time only)
; SGPRBlocks: 8
; VGPRBlocks: 6
; NumSGPRsForWavesPerEU: 65
; NumVGPRsForWavesPerEU: 25
; Occupancy: 9
; WaveLimiterHint : 1
; COMPUTE_PGM_RSRC2:SCRATCH_EN: 0
; COMPUTE_PGM_RSRC2:USER_SGPR: 6
; COMPUTE_PGM_RSRC2:TRAP_HANDLER: 0
; COMPUTE_PGM_RSRC2:TGID_X_EN: 1
; COMPUTE_PGM_RSRC2:TGID_Y_EN: 0
; COMPUTE_PGM_RSRC2:TGID_Z_EN: 0
; COMPUTE_PGM_RSRC2:TIDIG_COMP_CNT: 0
	.section	.text._ZN9rocsparseL20bsrxmvn_17_32_kernelILj24EfiiDF16_DF16_fEEvT2_20rocsparse_direction_NS_24const_host_device_scalarIT0_EES1_PKS1_PKT1_SA_S7_PKT3_PKT4_S5_PT5_21rocsparse_index_base_b,"axG",@progbits,_ZN9rocsparseL20bsrxmvn_17_32_kernelILj24EfiiDF16_DF16_fEEvT2_20rocsparse_direction_NS_24const_host_device_scalarIT0_EES1_PKS1_PKT1_SA_S7_PKT3_PKT4_S5_PT5_21rocsparse_index_base_b,comdat
	.globl	_ZN9rocsparseL20bsrxmvn_17_32_kernelILj24EfiiDF16_DF16_fEEvT2_20rocsparse_direction_NS_24const_host_device_scalarIT0_EES1_PKS1_PKT1_SA_S7_PKT3_PKT4_S5_PT5_21rocsparse_index_base_b ; -- Begin function _ZN9rocsparseL20bsrxmvn_17_32_kernelILj24EfiiDF16_DF16_fEEvT2_20rocsparse_direction_NS_24const_host_device_scalarIT0_EES1_PKS1_PKT1_SA_S7_PKT3_PKT4_S5_PT5_21rocsparse_index_base_b
	.p2align	8
	.type	_ZN9rocsparseL20bsrxmvn_17_32_kernelILj24EfiiDF16_DF16_fEEvT2_20rocsparse_direction_NS_24const_host_device_scalarIT0_EES1_PKS1_PKT1_SA_S7_PKT3_PKT4_S5_PT5_21rocsparse_index_base_b,@function
_ZN9rocsparseL20bsrxmvn_17_32_kernelILj24EfiiDF16_DF16_fEEvT2_20rocsparse_direction_NS_24const_host_device_scalarIT0_EES1_PKS1_PKT1_SA_S7_PKT3_PKT4_S5_PT5_21rocsparse_index_base_b: ; @_ZN9rocsparseL20bsrxmvn_17_32_kernelILj24EfiiDF16_DF16_fEEvT2_20rocsparse_direction_NS_24const_host_device_scalarIT0_EES1_PKS1_PKT1_SA_S7_PKT3_PKT4_S5_PT5_21rocsparse_index_base_b
; %bb.0:
	s_load_dwordx2 s[18:19], s[4:5], 0x58
	s_load_dwordx2 s[14:15], s[4:5], 0x8
	;; [unrolled: 1-line block ×3, first 2 shown]
	s_waitcnt lgkmcnt(0)
	s_bitcmp1_b32 s19, 0
	s_cselect_b64 s[2:3], -1, 0
	s_xor_b64 s[0:1], s[2:3], -1
	s_and_b64 vcc, exec, s[2:3]
	s_cbranch_vccnz .LBB295_2
; %bb.1:
	s_load_dword s14, s[14:15], 0x0
.LBB295_2:
	s_andn2_b64 vcc, exec, s[0:1]
	s_cbranch_vccnz .LBB295_4
; %bb.3:
	s_load_dword s12, s[12:13], 0x0
.LBB295_4:
	s_waitcnt lgkmcnt(0)
	v_cmp_neq_f32_e64 s[0:1], s14, 0
	v_cmp_neq_f32_e64 s[2:3], s12, 1.0
	s_or_b64 s[0:1], s[0:1], s[2:3]
	s_andn2_b64 vcc, exec, s[0:1]
	s_cbranch_vccnz .LBB295_40
; %bb.5:
	s_load_dwordx4 s[0:3], s[4:5], 0x18
	s_load_dwordx2 s[8:9], s[4:5], 0x28
	s_waitcnt lgkmcnt(0)
	s_cmp_eq_u64 s[0:1], 0
	s_cbranch_scc1 .LBB295_7
; %bb.6:
	s_ashr_i32 s7, s6, 31
	s_lshl_b64 s[6:7], s[6:7], 2
	s_add_u32 s0, s0, s6
	s_addc_u32 s1, s1, s7
	s_load_dword s0, s[0:1], 0x0
	s_waitcnt lgkmcnt(0)
	s_sub_i32 s6, s0, s18
.LBB295_7:
	s_load_dword s0, s[4:5], 0x4
	s_load_dwordx2 s[16:17], s[4:5], 0x50
	v_mul_u32_u24_e32 v1, 0xaab, v0
	v_mov_b32_e32 v2, 24
	v_mul_lo_u16_sdwa v2, v1, v2 dst_sel:DWORD dst_unused:UNUSED_PAD src0_sel:WORD_1 src1_sel:DWORD
	s_waitcnt lgkmcnt(0)
	s_cmp_eq_u32 s0, 1
	s_cselect_b64 vcc, -1, 0
	s_cmp_lg_u32 s0, 1
	s_cselect_b64 s[20:21], -1, 0
	s_ashr_i32 s7, s6, 31
	s_lshl_b64 s[0:1], s[6:7], 2
	s_add_u32 s2, s2, s0
	s_addc_u32 s3, s3, s1
	s_load_dword s7, s[2:3], 0x0
	s_add_u32 s2, s2, 4
	s_addc_u32 s3, s3, 0
	s_add_u32 s0, s8, s0
	s_addc_u32 s1, s9, s1
	s_cmp_eq_u64 s[8:9], 0
	s_cselect_b32 s1, s3, s1
	s_cselect_b32 s0, s2, s0
	s_load_dword s0, s[0:1], 0x0
	v_sub_u16_e32 v7, v0, v2
	v_mov_b32_e32 v6, 0
	s_waitcnt lgkmcnt(0)
	s_cmp_ge_i32 s7, s0
	s_cbranch_scc1 .LBB295_12
; %bb.8:
	s_load_dwordx4 s[8:11], s[4:5], 0x30
	s_load_dwordx2 s[2:3], s[4:5], 0x40
	s_sub_i32 s4, s0, s18
	s_mov_b32 s0, 0xffff
	s_movk_i32 s1, 0x240
	v_and_b32_sdwa v1, s0, v1 dst_sel:DWORD dst_unused:UNUSED_PAD src0_sel:DWORD src1_sel:WORD_1
	v_subrev_u32_e32 v2, 24, v1
	v_cmp_gt_u32_e64 s[0:1], s1, v0
	s_sub_i32 s5, s7, s18
	v_cndmask_b32_e64 v1, v2, v1, s[0:1]
	s_mul_i32 s1, s5, 0x480
	s_mul_hi_i32 s0, s5, 0x480
	s_waitcnt lgkmcnt(0)
	s_add_u32 s1, s10, s1
	s_addc_u32 s0, s11, s0
	v_lshlrev_b32_e32 v2, 1, v0
	v_cndmask_b32_e32 v1, v7, v1, vcc
	v_mov_b32_e32 v3, s0
	v_add_co_u32_e32 v2, vcc, s1, v2
	v_addc_co_u32_e32 v3, vcc, 0, v3, vcc
	s_movk_i32 s0, 0x23f
	v_cmp_lt_u32_e32 vcc, s0, v0
	v_mov_b32_e32 v6, 0
	v_cndmask_b32_e64 v8, 0, 1, vcc
	s_branch .LBB295_10
.LBB295_9:                              ;   in Loop: Header=BB295_10 Depth=1
	s_or_b64 exec, exec, s[0:1]
	s_add_i32 s5, s5, 1
	s_cmp_lt_i32 s5, s4
	s_cbranch_scc0 .LBB295_12
.LBB295_10:                             ; =>This Inner Loop Header: Depth=1
	v_add_u32_e32 v4, s5, v8
	v_cmp_gt_i32_e32 vcc, s4, v4
	s_and_saveexec_b64 s[0:1], vcc
	s_cbranch_execz .LBB295_9
; %bb.11:                               ;   in Loop: Header=BB295_10 Depth=1
	v_ashrrev_i32_e32 v5, 31, v4
	v_lshlrev_b64 v[4:5], 2, v[4:5]
	v_mov_b32_e32 v9, s9
	v_add_co_u32_e32 v4, vcc, s8, v4
	v_addc_co_u32_e32 v5, vcc, v9, v5, vcc
	global_load_dword v4, v[4:5], off
	v_mov_b32_e32 v10, s3
	global_load_ushort v9, v[2:3], off
	s_waitcnt vmcnt(1)
	v_subrev_u32_e32 v4, s18, v4
	v_mad_u64_u32 v[4:5], s[10:11], v4, 24, v[1:2]
	v_ashrrev_i32_e32 v5, 31, v4
	v_lshlrev_b64 v[4:5], 1, v[4:5]
	v_add_co_u32_e32 v4, vcc, s2, v4
	v_addc_co_u32_e32 v5, vcc, v10, v5, vcc
	global_load_ushort v4, v[4:5], off
	v_add_co_u32_e32 v2, vcc, 0x480, v2
	v_addc_co_u32_e32 v3, vcc, 0, v3, vcc
	s_waitcnt vmcnt(0)
	v_fma_mix_f32 v6, v9, v4, v6 op_sel_hi:[1,1,0]
	s_branch .LBB295_9
.LBB295_12:
	v_lshlrev_b32_e32 v1, 2, v0
	s_and_b64 vcc, exec, s[20:21]
	ds_write_b32 v1, v6
	s_waitcnt lgkmcnt(0)
	s_barrier
	s_cbranch_vccz .LBB295_24
; %bb.13:
	v_cmp_gt_u16_e32 vcc, 8, v7
	s_and_saveexec_b64 s[0:1], vcc
	s_cbranch_execz .LBB295_15
; %bb.14:
	ds_read2_b32 v[2:3], v1 offset1:16
	s_waitcnt lgkmcnt(0)
	v_add_f32_e32 v2, v3, v2
	ds_write_b32 v1, v2
.LBB295_15:
	s_or_b64 exec, exec, s[0:1]
	s_waitcnt lgkmcnt(0)
	s_barrier
	s_and_saveexec_b64 s[0:1], vcc
	s_cbranch_execz .LBB295_17
; %bb.16:
	ds_read2_b32 v[2:3], v1 offset1:8
	s_waitcnt lgkmcnt(0)
	v_add_f32_e32 v2, v3, v2
	ds_write_b32 v1, v2
.LBB295_17:
	s_or_b64 exec, exec, s[0:1]
	v_cmp_gt_u16_e32 vcc, 4, v7
	s_waitcnt lgkmcnt(0)
	s_barrier
	s_and_saveexec_b64 s[0:1], vcc
	s_cbranch_execz .LBB295_19
; %bb.18:
	ds_read2_b32 v[2:3], v1 offset1:4
	s_waitcnt lgkmcnt(0)
	v_add_f32_e32 v2, v3, v2
	ds_write_b32 v1, v2
.LBB295_19:
	s_or_b64 exec, exec, s[0:1]
	v_cmp_gt_u16_e32 vcc, 2, v7
	s_waitcnt lgkmcnt(0)
	s_barrier
	s_and_saveexec_b64 s[0:1], vcc
	s_cbranch_execz .LBB295_21
; %bb.20:
	ds_read2_b32 v[2:3], v1 offset1:2
	s_waitcnt lgkmcnt(0)
	v_add_f32_e32 v2, v3, v2
	ds_write_b32 v1, v2
.LBB295_21:
	s_or_b64 exec, exec, s[0:1]
	v_cmp_gt_u32_e32 vcc, 24, v0
	v_mov_b32_e32 v2, v6
	s_waitcnt lgkmcnt(0)
	s_barrier
	s_and_saveexec_b64 s[0:1], vcc
	s_cbranch_execz .LBB295_23
; %bb.22:
	s_movk_i32 s2, 0x5c
	v_mad_u32_u24 v2, v0, s2, v1
	ds_read_b64 v[2:3], v2
	s_waitcnt lgkmcnt(0)
	v_add_f32_e32 v2, v2, v3
.LBB295_23:
	s_or_b64 exec, exec, s[0:1]
	s_branch .LBB295_36
.LBB295_24:
                                        ; implicit-def: $vgpr2
	s_cbranch_execz .LBB295_36
; %bb.25:
	s_movk_i32 s0, 0xc0
	v_cmp_gt_u32_e32 vcc, s0, v0
	s_and_saveexec_b64 s[0:1], vcc
	s_cbranch_execz .LBB295_27
; %bb.26:
	ds_read2st64_b32 v[2:3], v1 offset1:6
	s_waitcnt lgkmcnt(0)
	v_add_f32_e32 v2, v3, v2
	ds_write_b32 v1, v2
.LBB295_27:
	s_or_b64 exec, exec, s[0:1]
	s_waitcnt lgkmcnt(0)
	s_barrier
	s_and_saveexec_b64 s[0:1], vcc
	s_cbranch_execz .LBB295_29
; %bb.28:
	ds_read2st64_b32 v[2:3], v1 offset1:3
	s_waitcnt lgkmcnt(0)
	v_add_f32_e32 v2, v3, v2
	ds_write_b32 v1, v2
.LBB295_29:
	s_or_b64 exec, exec, s[0:1]
	s_movk_i32 s0, 0x60
	v_cmp_gt_u32_e32 vcc, s0, v0
	s_waitcnt lgkmcnt(0)
	s_barrier
	s_and_saveexec_b64 s[0:1], vcc
	s_cbranch_execz .LBB295_31
; %bb.30:
	ds_read2_b32 v[2:3], v1 offset1:96
	s_waitcnt lgkmcnt(0)
	v_add_f32_e32 v2, v3, v2
	ds_write_b32 v1, v2
.LBB295_31:
	s_or_b64 exec, exec, s[0:1]
	v_cmp_gt_u32_e32 vcc, 48, v0
	s_waitcnt lgkmcnt(0)
	s_barrier
	s_and_saveexec_b64 s[0:1], vcc
	s_cbranch_execz .LBB295_33
; %bb.32:
	ds_read2_b32 v[2:3], v1 offset1:48
	s_waitcnt lgkmcnt(0)
	v_add_f32_e32 v2, v3, v2
	ds_write_b32 v1, v2
.LBB295_33:
	s_or_b64 exec, exec, s[0:1]
	v_cmp_gt_u32_e32 vcc, 24, v0
	s_waitcnt lgkmcnt(0)
	s_and_saveexec_b64 s[0:1], vcc
	s_cbranch_execz .LBB295_35
; %bb.34:
	ds_read2_b32 v[1:2], v1 offset1:24
	s_waitcnt lgkmcnt(0)
	v_add_f32_e32 v6, v1, v2
.LBB295_35:
	s_or_b64 exec, exec, s[0:1]
	v_mov_b32_e32 v2, v6
.LBB295_36:
	v_cmp_gt_u32_e32 vcc, 24, v0
	s_and_saveexec_b64 s[0:1], vcc
	s_cbranch_execz .LBB295_40
; %bb.37:
	v_cmp_eq_f32_e64 s[0:1], s12, 0
	s_and_b64 vcc, exec, s[0:1]
	v_mul_f32_e32 v1, s14, v2
	s_cbranch_vccz .LBB295_41
; %bb.38:
	v_mad_u64_u32 v[2:3], s[0:1], s6, 24, v[0:1]
	v_mov_b32_e32 v3, 0
	v_mov_b32_e32 v4, s17
	v_lshlrev_b64 v[2:3], 2, v[2:3]
	v_add_co_u32_e32 v2, vcc, s16, v2
	v_addc_co_u32_e32 v3, vcc, v4, v3, vcc
	global_store_dword v[2:3], v1, off
	s_cbranch_execnz .LBB295_40
.LBB295_39:
	v_mad_u64_u32 v[2:3], s[0:1], s6, 24, v[0:1]
	v_mov_b32_e32 v3, 0
	v_mov_b32_e32 v0, s17
	v_lshlrev_b64 v[2:3], 2, v[2:3]
	v_add_co_u32_e32 v2, vcc, s16, v2
	v_addc_co_u32_e32 v3, vcc, v0, v3, vcc
	global_load_dword v0, v[2:3], off
	s_waitcnt vmcnt(0)
	v_fmac_f32_e32 v1, s12, v0
	global_store_dword v[2:3], v1, off
.LBB295_40:
	s_endpgm
.LBB295_41:
	s_branch .LBB295_39
	.section	.rodata,"a",@progbits
	.p2align	6, 0x0
	.amdhsa_kernel _ZN9rocsparseL20bsrxmvn_17_32_kernelILj24EfiiDF16_DF16_fEEvT2_20rocsparse_direction_NS_24const_host_device_scalarIT0_EES1_PKS1_PKT1_SA_S7_PKT3_PKT4_S5_PT5_21rocsparse_index_base_b
		.amdhsa_group_segment_fixed_size 2304
		.amdhsa_private_segment_fixed_size 0
		.amdhsa_kernarg_size 96
		.amdhsa_user_sgpr_count 6
		.amdhsa_user_sgpr_private_segment_buffer 1
		.amdhsa_user_sgpr_dispatch_ptr 0
		.amdhsa_user_sgpr_queue_ptr 0
		.amdhsa_user_sgpr_kernarg_segment_ptr 1
		.amdhsa_user_sgpr_dispatch_id 0
		.amdhsa_user_sgpr_flat_scratch_init 0
		.amdhsa_user_sgpr_private_segment_size 0
		.amdhsa_uses_dynamic_stack 0
		.amdhsa_system_sgpr_private_segment_wavefront_offset 0
		.amdhsa_system_sgpr_workgroup_id_x 1
		.amdhsa_system_sgpr_workgroup_id_y 0
		.amdhsa_system_sgpr_workgroup_id_z 0
		.amdhsa_system_sgpr_workgroup_info 0
		.amdhsa_system_vgpr_workitem_id 0
		.amdhsa_next_free_vgpr 25
		.amdhsa_next_free_sgpr 61
		.amdhsa_reserve_vcc 1
		.amdhsa_reserve_flat_scratch 0
		.amdhsa_float_round_mode_32 0
		.amdhsa_float_round_mode_16_64 0
		.amdhsa_float_denorm_mode_32 3
		.amdhsa_float_denorm_mode_16_64 3
		.amdhsa_dx10_clamp 1
		.amdhsa_ieee_mode 1
		.amdhsa_fp16_overflow 0
		.amdhsa_exception_fp_ieee_invalid_op 0
		.amdhsa_exception_fp_denorm_src 0
		.amdhsa_exception_fp_ieee_div_zero 0
		.amdhsa_exception_fp_ieee_overflow 0
		.amdhsa_exception_fp_ieee_underflow 0
		.amdhsa_exception_fp_ieee_inexact 0
		.amdhsa_exception_int_div_zero 0
	.end_amdhsa_kernel
	.section	.text._ZN9rocsparseL20bsrxmvn_17_32_kernelILj24EfiiDF16_DF16_fEEvT2_20rocsparse_direction_NS_24const_host_device_scalarIT0_EES1_PKS1_PKT1_SA_S7_PKT3_PKT4_S5_PT5_21rocsparse_index_base_b,"axG",@progbits,_ZN9rocsparseL20bsrxmvn_17_32_kernelILj24EfiiDF16_DF16_fEEvT2_20rocsparse_direction_NS_24const_host_device_scalarIT0_EES1_PKS1_PKT1_SA_S7_PKT3_PKT4_S5_PT5_21rocsparse_index_base_b,comdat
.Lfunc_end295:
	.size	_ZN9rocsparseL20bsrxmvn_17_32_kernelILj24EfiiDF16_DF16_fEEvT2_20rocsparse_direction_NS_24const_host_device_scalarIT0_EES1_PKS1_PKT1_SA_S7_PKT3_PKT4_S5_PT5_21rocsparse_index_base_b, .Lfunc_end295-_ZN9rocsparseL20bsrxmvn_17_32_kernelILj24EfiiDF16_DF16_fEEvT2_20rocsparse_direction_NS_24const_host_device_scalarIT0_EES1_PKS1_PKT1_SA_S7_PKT3_PKT4_S5_PT5_21rocsparse_index_base_b
                                        ; -- End function
	.set _ZN9rocsparseL20bsrxmvn_17_32_kernelILj24EfiiDF16_DF16_fEEvT2_20rocsparse_direction_NS_24const_host_device_scalarIT0_EES1_PKS1_PKT1_SA_S7_PKT3_PKT4_S5_PT5_21rocsparse_index_base_b.num_vgpr, 11
	.set _ZN9rocsparseL20bsrxmvn_17_32_kernelILj24EfiiDF16_DF16_fEEvT2_20rocsparse_direction_NS_24const_host_device_scalarIT0_EES1_PKS1_PKT1_SA_S7_PKT3_PKT4_S5_PT5_21rocsparse_index_base_b.num_agpr, 0
	.set _ZN9rocsparseL20bsrxmvn_17_32_kernelILj24EfiiDF16_DF16_fEEvT2_20rocsparse_direction_NS_24const_host_device_scalarIT0_EES1_PKS1_PKT1_SA_S7_PKT3_PKT4_S5_PT5_21rocsparse_index_base_b.numbered_sgpr, 22
	.set _ZN9rocsparseL20bsrxmvn_17_32_kernelILj24EfiiDF16_DF16_fEEvT2_20rocsparse_direction_NS_24const_host_device_scalarIT0_EES1_PKS1_PKT1_SA_S7_PKT3_PKT4_S5_PT5_21rocsparse_index_base_b.num_named_barrier, 0
	.set _ZN9rocsparseL20bsrxmvn_17_32_kernelILj24EfiiDF16_DF16_fEEvT2_20rocsparse_direction_NS_24const_host_device_scalarIT0_EES1_PKS1_PKT1_SA_S7_PKT3_PKT4_S5_PT5_21rocsparse_index_base_b.private_seg_size, 0
	.set _ZN9rocsparseL20bsrxmvn_17_32_kernelILj24EfiiDF16_DF16_fEEvT2_20rocsparse_direction_NS_24const_host_device_scalarIT0_EES1_PKS1_PKT1_SA_S7_PKT3_PKT4_S5_PT5_21rocsparse_index_base_b.uses_vcc, 1
	.set _ZN9rocsparseL20bsrxmvn_17_32_kernelILj24EfiiDF16_DF16_fEEvT2_20rocsparse_direction_NS_24const_host_device_scalarIT0_EES1_PKS1_PKT1_SA_S7_PKT3_PKT4_S5_PT5_21rocsparse_index_base_b.uses_flat_scratch, 0
	.set _ZN9rocsparseL20bsrxmvn_17_32_kernelILj24EfiiDF16_DF16_fEEvT2_20rocsparse_direction_NS_24const_host_device_scalarIT0_EES1_PKS1_PKT1_SA_S7_PKT3_PKT4_S5_PT5_21rocsparse_index_base_b.has_dyn_sized_stack, 0
	.set _ZN9rocsparseL20bsrxmvn_17_32_kernelILj24EfiiDF16_DF16_fEEvT2_20rocsparse_direction_NS_24const_host_device_scalarIT0_EES1_PKS1_PKT1_SA_S7_PKT3_PKT4_S5_PT5_21rocsparse_index_base_b.has_recursion, 0
	.set _ZN9rocsparseL20bsrxmvn_17_32_kernelILj24EfiiDF16_DF16_fEEvT2_20rocsparse_direction_NS_24const_host_device_scalarIT0_EES1_PKS1_PKT1_SA_S7_PKT3_PKT4_S5_PT5_21rocsparse_index_base_b.has_indirect_call, 0
	.section	.AMDGPU.csdata,"",@progbits
; Kernel info:
; codeLenInByte = 1224
; TotalNumSgprs: 26
; NumVgprs: 11
; ScratchSize: 0
; MemoryBound: 0
; FloatMode: 240
; IeeeMode: 1
; LDSByteSize: 2304 bytes/workgroup (compile time only)
; SGPRBlocks: 8
; VGPRBlocks: 6
; NumSGPRsForWavesPerEU: 65
; NumVGPRsForWavesPerEU: 25
; Occupancy: 9
; WaveLimiterHint : 1
; COMPUTE_PGM_RSRC2:SCRATCH_EN: 0
; COMPUTE_PGM_RSRC2:USER_SGPR: 6
; COMPUTE_PGM_RSRC2:TRAP_HANDLER: 0
; COMPUTE_PGM_RSRC2:TGID_X_EN: 1
; COMPUTE_PGM_RSRC2:TGID_Y_EN: 0
; COMPUTE_PGM_RSRC2:TGID_Z_EN: 0
; COMPUTE_PGM_RSRC2:TIDIG_COMP_CNT: 0
	.section	.text._ZN9rocsparseL20bsrxmvn_17_32_kernelILj25EfiiDF16_DF16_fEEvT2_20rocsparse_direction_NS_24const_host_device_scalarIT0_EES1_PKS1_PKT1_SA_S7_PKT3_PKT4_S5_PT5_21rocsparse_index_base_b,"axG",@progbits,_ZN9rocsparseL20bsrxmvn_17_32_kernelILj25EfiiDF16_DF16_fEEvT2_20rocsparse_direction_NS_24const_host_device_scalarIT0_EES1_PKS1_PKT1_SA_S7_PKT3_PKT4_S5_PT5_21rocsparse_index_base_b,comdat
	.globl	_ZN9rocsparseL20bsrxmvn_17_32_kernelILj25EfiiDF16_DF16_fEEvT2_20rocsparse_direction_NS_24const_host_device_scalarIT0_EES1_PKS1_PKT1_SA_S7_PKT3_PKT4_S5_PT5_21rocsparse_index_base_b ; -- Begin function _ZN9rocsparseL20bsrxmvn_17_32_kernelILj25EfiiDF16_DF16_fEEvT2_20rocsparse_direction_NS_24const_host_device_scalarIT0_EES1_PKS1_PKT1_SA_S7_PKT3_PKT4_S5_PT5_21rocsparse_index_base_b
	.p2align	8
	.type	_ZN9rocsparseL20bsrxmvn_17_32_kernelILj25EfiiDF16_DF16_fEEvT2_20rocsparse_direction_NS_24const_host_device_scalarIT0_EES1_PKS1_PKT1_SA_S7_PKT3_PKT4_S5_PT5_21rocsparse_index_base_b,@function
_ZN9rocsparseL20bsrxmvn_17_32_kernelILj25EfiiDF16_DF16_fEEvT2_20rocsparse_direction_NS_24const_host_device_scalarIT0_EES1_PKS1_PKT1_SA_S7_PKT3_PKT4_S5_PT5_21rocsparse_index_base_b: ; @_ZN9rocsparseL20bsrxmvn_17_32_kernelILj25EfiiDF16_DF16_fEEvT2_20rocsparse_direction_NS_24const_host_device_scalarIT0_EES1_PKS1_PKT1_SA_S7_PKT3_PKT4_S5_PT5_21rocsparse_index_base_b
; %bb.0:
	s_load_dwordx2 s[18:19], s[4:5], 0x58
	s_load_dwordx2 s[14:15], s[4:5], 0x8
	;; [unrolled: 1-line block ×3, first 2 shown]
	s_waitcnt lgkmcnt(0)
	s_bitcmp1_b32 s19, 0
	s_cselect_b64 s[2:3], -1, 0
	s_xor_b64 s[0:1], s[2:3], -1
	s_and_b64 vcc, exec, s[2:3]
	s_cbranch_vccnz .LBB296_2
; %bb.1:
	s_load_dword s14, s[14:15], 0x0
.LBB296_2:
	s_andn2_b64 vcc, exec, s[0:1]
	s_cbranch_vccnz .LBB296_4
; %bb.3:
	s_load_dword s12, s[12:13], 0x0
.LBB296_4:
	s_waitcnt lgkmcnt(0)
	v_cmp_neq_f32_e64 s[0:1], s14, 0
	v_cmp_neq_f32_e64 s[2:3], s12, 1.0
	s_or_b64 s[0:1], s[0:1], s[2:3]
	s_andn2_b64 vcc, exec, s[0:1]
	s_cbranch_vccnz .LBB296_40
; %bb.5:
	s_load_dwordx4 s[0:3], s[4:5], 0x18
	s_load_dwordx2 s[8:9], s[4:5], 0x28
	s_waitcnt lgkmcnt(0)
	s_cmp_eq_u64 s[0:1], 0
	s_cbranch_scc1 .LBB296_7
; %bb.6:
	s_ashr_i32 s7, s6, 31
	s_lshl_b64 s[6:7], s[6:7], 2
	s_add_u32 s0, s0, s6
	s_addc_u32 s1, s1, s7
	s_load_dword s0, s[0:1], 0x0
	s_waitcnt lgkmcnt(0)
	s_sub_i32 s6, s0, s18
.LBB296_7:
	s_load_dword s0, s[4:5], 0x4
	s_load_dwordx2 s[16:17], s[4:5], 0x50
	v_mul_u32_u24_e32 v1, 0xa3e, v0
	v_mov_b32_e32 v2, 25
	v_mul_lo_u16_sdwa v2, v1, v2 dst_sel:DWORD dst_unused:UNUSED_PAD src0_sel:WORD_1 src1_sel:DWORD
	s_waitcnt lgkmcnt(0)
	s_cmp_eq_u32 s0, 1
	s_cselect_b64 vcc, -1, 0
	s_cmp_lg_u32 s0, 1
	s_cselect_b64 s[20:21], -1, 0
	s_ashr_i32 s7, s6, 31
	s_lshl_b64 s[0:1], s[6:7], 2
	s_add_u32 s2, s2, s0
	s_addc_u32 s3, s3, s1
	s_load_dword s7, s[2:3], 0x0
	s_add_u32 s2, s2, 4
	s_addc_u32 s3, s3, 0
	s_add_u32 s0, s8, s0
	s_addc_u32 s1, s9, s1
	s_cmp_eq_u64 s[8:9], 0
	s_cselect_b32 s1, s3, s1
	s_cselect_b32 s0, s2, s0
	s_load_dword s0, s[0:1], 0x0
	v_sub_u16_e32 v7, v0, v2
	v_mov_b32_e32 v6, 0
	s_waitcnt lgkmcnt(0)
	s_cmp_ge_i32 s7, s0
	s_cbranch_scc1 .LBB296_12
; %bb.8:
	s_load_dwordx4 s[8:11], s[4:5], 0x30
	s_load_dwordx2 s[2:3], s[4:5], 0x40
	s_sub_i32 s4, s0, s18
	s_mov_b32 s0, 0xffff
	s_movk_i32 s1, 0x271
	v_and_b32_sdwa v1, s0, v1 dst_sel:DWORD dst_unused:UNUSED_PAD src0_sel:DWORD src1_sel:WORD_1
	v_subrev_u32_e32 v2, 25, v1
	v_cmp_gt_u32_e64 s[0:1], s1, v0
	s_sub_i32 s5, s7, s18
	v_cndmask_b32_e64 v1, v2, v1, s[0:1]
	s_mul_i32 s1, s5, 0x4e2
	s_mul_hi_i32 s0, s5, 0x4e2
	s_waitcnt lgkmcnt(0)
	s_add_u32 s1, s10, s1
	s_addc_u32 s0, s11, s0
	v_lshlrev_b32_e32 v2, 1, v0
	v_cndmask_b32_e32 v1, v7, v1, vcc
	v_mov_b32_e32 v3, s0
	v_add_co_u32_e32 v2, vcc, s1, v2
	v_addc_co_u32_e32 v3, vcc, 0, v3, vcc
	s_movk_i32 s0, 0x270
	v_cmp_lt_u32_e32 vcc, s0, v0
	v_mov_b32_e32 v6, 0
	v_cndmask_b32_e64 v8, 0, 1, vcc
	s_branch .LBB296_10
.LBB296_9:                              ;   in Loop: Header=BB296_10 Depth=1
	s_or_b64 exec, exec, s[0:1]
	s_add_i32 s5, s5, 1
	s_cmp_lt_i32 s5, s4
	s_cbranch_scc0 .LBB296_12
.LBB296_10:                             ; =>This Inner Loop Header: Depth=1
	v_add_u32_e32 v4, s5, v8
	v_cmp_gt_i32_e32 vcc, s4, v4
	s_and_saveexec_b64 s[0:1], vcc
	s_cbranch_execz .LBB296_9
; %bb.11:                               ;   in Loop: Header=BB296_10 Depth=1
	v_ashrrev_i32_e32 v5, 31, v4
	v_lshlrev_b64 v[4:5], 2, v[4:5]
	v_mov_b32_e32 v9, s9
	v_add_co_u32_e32 v4, vcc, s8, v4
	v_addc_co_u32_e32 v5, vcc, v9, v5, vcc
	global_load_dword v4, v[4:5], off
	v_mov_b32_e32 v10, s3
	global_load_ushort v9, v[2:3], off
	s_waitcnt vmcnt(1)
	v_subrev_u32_e32 v4, s18, v4
	v_mad_u64_u32 v[4:5], s[10:11], v4, 25, v[1:2]
	v_ashrrev_i32_e32 v5, 31, v4
	v_lshlrev_b64 v[4:5], 1, v[4:5]
	v_add_co_u32_e32 v4, vcc, s2, v4
	v_addc_co_u32_e32 v5, vcc, v10, v5, vcc
	global_load_ushort v4, v[4:5], off
	v_add_co_u32_e32 v2, vcc, 0x4e2, v2
	v_addc_co_u32_e32 v3, vcc, 0, v3, vcc
	s_waitcnt vmcnt(0)
	v_fma_mix_f32 v6, v9, v4, v6 op_sel_hi:[1,1,0]
	s_branch .LBB296_9
.LBB296_12:
	v_lshlrev_b32_e32 v1, 2, v0
	s_and_b64 vcc, exec, s[20:21]
	ds_write_b32 v1, v6
	s_waitcnt lgkmcnt(0)
	s_barrier
	s_cbranch_vccz .LBB296_24
; %bb.13:
	v_cmp_gt_u16_e32 vcc, 9, v7
	s_and_saveexec_b64 s[0:1], vcc
	s_cbranch_execz .LBB296_15
; %bb.14:
	ds_read2_b32 v[2:3], v1 offset1:16
	s_waitcnt lgkmcnt(0)
	v_add_f32_e32 v2, v3, v2
	ds_write_b32 v1, v2
.LBB296_15:
	s_or_b64 exec, exec, s[0:1]
	v_cmp_gt_u16_e32 vcc, 8, v7
	s_waitcnt lgkmcnt(0)
	s_barrier
	s_and_saveexec_b64 s[0:1], vcc
	s_cbranch_execz .LBB296_17
; %bb.16:
	ds_read2_b32 v[2:3], v1 offset1:8
	s_waitcnt lgkmcnt(0)
	v_add_f32_e32 v2, v3, v2
	ds_write_b32 v1, v2
.LBB296_17:
	s_or_b64 exec, exec, s[0:1]
	v_cmp_gt_u16_e32 vcc, 4, v7
	s_waitcnt lgkmcnt(0)
	s_barrier
	;; [unrolled: 12-line block ×3, first 2 shown]
	s_and_saveexec_b64 s[0:1], vcc
	s_cbranch_execz .LBB296_21
; %bb.20:
	ds_read2_b32 v[2:3], v1 offset1:2
	s_waitcnt lgkmcnt(0)
	v_add_f32_e32 v2, v3, v2
	ds_write_b32 v1, v2
.LBB296_21:
	s_or_b64 exec, exec, s[0:1]
	v_cmp_gt_u32_e32 vcc, 25, v0
	v_mov_b32_e32 v2, v6
	s_waitcnt lgkmcnt(0)
	s_barrier
	s_and_saveexec_b64 s[0:1], vcc
	s_cbranch_execz .LBB296_23
; %bb.22:
	s_movk_i32 s2, 0x60
	v_mad_u32_u24 v2, v0, s2, v1
	ds_read2_b32 v[2:3], v2 offset1:1
	s_waitcnt lgkmcnt(0)
	v_add_f32_e32 v2, v2, v3
.LBB296_23:
	s_or_b64 exec, exec, s[0:1]
	s_branch .LBB296_36
.LBB296_24:
                                        ; implicit-def: $vgpr2
	s_cbranch_execz .LBB296_36
; %bb.25:
	s_movk_i32 s0, 0xe1
	v_cmp_gt_u32_e32 vcc, s0, v0
	s_and_saveexec_b64 s[0:1], vcc
	s_cbranch_execz .LBB296_27
; %bb.26:
	ds_read_b32 v2, v1 offset:1600
	ds_read_b32 v3, v1
	s_waitcnt lgkmcnt(0)
	v_add_f32_e32 v2, v2, v3
	ds_write_b32 v1, v2
.LBB296_27:
	s_or_b64 exec, exec, s[0:1]
	s_movk_i32 s0, 0xc8
	v_cmp_gt_u32_e32 vcc, s0, v0
	s_waitcnt lgkmcnt(0)
	s_barrier
	s_and_saveexec_b64 s[0:1], vcc
	s_cbranch_execz .LBB296_29
; %bb.28:
	ds_read2_b32 v[2:3], v1 offset1:200
	s_waitcnt lgkmcnt(0)
	v_add_f32_e32 v2, v3, v2
	ds_write_b32 v1, v2
.LBB296_29:
	s_or_b64 exec, exec, s[0:1]
	s_movk_i32 s0, 0x64
	v_cmp_gt_u32_e32 vcc, s0, v0
	s_waitcnt lgkmcnt(0)
	s_barrier
	s_and_saveexec_b64 s[0:1], vcc
	s_cbranch_execz .LBB296_31
; %bb.30:
	ds_read2_b32 v[2:3], v1 offset1:100
	s_waitcnt lgkmcnt(0)
	v_add_f32_e32 v2, v3, v2
	ds_write_b32 v1, v2
.LBB296_31:
	s_or_b64 exec, exec, s[0:1]
	v_cmp_gt_u32_e32 vcc, 50, v0
	s_waitcnt lgkmcnt(0)
	s_barrier
	s_and_saveexec_b64 s[0:1], vcc
	s_cbranch_execz .LBB296_33
; %bb.32:
	ds_read2_b32 v[2:3], v1 offset1:50
	s_waitcnt lgkmcnt(0)
	v_add_f32_e32 v2, v3, v2
	ds_write_b32 v1, v2
.LBB296_33:
	s_or_b64 exec, exec, s[0:1]
	v_cmp_gt_u32_e32 vcc, 25, v0
	s_waitcnt lgkmcnt(0)
	s_and_saveexec_b64 s[0:1], vcc
	s_cbranch_execz .LBB296_35
; %bb.34:
	ds_read2_b32 v[1:2], v1 offset1:25
	s_waitcnt lgkmcnt(0)
	v_add_f32_e32 v6, v1, v2
.LBB296_35:
	s_or_b64 exec, exec, s[0:1]
	v_mov_b32_e32 v2, v6
.LBB296_36:
	v_cmp_gt_u32_e32 vcc, 25, v0
	s_and_saveexec_b64 s[0:1], vcc
	s_cbranch_execz .LBB296_40
; %bb.37:
	v_cmp_eq_f32_e64 s[0:1], s12, 0
	s_and_b64 vcc, exec, s[0:1]
	v_mul_f32_e32 v1, s14, v2
	s_cbranch_vccz .LBB296_41
; %bb.38:
	v_mad_u64_u32 v[2:3], s[0:1], s6, 25, v[0:1]
	v_mov_b32_e32 v3, 0
	v_mov_b32_e32 v4, s17
	v_lshlrev_b64 v[2:3], 2, v[2:3]
	v_add_co_u32_e32 v2, vcc, s16, v2
	v_addc_co_u32_e32 v3, vcc, v4, v3, vcc
	global_store_dword v[2:3], v1, off
	s_cbranch_execnz .LBB296_40
.LBB296_39:
	v_mad_u64_u32 v[2:3], s[0:1], s6, 25, v[0:1]
	v_mov_b32_e32 v3, 0
	v_mov_b32_e32 v0, s17
	v_lshlrev_b64 v[2:3], 2, v[2:3]
	v_add_co_u32_e32 v2, vcc, s16, v2
	v_addc_co_u32_e32 v3, vcc, v0, v3, vcc
	global_load_dword v0, v[2:3], off
	s_waitcnt vmcnt(0)
	v_fmac_f32_e32 v1, s12, v0
	global_store_dword v[2:3], v1, off
.LBB296_40:
	s_endpgm
.LBB296_41:
	s_branch .LBB296_39
	.section	.rodata,"a",@progbits
	.p2align	6, 0x0
	.amdhsa_kernel _ZN9rocsparseL20bsrxmvn_17_32_kernelILj25EfiiDF16_DF16_fEEvT2_20rocsparse_direction_NS_24const_host_device_scalarIT0_EES1_PKS1_PKT1_SA_S7_PKT3_PKT4_S5_PT5_21rocsparse_index_base_b
		.amdhsa_group_segment_fixed_size 2500
		.amdhsa_private_segment_fixed_size 0
		.amdhsa_kernarg_size 96
		.amdhsa_user_sgpr_count 6
		.amdhsa_user_sgpr_private_segment_buffer 1
		.amdhsa_user_sgpr_dispatch_ptr 0
		.amdhsa_user_sgpr_queue_ptr 0
		.amdhsa_user_sgpr_kernarg_segment_ptr 1
		.amdhsa_user_sgpr_dispatch_id 0
		.amdhsa_user_sgpr_flat_scratch_init 0
		.amdhsa_user_sgpr_private_segment_size 0
		.amdhsa_uses_dynamic_stack 0
		.amdhsa_system_sgpr_private_segment_wavefront_offset 0
		.amdhsa_system_sgpr_workgroup_id_x 1
		.amdhsa_system_sgpr_workgroup_id_y 0
		.amdhsa_system_sgpr_workgroup_id_z 0
		.amdhsa_system_sgpr_workgroup_info 0
		.amdhsa_system_vgpr_workitem_id 0
		.amdhsa_next_free_vgpr 11
		.amdhsa_next_free_sgpr 22
		.amdhsa_reserve_vcc 1
		.amdhsa_reserve_flat_scratch 0
		.amdhsa_float_round_mode_32 0
		.amdhsa_float_round_mode_16_64 0
		.amdhsa_float_denorm_mode_32 3
		.amdhsa_float_denorm_mode_16_64 3
		.amdhsa_dx10_clamp 1
		.amdhsa_ieee_mode 1
		.amdhsa_fp16_overflow 0
		.amdhsa_exception_fp_ieee_invalid_op 0
		.amdhsa_exception_fp_denorm_src 0
		.amdhsa_exception_fp_ieee_div_zero 0
		.amdhsa_exception_fp_ieee_overflow 0
		.amdhsa_exception_fp_ieee_underflow 0
		.amdhsa_exception_fp_ieee_inexact 0
		.amdhsa_exception_int_div_zero 0
	.end_amdhsa_kernel
	.section	.text._ZN9rocsparseL20bsrxmvn_17_32_kernelILj25EfiiDF16_DF16_fEEvT2_20rocsparse_direction_NS_24const_host_device_scalarIT0_EES1_PKS1_PKT1_SA_S7_PKT3_PKT4_S5_PT5_21rocsparse_index_base_b,"axG",@progbits,_ZN9rocsparseL20bsrxmvn_17_32_kernelILj25EfiiDF16_DF16_fEEvT2_20rocsparse_direction_NS_24const_host_device_scalarIT0_EES1_PKS1_PKT1_SA_S7_PKT3_PKT4_S5_PT5_21rocsparse_index_base_b,comdat
.Lfunc_end296:
	.size	_ZN9rocsparseL20bsrxmvn_17_32_kernelILj25EfiiDF16_DF16_fEEvT2_20rocsparse_direction_NS_24const_host_device_scalarIT0_EES1_PKS1_PKT1_SA_S7_PKT3_PKT4_S5_PT5_21rocsparse_index_base_b, .Lfunc_end296-_ZN9rocsparseL20bsrxmvn_17_32_kernelILj25EfiiDF16_DF16_fEEvT2_20rocsparse_direction_NS_24const_host_device_scalarIT0_EES1_PKS1_PKT1_SA_S7_PKT3_PKT4_S5_PT5_21rocsparse_index_base_b
                                        ; -- End function
	.set _ZN9rocsparseL20bsrxmvn_17_32_kernelILj25EfiiDF16_DF16_fEEvT2_20rocsparse_direction_NS_24const_host_device_scalarIT0_EES1_PKS1_PKT1_SA_S7_PKT3_PKT4_S5_PT5_21rocsparse_index_base_b.num_vgpr, 11
	.set _ZN9rocsparseL20bsrxmvn_17_32_kernelILj25EfiiDF16_DF16_fEEvT2_20rocsparse_direction_NS_24const_host_device_scalarIT0_EES1_PKS1_PKT1_SA_S7_PKT3_PKT4_S5_PT5_21rocsparse_index_base_b.num_agpr, 0
	.set _ZN9rocsparseL20bsrxmvn_17_32_kernelILj25EfiiDF16_DF16_fEEvT2_20rocsparse_direction_NS_24const_host_device_scalarIT0_EES1_PKS1_PKT1_SA_S7_PKT3_PKT4_S5_PT5_21rocsparse_index_base_b.numbered_sgpr, 22
	.set _ZN9rocsparseL20bsrxmvn_17_32_kernelILj25EfiiDF16_DF16_fEEvT2_20rocsparse_direction_NS_24const_host_device_scalarIT0_EES1_PKS1_PKT1_SA_S7_PKT3_PKT4_S5_PT5_21rocsparse_index_base_b.num_named_barrier, 0
	.set _ZN9rocsparseL20bsrxmvn_17_32_kernelILj25EfiiDF16_DF16_fEEvT2_20rocsparse_direction_NS_24const_host_device_scalarIT0_EES1_PKS1_PKT1_SA_S7_PKT3_PKT4_S5_PT5_21rocsparse_index_base_b.private_seg_size, 0
	.set _ZN9rocsparseL20bsrxmvn_17_32_kernelILj25EfiiDF16_DF16_fEEvT2_20rocsparse_direction_NS_24const_host_device_scalarIT0_EES1_PKS1_PKT1_SA_S7_PKT3_PKT4_S5_PT5_21rocsparse_index_base_b.uses_vcc, 1
	.set _ZN9rocsparseL20bsrxmvn_17_32_kernelILj25EfiiDF16_DF16_fEEvT2_20rocsparse_direction_NS_24const_host_device_scalarIT0_EES1_PKS1_PKT1_SA_S7_PKT3_PKT4_S5_PT5_21rocsparse_index_base_b.uses_flat_scratch, 0
	.set _ZN9rocsparseL20bsrxmvn_17_32_kernelILj25EfiiDF16_DF16_fEEvT2_20rocsparse_direction_NS_24const_host_device_scalarIT0_EES1_PKS1_PKT1_SA_S7_PKT3_PKT4_S5_PT5_21rocsparse_index_base_b.has_dyn_sized_stack, 0
	.set _ZN9rocsparseL20bsrxmvn_17_32_kernelILj25EfiiDF16_DF16_fEEvT2_20rocsparse_direction_NS_24const_host_device_scalarIT0_EES1_PKS1_PKT1_SA_S7_PKT3_PKT4_S5_PT5_21rocsparse_index_base_b.has_recursion, 0
	.set _ZN9rocsparseL20bsrxmvn_17_32_kernelILj25EfiiDF16_DF16_fEEvT2_20rocsparse_direction_NS_24const_host_device_scalarIT0_EES1_PKS1_PKT1_SA_S7_PKT3_PKT4_S5_PT5_21rocsparse_index_base_b.has_indirect_call, 0
	.section	.AMDGPU.csdata,"",@progbits
; Kernel info:
; codeLenInByte = 1244
; TotalNumSgprs: 26
; NumVgprs: 11
; ScratchSize: 0
; MemoryBound: 0
; FloatMode: 240
; IeeeMode: 1
; LDSByteSize: 2500 bytes/workgroup (compile time only)
; SGPRBlocks: 3
; VGPRBlocks: 2
; NumSGPRsForWavesPerEU: 26
; NumVGPRsForWavesPerEU: 11
; Occupancy: 10
; WaveLimiterHint : 1
; COMPUTE_PGM_RSRC2:SCRATCH_EN: 0
; COMPUTE_PGM_RSRC2:USER_SGPR: 6
; COMPUTE_PGM_RSRC2:TRAP_HANDLER: 0
; COMPUTE_PGM_RSRC2:TGID_X_EN: 1
; COMPUTE_PGM_RSRC2:TGID_Y_EN: 0
; COMPUTE_PGM_RSRC2:TGID_Z_EN: 0
; COMPUTE_PGM_RSRC2:TIDIG_COMP_CNT: 0
	.section	.text._ZN9rocsparseL20bsrxmvn_17_32_kernelILj26EfiiDF16_DF16_fEEvT2_20rocsparse_direction_NS_24const_host_device_scalarIT0_EES1_PKS1_PKT1_SA_S7_PKT3_PKT4_S5_PT5_21rocsparse_index_base_b,"axG",@progbits,_ZN9rocsparseL20bsrxmvn_17_32_kernelILj26EfiiDF16_DF16_fEEvT2_20rocsparse_direction_NS_24const_host_device_scalarIT0_EES1_PKS1_PKT1_SA_S7_PKT3_PKT4_S5_PT5_21rocsparse_index_base_b,comdat
	.globl	_ZN9rocsparseL20bsrxmvn_17_32_kernelILj26EfiiDF16_DF16_fEEvT2_20rocsparse_direction_NS_24const_host_device_scalarIT0_EES1_PKS1_PKT1_SA_S7_PKT3_PKT4_S5_PT5_21rocsparse_index_base_b ; -- Begin function _ZN9rocsparseL20bsrxmvn_17_32_kernelILj26EfiiDF16_DF16_fEEvT2_20rocsparse_direction_NS_24const_host_device_scalarIT0_EES1_PKS1_PKT1_SA_S7_PKT3_PKT4_S5_PT5_21rocsparse_index_base_b
	.p2align	8
	.type	_ZN9rocsparseL20bsrxmvn_17_32_kernelILj26EfiiDF16_DF16_fEEvT2_20rocsparse_direction_NS_24const_host_device_scalarIT0_EES1_PKS1_PKT1_SA_S7_PKT3_PKT4_S5_PT5_21rocsparse_index_base_b,@function
_ZN9rocsparseL20bsrxmvn_17_32_kernelILj26EfiiDF16_DF16_fEEvT2_20rocsparse_direction_NS_24const_host_device_scalarIT0_EES1_PKS1_PKT1_SA_S7_PKT3_PKT4_S5_PT5_21rocsparse_index_base_b: ; @_ZN9rocsparseL20bsrxmvn_17_32_kernelILj26EfiiDF16_DF16_fEEvT2_20rocsparse_direction_NS_24const_host_device_scalarIT0_EES1_PKS1_PKT1_SA_S7_PKT3_PKT4_S5_PT5_21rocsparse_index_base_b
; %bb.0:
	s_load_dwordx2 s[18:19], s[4:5], 0x58
	s_load_dwordx2 s[14:15], s[4:5], 0x8
	s_load_dwordx2 s[12:13], s[4:5], 0x48
	s_waitcnt lgkmcnt(0)
	s_bitcmp1_b32 s19, 0
	s_cselect_b64 s[2:3], -1, 0
	s_xor_b64 s[0:1], s[2:3], -1
	s_and_b64 vcc, exec, s[2:3]
	s_cbranch_vccnz .LBB297_2
; %bb.1:
	s_load_dword s14, s[14:15], 0x0
.LBB297_2:
	s_andn2_b64 vcc, exec, s[0:1]
	s_cbranch_vccnz .LBB297_4
; %bb.3:
	s_load_dword s12, s[12:13], 0x0
.LBB297_4:
	s_waitcnt lgkmcnt(0)
	v_cmp_neq_f32_e64 s[0:1], s14, 0
	v_cmp_neq_f32_e64 s[2:3], s12, 1.0
	s_or_b64 s[0:1], s[0:1], s[2:3]
	s_andn2_b64 vcc, exec, s[0:1]
	s_cbranch_vccnz .LBB297_40
; %bb.5:
	s_load_dwordx4 s[0:3], s[4:5], 0x18
	s_load_dwordx2 s[8:9], s[4:5], 0x28
	s_waitcnt lgkmcnt(0)
	s_cmp_eq_u64 s[0:1], 0
	s_cbranch_scc1 .LBB297_7
; %bb.6:
	s_ashr_i32 s7, s6, 31
	s_lshl_b64 s[6:7], s[6:7], 2
	s_add_u32 s0, s0, s6
	s_addc_u32 s1, s1, s7
	s_load_dword s0, s[0:1], 0x0
	s_waitcnt lgkmcnt(0)
	s_sub_i32 s6, s0, s18
.LBB297_7:
	s_load_dword s0, s[4:5], 0x4
	s_load_dwordx2 s[16:17], s[4:5], 0x50
	v_mul_u32_u24_e32 v1, 0x9d9, v0
	v_mov_b32_e32 v2, 26
	v_mul_lo_u16_sdwa v2, v1, v2 dst_sel:DWORD dst_unused:UNUSED_PAD src0_sel:WORD_1 src1_sel:DWORD
	s_waitcnt lgkmcnt(0)
	s_cmp_eq_u32 s0, 1
	s_cselect_b64 vcc, -1, 0
	s_cmp_lg_u32 s0, 1
	s_cselect_b64 s[20:21], -1, 0
	s_ashr_i32 s7, s6, 31
	s_lshl_b64 s[0:1], s[6:7], 2
	s_add_u32 s2, s2, s0
	s_addc_u32 s3, s3, s1
	s_load_dword s7, s[2:3], 0x0
	s_add_u32 s2, s2, 4
	s_addc_u32 s3, s3, 0
	s_add_u32 s0, s8, s0
	s_addc_u32 s1, s9, s1
	s_cmp_eq_u64 s[8:9], 0
	s_cselect_b32 s1, s3, s1
	s_cselect_b32 s0, s2, s0
	s_load_dword s0, s[0:1], 0x0
	v_sub_u16_e32 v7, v0, v2
	v_mov_b32_e32 v6, 0
	s_waitcnt lgkmcnt(0)
	s_cmp_ge_i32 s7, s0
	s_cbranch_scc1 .LBB297_12
; %bb.8:
	s_load_dwordx4 s[8:11], s[4:5], 0x30
	s_load_dwordx2 s[2:3], s[4:5], 0x40
	s_sub_i32 s4, s0, s18
	s_mov_b32 s0, 0xffff
	s_movk_i32 s1, 0x2a4
	v_and_b32_sdwa v1, s0, v1 dst_sel:DWORD dst_unused:UNUSED_PAD src0_sel:DWORD src1_sel:WORD_1
	v_subrev_u32_e32 v2, 26, v1
	v_cmp_gt_u32_e64 s[0:1], s1, v0
	s_sub_i32 s5, s7, s18
	v_cndmask_b32_e64 v1, v2, v1, s[0:1]
	s_mul_i32 s1, s5, 0x548
	s_mul_hi_i32 s0, s5, 0x548
	s_waitcnt lgkmcnt(0)
	s_add_u32 s1, s10, s1
	s_addc_u32 s0, s11, s0
	v_lshlrev_b32_e32 v2, 1, v0
	v_cndmask_b32_e32 v1, v7, v1, vcc
	v_mov_b32_e32 v3, s0
	v_add_co_u32_e32 v2, vcc, s1, v2
	v_addc_co_u32_e32 v3, vcc, 0, v3, vcc
	s_movk_i32 s0, 0x2a3
	v_cmp_lt_u32_e32 vcc, s0, v0
	v_mov_b32_e32 v6, 0
	v_cndmask_b32_e64 v8, 0, 1, vcc
	s_branch .LBB297_10
.LBB297_9:                              ;   in Loop: Header=BB297_10 Depth=1
	s_or_b64 exec, exec, s[0:1]
	s_add_i32 s5, s5, 1
	s_cmp_lt_i32 s5, s4
	s_cbranch_scc0 .LBB297_12
.LBB297_10:                             ; =>This Inner Loop Header: Depth=1
	v_add_u32_e32 v4, s5, v8
	v_cmp_gt_i32_e32 vcc, s4, v4
	s_and_saveexec_b64 s[0:1], vcc
	s_cbranch_execz .LBB297_9
; %bb.11:                               ;   in Loop: Header=BB297_10 Depth=1
	v_ashrrev_i32_e32 v5, 31, v4
	v_lshlrev_b64 v[4:5], 2, v[4:5]
	v_mov_b32_e32 v9, s9
	v_add_co_u32_e32 v4, vcc, s8, v4
	v_addc_co_u32_e32 v5, vcc, v9, v5, vcc
	global_load_dword v4, v[4:5], off
	v_mov_b32_e32 v10, s3
	global_load_ushort v9, v[2:3], off
	s_waitcnt vmcnt(1)
	v_subrev_u32_e32 v4, s18, v4
	v_mad_u64_u32 v[4:5], s[10:11], v4, 26, v[1:2]
	v_ashrrev_i32_e32 v5, 31, v4
	v_lshlrev_b64 v[4:5], 1, v[4:5]
	v_add_co_u32_e32 v4, vcc, s2, v4
	v_addc_co_u32_e32 v5, vcc, v10, v5, vcc
	global_load_ushort v4, v[4:5], off
	v_add_co_u32_e32 v2, vcc, 0x548, v2
	v_addc_co_u32_e32 v3, vcc, 0, v3, vcc
	s_waitcnt vmcnt(0)
	v_fma_mix_f32 v6, v9, v4, v6 op_sel_hi:[1,1,0]
	s_branch .LBB297_9
.LBB297_12:
	v_lshlrev_b32_e32 v1, 2, v0
	s_and_b64 vcc, exec, s[20:21]
	ds_write_b32 v1, v6
	s_waitcnt lgkmcnt(0)
	s_barrier
	s_cbranch_vccz .LBB297_24
; %bb.13:
	v_cmp_gt_u16_e32 vcc, 10, v7
	s_and_saveexec_b64 s[0:1], vcc
	s_cbranch_execz .LBB297_15
; %bb.14:
	ds_read2_b32 v[2:3], v1 offset1:16
	s_waitcnt lgkmcnt(0)
	v_add_f32_e32 v2, v3, v2
	ds_write_b32 v1, v2
.LBB297_15:
	s_or_b64 exec, exec, s[0:1]
	v_cmp_gt_u16_e32 vcc, 8, v7
	s_waitcnt lgkmcnt(0)
	s_barrier
	s_and_saveexec_b64 s[0:1], vcc
	s_cbranch_execz .LBB297_17
; %bb.16:
	ds_read2_b32 v[2:3], v1 offset1:8
	s_waitcnt lgkmcnt(0)
	v_add_f32_e32 v2, v3, v2
	ds_write_b32 v1, v2
.LBB297_17:
	s_or_b64 exec, exec, s[0:1]
	v_cmp_gt_u16_e32 vcc, 4, v7
	s_waitcnt lgkmcnt(0)
	s_barrier
	;; [unrolled: 12-line block ×3, first 2 shown]
	s_and_saveexec_b64 s[0:1], vcc
	s_cbranch_execz .LBB297_21
; %bb.20:
	ds_read2_b32 v[2:3], v1 offset1:2
	s_waitcnt lgkmcnt(0)
	v_add_f32_e32 v2, v3, v2
	ds_write_b32 v1, v2
.LBB297_21:
	s_or_b64 exec, exec, s[0:1]
	v_cmp_gt_u32_e32 vcc, 26, v0
	v_mov_b32_e32 v2, v6
	s_waitcnt lgkmcnt(0)
	s_barrier
	s_and_saveexec_b64 s[0:1], vcc
	s_cbranch_execz .LBB297_23
; %bb.22:
	s_movk_i32 s2, 0x64
	v_mad_u32_u24 v2, v0, s2, v1
	ds_read_b64 v[2:3], v2
	s_waitcnt lgkmcnt(0)
	v_add_f32_e32 v2, v2, v3
.LBB297_23:
	s_or_b64 exec, exec, s[0:1]
	s_branch .LBB297_36
.LBB297_24:
                                        ; implicit-def: $vgpr2
	s_cbranch_execz .LBB297_36
; %bb.25:
	s_movk_i32 s0, 0x104
	v_cmp_gt_u32_e32 vcc, s0, v0
	s_and_saveexec_b64 s[0:1], vcc
	s_cbranch_execz .LBB297_27
; %bb.26:
	ds_read_b32 v2, v1 offset:1664
	ds_read_b32 v3, v1
	s_waitcnt lgkmcnt(0)
	v_add_f32_e32 v2, v2, v3
	ds_write_b32 v1, v2
.LBB297_27:
	s_or_b64 exec, exec, s[0:1]
	s_movk_i32 s0, 0xd0
	v_cmp_gt_u32_e32 vcc, s0, v0
	s_waitcnt lgkmcnt(0)
	s_barrier
	s_and_saveexec_b64 s[0:1], vcc
	s_cbranch_execz .LBB297_29
; %bb.28:
	ds_read2_b32 v[2:3], v1 offset1:208
	s_waitcnt lgkmcnt(0)
	v_add_f32_e32 v2, v3, v2
	ds_write_b32 v1, v2
.LBB297_29:
	s_or_b64 exec, exec, s[0:1]
	s_movk_i32 s0, 0x68
	v_cmp_gt_u32_e32 vcc, s0, v0
	s_waitcnt lgkmcnt(0)
	s_barrier
	s_and_saveexec_b64 s[0:1], vcc
	s_cbranch_execz .LBB297_31
; %bb.30:
	ds_read2_b32 v[2:3], v1 offset1:104
	s_waitcnt lgkmcnt(0)
	v_add_f32_e32 v2, v3, v2
	ds_write_b32 v1, v2
.LBB297_31:
	s_or_b64 exec, exec, s[0:1]
	v_cmp_gt_u32_e32 vcc, 52, v0
	s_waitcnt lgkmcnt(0)
	s_barrier
	s_and_saveexec_b64 s[0:1], vcc
	s_cbranch_execz .LBB297_33
; %bb.32:
	ds_read2_b32 v[2:3], v1 offset1:52
	s_waitcnt lgkmcnt(0)
	v_add_f32_e32 v2, v3, v2
	ds_write_b32 v1, v2
.LBB297_33:
	s_or_b64 exec, exec, s[0:1]
	v_cmp_gt_u32_e32 vcc, 26, v0
	s_waitcnt lgkmcnt(0)
	s_and_saveexec_b64 s[0:1], vcc
	s_cbranch_execz .LBB297_35
; %bb.34:
	ds_read2_b32 v[1:2], v1 offset1:26
	s_waitcnt lgkmcnt(0)
	v_add_f32_e32 v6, v1, v2
.LBB297_35:
	s_or_b64 exec, exec, s[0:1]
	v_mov_b32_e32 v2, v6
.LBB297_36:
	v_cmp_gt_u32_e32 vcc, 26, v0
	s_and_saveexec_b64 s[0:1], vcc
	s_cbranch_execz .LBB297_40
; %bb.37:
	v_cmp_eq_f32_e64 s[0:1], s12, 0
	s_and_b64 vcc, exec, s[0:1]
	v_mul_f32_e32 v1, s14, v2
	s_cbranch_vccz .LBB297_41
; %bb.38:
	v_mad_u64_u32 v[2:3], s[0:1], s6, 26, v[0:1]
	v_mov_b32_e32 v3, 0
	v_mov_b32_e32 v4, s17
	v_lshlrev_b64 v[2:3], 2, v[2:3]
	v_add_co_u32_e32 v2, vcc, s16, v2
	v_addc_co_u32_e32 v3, vcc, v4, v3, vcc
	global_store_dword v[2:3], v1, off
	s_cbranch_execnz .LBB297_40
.LBB297_39:
	v_mad_u64_u32 v[2:3], s[0:1], s6, 26, v[0:1]
	v_mov_b32_e32 v3, 0
	v_mov_b32_e32 v0, s17
	v_lshlrev_b64 v[2:3], 2, v[2:3]
	v_add_co_u32_e32 v2, vcc, s16, v2
	v_addc_co_u32_e32 v3, vcc, v0, v3, vcc
	global_load_dword v0, v[2:3], off
	s_waitcnt vmcnt(0)
	v_fmac_f32_e32 v1, s12, v0
	global_store_dword v[2:3], v1, off
.LBB297_40:
	s_endpgm
.LBB297_41:
	s_branch .LBB297_39
	.section	.rodata,"a",@progbits
	.p2align	6, 0x0
	.amdhsa_kernel _ZN9rocsparseL20bsrxmvn_17_32_kernelILj26EfiiDF16_DF16_fEEvT2_20rocsparse_direction_NS_24const_host_device_scalarIT0_EES1_PKS1_PKT1_SA_S7_PKT3_PKT4_S5_PT5_21rocsparse_index_base_b
		.amdhsa_group_segment_fixed_size 2704
		.amdhsa_private_segment_fixed_size 0
		.amdhsa_kernarg_size 96
		.amdhsa_user_sgpr_count 6
		.amdhsa_user_sgpr_private_segment_buffer 1
		.amdhsa_user_sgpr_dispatch_ptr 0
		.amdhsa_user_sgpr_queue_ptr 0
		.amdhsa_user_sgpr_kernarg_segment_ptr 1
		.amdhsa_user_sgpr_dispatch_id 0
		.amdhsa_user_sgpr_flat_scratch_init 0
		.amdhsa_user_sgpr_private_segment_size 0
		.amdhsa_uses_dynamic_stack 0
		.amdhsa_system_sgpr_private_segment_wavefront_offset 0
		.amdhsa_system_sgpr_workgroup_id_x 1
		.amdhsa_system_sgpr_workgroup_id_y 0
		.amdhsa_system_sgpr_workgroup_id_z 0
		.amdhsa_system_sgpr_workgroup_info 0
		.amdhsa_system_vgpr_workitem_id 0
		.amdhsa_next_free_vgpr 25
		.amdhsa_next_free_sgpr 61
		.amdhsa_reserve_vcc 1
		.amdhsa_reserve_flat_scratch 0
		.amdhsa_float_round_mode_32 0
		.amdhsa_float_round_mode_16_64 0
		.amdhsa_float_denorm_mode_32 3
		.amdhsa_float_denorm_mode_16_64 3
		.amdhsa_dx10_clamp 1
		.amdhsa_ieee_mode 1
		.amdhsa_fp16_overflow 0
		.amdhsa_exception_fp_ieee_invalid_op 0
		.amdhsa_exception_fp_denorm_src 0
		.amdhsa_exception_fp_ieee_div_zero 0
		.amdhsa_exception_fp_ieee_overflow 0
		.amdhsa_exception_fp_ieee_underflow 0
		.amdhsa_exception_fp_ieee_inexact 0
		.amdhsa_exception_int_div_zero 0
	.end_amdhsa_kernel
	.section	.text._ZN9rocsparseL20bsrxmvn_17_32_kernelILj26EfiiDF16_DF16_fEEvT2_20rocsparse_direction_NS_24const_host_device_scalarIT0_EES1_PKS1_PKT1_SA_S7_PKT3_PKT4_S5_PT5_21rocsparse_index_base_b,"axG",@progbits,_ZN9rocsparseL20bsrxmvn_17_32_kernelILj26EfiiDF16_DF16_fEEvT2_20rocsparse_direction_NS_24const_host_device_scalarIT0_EES1_PKS1_PKT1_SA_S7_PKT3_PKT4_S5_PT5_21rocsparse_index_base_b,comdat
.Lfunc_end297:
	.size	_ZN9rocsparseL20bsrxmvn_17_32_kernelILj26EfiiDF16_DF16_fEEvT2_20rocsparse_direction_NS_24const_host_device_scalarIT0_EES1_PKS1_PKT1_SA_S7_PKT3_PKT4_S5_PT5_21rocsparse_index_base_b, .Lfunc_end297-_ZN9rocsparseL20bsrxmvn_17_32_kernelILj26EfiiDF16_DF16_fEEvT2_20rocsparse_direction_NS_24const_host_device_scalarIT0_EES1_PKS1_PKT1_SA_S7_PKT3_PKT4_S5_PT5_21rocsparse_index_base_b
                                        ; -- End function
	.set _ZN9rocsparseL20bsrxmvn_17_32_kernelILj26EfiiDF16_DF16_fEEvT2_20rocsparse_direction_NS_24const_host_device_scalarIT0_EES1_PKS1_PKT1_SA_S7_PKT3_PKT4_S5_PT5_21rocsparse_index_base_b.num_vgpr, 11
	.set _ZN9rocsparseL20bsrxmvn_17_32_kernelILj26EfiiDF16_DF16_fEEvT2_20rocsparse_direction_NS_24const_host_device_scalarIT0_EES1_PKS1_PKT1_SA_S7_PKT3_PKT4_S5_PT5_21rocsparse_index_base_b.num_agpr, 0
	.set _ZN9rocsparseL20bsrxmvn_17_32_kernelILj26EfiiDF16_DF16_fEEvT2_20rocsparse_direction_NS_24const_host_device_scalarIT0_EES1_PKS1_PKT1_SA_S7_PKT3_PKT4_S5_PT5_21rocsparse_index_base_b.numbered_sgpr, 22
	.set _ZN9rocsparseL20bsrxmvn_17_32_kernelILj26EfiiDF16_DF16_fEEvT2_20rocsparse_direction_NS_24const_host_device_scalarIT0_EES1_PKS1_PKT1_SA_S7_PKT3_PKT4_S5_PT5_21rocsparse_index_base_b.num_named_barrier, 0
	.set _ZN9rocsparseL20bsrxmvn_17_32_kernelILj26EfiiDF16_DF16_fEEvT2_20rocsparse_direction_NS_24const_host_device_scalarIT0_EES1_PKS1_PKT1_SA_S7_PKT3_PKT4_S5_PT5_21rocsparse_index_base_b.private_seg_size, 0
	.set _ZN9rocsparseL20bsrxmvn_17_32_kernelILj26EfiiDF16_DF16_fEEvT2_20rocsparse_direction_NS_24const_host_device_scalarIT0_EES1_PKS1_PKT1_SA_S7_PKT3_PKT4_S5_PT5_21rocsparse_index_base_b.uses_vcc, 1
	.set _ZN9rocsparseL20bsrxmvn_17_32_kernelILj26EfiiDF16_DF16_fEEvT2_20rocsparse_direction_NS_24const_host_device_scalarIT0_EES1_PKS1_PKT1_SA_S7_PKT3_PKT4_S5_PT5_21rocsparse_index_base_b.uses_flat_scratch, 0
	.set _ZN9rocsparseL20bsrxmvn_17_32_kernelILj26EfiiDF16_DF16_fEEvT2_20rocsparse_direction_NS_24const_host_device_scalarIT0_EES1_PKS1_PKT1_SA_S7_PKT3_PKT4_S5_PT5_21rocsparse_index_base_b.has_dyn_sized_stack, 0
	.set _ZN9rocsparseL20bsrxmvn_17_32_kernelILj26EfiiDF16_DF16_fEEvT2_20rocsparse_direction_NS_24const_host_device_scalarIT0_EES1_PKS1_PKT1_SA_S7_PKT3_PKT4_S5_PT5_21rocsparse_index_base_b.has_recursion, 0
	.set _ZN9rocsparseL20bsrxmvn_17_32_kernelILj26EfiiDF16_DF16_fEEvT2_20rocsparse_direction_NS_24const_host_device_scalarIT0_EES1_PKS1_PKT1_SA_S7_PKT3_PKT4_S5_PT5_21rocsparse_index_base_b.has_indirect_call, 0
	.section	.AMDGPU.csdata,"",@progbits
; Kernel info:
; codeLenInByte = 1244
; TotalNumSgprs: 26
; NumVgprs: 11
; ScratchSize: 0
; MemoryBound: 0
; FloatMode: 240
; IeeeMode: 1
; LDSByteSize: 2704 bytes/workgroup (compile time only)
; SGPRBlocks: 8
; VGPRBlocks: 6
; NumSGPRsForWavesPerEU: 65
; NumVGPRsForWavesPerEU: 25
; Occupancy: 9
; WaveLimiterHint : 1
; COMPUTE_PGM_RSRC2:SCRATCH_EN: 0
; COMPUTE_PGM_RSRC2:USER_SGPR: 6
; COMPUTE_PGM_RSRC2:TRAP_HANDLER: 0
; COMPUTE_PGM_RSRC2:TGID_X_EN: 1
; COMPUTE_PGM_RSRC2:TGID_Y_EN: 0
; COMPUTE_PGM_RSRC2:TGID_Z_EN: 0
; COMPUTE_PGM_RSRC2:TIDIG_COMP_CNT: 0
	.section	.text._ZN9rocsparseL20bsrxmvn_17_32_kernelILj27EfiiDF16_DF16_fEEvT2_20rocsparse_direction_NS_24const_host_device_scalarIT0_EES1_PKS1_PKT1_SA_S7_PKT3_PKT4_S5_PT5_21rocsparse_index_base_b,"axG",@progbits,_ZN9rocsparseL20bsrxmvn_17_32_kernelILj27EfiiDF16_DF16_fEEvT2_20rocsparse_direction_NS_24const_host_device_scalarIT0_EES1_PKS1_PKT1_SA_S7_PKT3_PKT4_S5_PT5_21rocsparse_index_base_b,comdat
	.globl	_ZN9rocsparseL20bsrxmvn_17_32_kernelILj27EfiiDF16_DF16_fEEvT2_20rocsparse_direction_NS_24const_host_device_scalarIT0_EES1_PKS1_PKT1_SA_S7_PKT3_PKT4_S5_PT5_21rocsparse_index_base_b ; -- Begin function _ZN9rocsparseL20bsrxmvn_17_32_kernelILj27EfiiDF16_DF16_fEEvT2_20rocsparse_direction_NS_24const_host_device_scalarIT0_EES1_PKS1_PKT1_SA_S7_PKT3_PKT4_S5_PT5_21rocsparse_index_base_b
	.p2align	8
	.type	_ZN9rocsparseL20bsrxmvn_17_32_kernelILj27EfiiDF16_DF16_fEEvT2_20rocsparse_direction_NS_24const_host_device_scalarIT0_EES1_PKS1_PKT1_SA_S7_PKT3_PKT4_S5_PT5_21rocsparse_index_base_b,@function
_ZN9rocsparseL20bsrxmvn_17_32_kernelILj27EfiiDF16_DF16_fEEvT2_20rocsparse_direction_NS_24const_host_device_scalarIT0_EES1_PKS1_PKT1_SA_S7_PKT3_PKT4_S5_PT5_21rocsparse_index_base_b: ; @_ZN9rocsparseL20bsrxmvn_17_32_kernelILj27EfiiDF16_DF16_fEEvT2_20rocsparse_direction_NS_24const_host_device_scalarIT0_EES1_PKS1_PKT1_SA_S7_PKT3_PKT4_S5_PT5_21rocsparse_index_base_b
; %bb.0:
	s_load_dwordx2 s[18:19], s[4:5], 0x58
	s_load_dwordx2 s[14:15], s[4:5], 0x8
	;; [unrolled: 1-line block ×3, first 2 shown]
	s_waitcnt lgkmcnt(0)
	s_bitcmp1_b32 s19, 0
	s_cselect_b64 s[2:3], -1, 0
	s_xor_b64 s[0:1], s[2:3], -1
	s_and_b64 vcc, exec, s[2:3]
	s_cbranch_vccnz .LBB298_2
; %bb.1:
	s_load_dword s14, s[14:15], 0x0
.LBB298_2:
	s_andn2_b64 vcc, exec, s[0:1]
	s_cbranch_vccnz .LBB298_4
; %bb.3:
	s_load_dword s12, s[12:13], 0x0
.LBB298_4:
	s_waitcnt lgkmcnt(0)
	v_cmp_neq_f32_e64 s[0:1], s14, 0
	v_cmp_neq_f32_e64 s[2:3], s12, 1.0
	s_or_b64 s[0:1], s[0:1], s[2:3]
	s_andn2_b64 vcc, exec, s[0:1]
	s_cbranch_vccnz .LBB298_40
; %bb.5:
	s_load_dwordx4 s[0:3], s[4:5], 0x18
	s_load_dwordx2 s[8:9], s[4:5], 0x28
	s_waitcnt lgkmcnt(0)
	s_cmp_eq_u64 s[0:1], 0
	s_cbranch_scc1 .LBB298_7
; %bb.6:
	s_ashr_i32 s7, s6, 31
	s_lshl_b64 s[6:7], s[6:7], 2
	s_add_u32 s0, s0, s6
	s_addc_u32 s1, s1, s7
	s_load_dword s0, s[0:1], 0x0
	s_waitcnt lgkmcnt(0)
	s_sub_i32 s6, s0, s18
.LBB298_7:
	s_load_dword s0, s[4:5], 0x4
	s_load_dwordx2 s[16:17], s[4:5], 0x50
	v_mul_u32_u24_e32 v1, 0x97c, v0
	v_mov_b32_e32 v2, 27
	v_mul_lo_u16_sdwa v2, v1, v2 dst_sel:DWORD dst_unused:UNUSED_PAD src0_sel:WORD_1 src1_sel:DWORD
	s_waitcnt lgkmcnt(0)
	s_cmp_eq_u32 s0, 1
	s_cselect_b64 vcc, -1, 0
	s_cmp_lg_u32 s0, 1
	s_cselect_b64 s[20:21], -1, 0
	s_ashr_i32 s7, s6, 31
	s_lshl_b64 s[0:1], s[6:7], 2
	s_add_u32 s2, s2, s0
	s_addc_u32 s3, s3, s1
	s_load_dword s7, s[2:3], 0x0
	s_add_u32 s2, s2, 4
	s_addc_u32 s3, s3, 0
	s_add_u32 s0, s8, s0
	s_addc_u32 s1, s9, s1
	s_cmp_eq_u64 s[8:9], 0
	s_cselect_b32 s1, s3, s1
	s_cselect_b32 s0, s2, s0
	s_load_dword s0, s[0:1], 0x0
	v_sub_u16_e32 v7, v0, v2
	v_mov_b32_e32 v6, 0
	s_waitcnt lgkmcnt(0)
	s_cmp_ge_i32 s7, s0
	s_cbranch_scc1 .LBB298_12
; %bb.8:
	s_load_dwordx4 s[8:11], s[4:5], 0x30
	s_load_dwordx2 s[2:3], s[4:5], 0x40
	s_sub_i32 s4, s0, s18
	s_mov_b32 s0, 0xffff
	s_movk_i32 s1, 0x2d9
	v_and_b32_sdwa v1, s0, v1 dst_sel:DWORD dst_unused:UNUSED_PAD src0_sel:DWORD src1_sel:WORD_1
	v_subrev_u32_e32 v2, 27, v1
	v_cmp_gt_u32_e64 s[0:1], s1, v0
	s_sub_i32 s5, s7, s18
	v_cndmask_b32_e64 v1, v2, v1, s[0:1]
	s_mul_i32 s1, s5, 0x5b2
	s_mul_hi_i32 s0, s5, 0x5b2
	s_waitcnt lgkmcnt(0)
	s_add_u32 s1, s10, s1
	s_addc_u32 s0, s11, s0
	v_lshlrev_b32_e32 v2, 1, v0
	v_cndmask_b32_e32 v1, v7, v1, vcc
	v_mov_b32_e32 v3, s0
	v_add_co_u32_e32 v2, vcc, s1, v2
	v_addc_co_u32_e32 v3, vcc, 0, v3, vcc
	s_movk_i32 s0, 0x2d8
	v_cmp_lt_u32_e32 vcc, s0, v0
	v_mov_b32_e32 v6, 0
	v_cndmask_b32_e64 v8, 0, 1, vcc
	s_branch .LBB298_10
.LBB298_9:                              ;   in Loop: Header=BB298_10 Depth=1
	s_or_b64 exec, exec, s[0:1]
	s_add_i32 s5, s5, 1
	s_cmp_lt_i32 s5, s4
	s_cbranch_scc0 .LBB298_12
.LBB298_10:                             ; =>This Inner Loop Header: Depth=1
	v_add_u32_e32 v4, s5, v8
	v_cmp_gt_i32_e32 vcc, s4, v4
	s_and_saveexec_b64 s[0:1], vcc
	s_cbranch_execz .LBB298_9
; %bb.11:                               ;   in Loop: Header=BB298_10 Depth=1
	v_ashrrev_i32_e32 v5, 31, v4
	v_lshlrev_b64 v[4:5], 2, v[4:5]
	v_mov_b32_e32 v9, s9
	v_add_co_u32_e32 v4, vcc, s8, v4
	v_addc_co_u32_e32 v5, vcc, v9, v5, vcc
	global_load_dword v4, v[4:5], off
	v_mov_b32_e32 v10, s3
	global_load_ushort v9, v[2:3], off
	s_waitcnt vmcnt(1)
	v_subrev_u32_e32 v4, s18, v4
	v_mad_u64_u32 v[4:5], s[10:11], v4, 27, v[1:2]
	v_ashrrev_i32_e32 v5, 31, v4
	v_lshlrev_b64 v[4:5], 1, v[4:5]
	v_add_co_u32_e32 v4, vcc, s2, v4
	v_addc_co_u32_e32 v5, vcc, v10, v5, vcc
	global_load_ushort v4, v[4:5], off
	v_add_co_u32_e32 v2, vcc, 0x5b2, v2
	v_addc_co_u32_e32 v3, vcc, 0, v3, vcc
	s_waitcnt vmcnt(0)
	v_fma_mix_f32 v6, v9, v4, v6 op_sel_hi:[1,1,0]
	s_branch .LBB298_9
.LBB298_12:
	v_lshlrev_b32_e32 v1, 2, v0
	s_and_b64 vcc, exec, s[20:21]
	ds_write_b32 v1, v6
	s_waitcnt lgkmcnt(0)
	s_barrier
	s_cbranch_vccz .LBB298_24
; %bb.13:
	v_cmp_gt_u16_e32 vcc, 11, v7
	s_and_saveexec_b64 s[0:1], vcc
	s_cbranch_execz .LBB298_15
; %bb.14:
	ds_read2_b32 v[2:3], v1 offset1:16
	s_waitcnt lgkmcnt(0)
	v_add_f32_e32 v2, v3, v2
	ds_write_b32 v1, v2
.LBB298_15:
	s_or_b64 exec, exec, s[0:1]
	v_cmp_gt_u16_e32 vcc, 8, v7
	s_waitcnt lgkmcnt(0)
	s_barrier
	s_and_saveexec_b64 s[0:1], vcc
	s_cbranch_execz .LBB298_17
; %bb.16:
	ds_read2_b32 v[2:3], v1 offset1:8
	s_waitcnt lgkmcnt(0)
	v_add_f32_e32 v2, v3, v2
	ds_write_b32 v1, v2
.LBB298_17:
	s_or_b64 exec, exec, s[0:1]
	v_cmp_gt_u16_e32 vcc, 4, v7
	s_waitcnt lgkmcnt(0)
	s_barrier
	;; [unrolled: 12-line block ×3, first 2 shown]
	s_and_saveexec_b64 s[0:1], vcc
	s_cbranch_execz .LBB298_21
; %bb.20:
	ds_read2_b32 v[2:3], v1 offset1:2
	s_waitcnt lgkmcnt(0)
	v_add_f32_e32 v2, v3, v2
	ds_write_b32 v1, v2
.LBB298_21:
	s_or_b64 exec, exec, s[0:1]
	v_cmp_gt_u32_e32 vcc, 27, v0
	v_mov_b32_e32 v2, v6
	s_waitcnt lgkmcnt(0)
	s_barrier
	s_and_saveexec_b64 s[0:1], vcc
	s_cbranch_execz .LBB298_23
; %bb.22:
	s_movk_i32 s2, 0x68
	v_mad_u32_u24 v2, v0, s2, v1
	ds_read2_b32 v[2:3], v2 offset1:1
	s_waitcnt lgkmcnt(0)
	v_add_f32_e32 v2, v2, v3
.LBB298_23:
	s_or_b64 exec, exec, s[0:1]
	s_branch .LBB298_36
.LBB298_24:
                                        ; implicit-def: $vgpr2
	s_cbranch_execz .LBB298_36
; %bb.25:
	s_movk_i32 s0, 0x129
	v_cmp_gt_u32_e32 vcc, s0, v0
	s_and_saveexec_b64 s[0:1], vcc
	s_cbranch_execz .LBB298_27
; %bb.26:
	ds_read_b32 v2, v1 offset:1728
	ds_read_b32 v3, v1
	s_waitcnt lgkmcnt(0)
	v_add_f32_e32 v2, v2, v3
	ds_write_b32 v1, v2
.LBB298_27:
	s_or_b64 exec, exec, s[0:1]
	s_movk_i32 s0, 0xd8
	v_cmp_gt_u32_e32 vcc, s0, v0
	s_waitcnt lgkmcnt(0)
	s_barrier
	s_and_saveexec_b64 s[0:1], vcc
	s_cbranch_execz .LBB298_29
; %bb.28:
	ds_read2_b32 v[2:3], v1 offset1:216
	s_waitcnt lgkmcnt(0)
	v_add_f32_e32 v2, v3, v2
	ds_write_b32 v1, v2
.LBB298_29:
	s_or_b64 exec, exec, s[0:1]
	s_movk_i32 s0, 0x6c
	v_cmp_gt_u32_e32 vcc, s0, v0
	s_waitcnt lgkmcnt(0)
	s_barrier
	s_and_saveexec_b64 s[0:1], vcc
	s_cbranch_execz .LBB298_31
; %bb.30:
	ds_read2_b32 v[2:3], v1 offset1:108
	s_waitcnt lgkmcnt(0)
	v_add_f32_e32 v2, v3, v2
	ds_write_b32 v1, v2
.LBB298_31:
	s_or_b64 exec, exec, s[0:1]
	v_cmp_gt_u32_e32 vcc, 54, v0
	s_waitcnt lgkmcnt(0)
	s_barrier
	s_and_saveexec_b64 s[0:1], vcc
	s_cbranch_execz .LBB298_33
; %bb.32:
	ds_read2_b32 v[2:3], v1 offset1:54
	s_waitcnt lgkmcnt(0)
	v_add_f32_e32 v2, v3, v2
	ds_write_b32 v1, v2
.LBB298_33:
	s_or_b64 exec, exec, s[0:1]
	v_cmp_gt_u32_e32 vcc, 27, v0
	s_waitcnt lgkmcnt(0)
	s_and_saveexec_b64 s[0:1], vcc
	s_cbranch_execz .LBB298_35
; %bb.34:
	ds_read2_b32 v[1:2], v1 offset1:27
	s_waitcnt lgkmcnt(0)
	v_add_f32_e32 v6, v1, v2
.LBB298_35:
	s_or_b64 exec, exec, s[0:1]
	v_mov_b32_e32 v2, v6
.LBB298_36:
	v_cmp_gt_u32_e32 vcc, 27, v0
	s_and_saveexec_b64 s[0:1], vcc
	s_cbranch_execz .LBB298_40
; %bb.37:
	v_cmp_eq_f32_e64 s[0:1], s12, 0
	s_and_b64 vcc, exec, s[0:1]
	v_mul_f32_e32 v1, s14, v2
	s_cbranch_vccz .LBB298_41
; %bb.38:
	v_mad_u64_u32 v[2:3], s[0:1], s6, 27, v[0:1]
	v_mov_b32_e32 v3, 0
	v_mov_b32_e32 v4, s17
	v_lshlrev_b64 v[2:3], 2, v[2:3]
	v_add_co_u32_e32 v2, vcc, s16, v2
	v_addc_co_u32_e32 v3, vcc, v4, v3, vcc
	global_store_dword v[2:3], v1, off
	s_cbranch_execnz .LBB298_40
.LBB298_39:
	v_mad_u64_u32 v[2:3], s[0:1], s6, 27, v[0:1]
	v_mov_b32_e32 v3, 0
	v_mov_b32_e32 v0, s17
	v_lshlrev_b64 v[2:3], 2, v[2:3]
	v_add_co_u32_e32 v2, vcc, s16, v2
	v_addc_co_u32_e32 v3, vcc, v0, v3, vcc
	global_load_dword v0, v[2:3], off
	s_waitcnt vmcnt(0)
	v_fmac_f32_e32 v1, s12, v0
	global_store_dword v[2:3], v1, off
.LBB298_40:
	s_endpgm
.LBB298_41:
	s_branch .LBB298_39
	.section	.rodata,"a",@progbits
	.p2align	6, 0x0
	.amdhsa_kernel _ZN9rocsparseL20bsrxmvn_17_32_kernelILj27EfiiDF16_DF16_fEEvT2_20rocsparse_direction_NS_24const_host_device_scalarIT0_EES1_PKS1_PKT1_SA_S7_PKT3_PKT4_S5_PT5_21rocsparse_index_base_b
		.amdhsa_group_segment_fixed_size 2916
		.amdhsa_private_segment_fixed_size 0
		.amdhsa_kernarg_size 96
		.amdhsa_user_sgpr_count 6
		.amdhsa_user_sgpr_private_segment_buffer 1
		.amdhsa_user_sgpr_dispatch_ptr 0
		.amdhsa_user_sgpr_queue_ptr 0
		.amdhsa_user_sgpr_kernarg_segment_ptr 1
		.amdhsa_user_sgpr_dispatch_id 0
		.amdhsa_user_sgpr_flat_scratch_init 0
		.amdhsa_user_sgpr_private_segment_size 0
		.amdhsa_uses_dynamic_stack 0
		.amdhsa_system_sgpr_private_segment_wavefront_offset 0
		.amdhsa_system_sgpr_workgroup_id_x 1
		.amdhsa_system_sgpr_workgroup_id_y 0
		.amdhsa_system_sgpr_workgroup_id_z 0
		.amdhsa_system_sgpr_workgroup_info 0
		.amdhsa_system_vgpr_workitem_id 0
		.amdhsa_next_free_vgpr 25
		.amdhsa_next_free_sgpr 61
		.amdhsa_reserve_vcc 1
		.amdhsa_reserve_flat_scratch 0
		.amdhsa_float_round_mode_32 0
		.amdhsa_float_round_mode_16_64 0
		.amdhsa_float_denorm_mode_32 3
		.amdhsa_float_denorm_mode_16_64 3
		.amdhsa_dx10_clamp 1
		.amdhsa_ieee_mode 1
		.amdhsa_fp16_overflow 0
		.amdhsa_exception_fp_ieee_invalid_op 0
		.amdhsa_exception_fp_denorm_src 0
		.amdhsa_exception_fp_ieee_div_zero 0
		.amdhsa_exception_fp_ieee_overflow 0
		.amdhsa_exception_fp_ieee_underflow 0
		.amdhsa_exception_fp_ieee_inexact 0
		.amdhsa_exception_int_div_zero 0
	.end_amdhsa_kernel
	.section	.text._ZN9rocsparseL20bsrxmvn_17_32_kernelILj27EfiiDF16_DF16_fEEvT2_20rocsparse_direction_NS_24const_host_device_scalarIT0_EES1_PKS1_PKT1_SA_S7_PKT3_PKT4_S5_PT5_21rocsparse_index_base_b,"axG",@progbits,_ZN9rocsparseL20bsrxmvn_17_32_kernelILj27EfiiDF16_DF16_fEEvT2_20rocsparse_direction_NS_24const_host_device_scalarIT0_EES1_PKS1_PKT1_SA_S7_PKT3_PKT4_S5_PT5_21rocsparse_index_base_b,comdat
.Lfunc_end298:
	.size	_ZN9rocsparseL20bsrxmvn_17_32_kernelILj27EfiiDF16_DF16_fEEvT2_20rocsparse_direction_NS_24const_host_device_scalarIT0_EES1_PKS1_PKT1_SA_S7_PKT3_PKT4_S5_PT5_21rocsparse_index_base_b, .Lfunc_end298-_ZN9rocsparseL20bsrxmvn_17_32_kernelILj27EfiiDF16_DF16_fEEvT2_20rocsparse_direction_NS_24const_host_device_scalarIT0_EES1_PKS1_PKT1_SA_S7_PKT3_PKT4_S5_PT5_21rocsparse_index_base_b
                                        ; -- End function
	.set _ZN9rocsparseL20bsrxmvn_17_32_kernelILj27EfiiDF16_DF16_fEEvT2_20rocsparse_direction_NS_24const_host_device_scalarIT0_EES1_PKS1_PKT1_SA_S7_PKT3_PKT4_S5_PT5_21rocsparse_index_base_b.num_vgpr, 11
	.set _ZN9rocsparseL20bsrxmvn_17_32_kernelILj27EfiiDF16_DF16_fEEvT2_20rocsparse_direction_NS_24const_host_device_scalarIT0_EES1_PKS1_PKT1_SA_S7_PKT3_PKT4_S5_PT5_21rocsparse_index_base_b.num_agpr, 0
	.set _ZN9rocsparseL20bsrxmvn_17_32_kernelILj27EfiiDF16_DF16_fEEvT2_20rocsparse_direction_NS_24const_host_device_scalarIT0_EES1_PKS1_PKT1_SA_S7_PKT3_PKT4_S5_PT5_21rocsparse_index_base_b.numbered_sgpr, 22
	.set _ZN9rocsparseL20bsrxmvn_17_32_kernelILj27EfiiDF16_DF16_fEEvT2_20rocsparse_direction_NS_24const_host_device_scalarIT0_EES1_PKS1_PKT1_SA_S7_PKT3_PKT4_S5_PT5_21rocsparse_index_base_b.num_named_barrier, 0
	.set _ZN9rocsparseL20bsrxmvn_17_32_kernelILj27EfiiDF16_DF16_fEEvT2_20rocsparse_direction_NS_24const_host_device_scalarIT0_EES1_PKS1_PKT1_SA_S7_PKT3_PKT4_S5_PT5_21rocsparse_index_base_b.private_seg_size, 0
	.set _ZN9rocsparseL20bsrxmvn_17_32_kernelILj27EfiiDF16_DF16_fEEvT2_20rocsparse_direction_NS_24const_host_device_scalarIT0_EES1_PKS1_PKT1_SA_S7_PKT3_PKT4_S5_PT5_21rocsparse_index_base_b.uses_vcc, 1
	.set _ZN9rocsparseL20bsrxmvn_17_32_kernelILj27EfiiDF16_DF16_fEEvT2_20rocsparse_direction_NS_24const_host_device_scalarIT0_EES1_PKS1_PKT1_SA_S7_PKT3_PKT4_S5_PT5_21rocsparse_index_base_b.uses_flat_scratch, 0
	.set _ZN9rocsparseL20bsrxmvn_17_32_kernelILj27EfiiDF16_DF16_fEEvT2_20rocsparse_direction_NS_24const_host_device_scalarIT0_EES1_PKS1_PKT1_SA_S7_PKT3_PKT4_S5_PT5_21rocsparse_index_base_b.has_dyn_sized_stack, 0
	.set _ZN9rocsparseL20bsrxmvn_17_32_kernelILj27EfiiDF16_DF16_fEEvT2_20rocsparse_direction_NS_24const_host_device_scalarIT0_EES1_PKS1_PKT1_SA_S7_PKT3_PKT4_S5_PT5_21rocsparse_index_base_b.has_recursion, 0
	.set _ZN9rocsparseL20bsrxmvn_17_32_kernelILj27EfiiDF16_DF16_fEEvT2_20rocsparse_direction_NS_24const_host_device_scalarIT0_EES1_PKS1_PKT1_SA_S7_PKT3_PKT4_S5_PT5_21rocsparse_index_base_b.has_indirect_call, 0
	.section	.AMDGPU.csdata,"",@progbits
; Kernel info:
; codeLenInByte = 1244
; TotalNumSgprs: 26
; NumVgprs: 11
; ScratchSize: 0
; MemoryBound: 0
; FloatMode: 240
; IeeeMode: 1
; LDSByteSize: 2916 bytes/workgroup (compile time only)
; SGPRBlocks: 8
; VGPRBlocks: 6
; NumSGPRsForWavesPerEU: 65
; NumVGPRsForWavesPerEU: 25
; Occupancy: 9
; WaveLimiterHint : 1
; COMPUTE_PGM_RSRC2:SCRATCH_EN: 0
; COMPUTE_PGM_RSRC2:USER_SGPR: 6
; COMPUTE_PGM_RSRC2:TRAP_HANDLER: 0
; COMPUTE_PGM_RSRC2:TGID_X_EN: 1
; COMPUTE_PGM_RSRC2:TGID_Y_EN: 0
; COMPUTE_PGM_RSRC2:TGID_Z_EN: 0
; COMPUTE_PGM_RSRC2:TIDIG_COMP_CNT: 0
	.section	.text._ZN9rocsparseL20bsrxmvn_17_32_kernelILj28EfiiDF16_DF16_fEEvT2_20rocsparse_direction_NS_24const_host_device_scalarIT0_EES1_PKS1_PKT1_SA_S7_PKT3_PKT4_S5_PT5_21rocsparse_index_base_b,"axG",@progbits,_ZN9rocsparseL20bsrxmvn_17_32_kernelILj28EfiiDF16_DF16_fEEvT2_20rocsparse_direction_NS_24const_host_device_scalarIT0_EES1_PKS1_PKT1_SA_S7_PKT3_PKT4_S5_PT5_21rocsparse_index_base_b,comdat
	.globl	_ZN9rocsparseL20bsrxmvn_17_32_kernelILj28EfiiDF16_DF16_fEEvT2_20rocsparse_direction_NS_24const_host_device_scalarIT0_EES1_PKS1_PKT1_SA_S7_PKT3_PKT4_S5_PT5_21rocsparse_index_base_b ; -- Begin function _ZN9rocsparseL20bsrxmvn_17_32_kernelILj28EfiiDF16_DF16_fEEvT2_20rocsparse_direction_NS_24const_host_device_scalarIT0_EES1_PKS1_PKT1_SA_S7_PKT3_PKT4_S5_PT5_21rocsparse_index_base_b
	.p2align	8
	.type	_ZN9rocsparseL20bsrxmvn_17_32_kernelILj28EfiiDF16_DF16_fEEvT2_20rocsparse_direction_NS_24const_host_device_scalarIT0_EES1_PKS1_PKT1_SA_S7_PKT3_PKT4_S5_PT5_21rocsparse_index_base_b,@function
_ZN9rocsparseL20bsrxmvn_17_32_kernelILj28EfiiDF16_DF16_fEEvT2_20rocsparse_direction_NS_24const_host_device_scalarIT0_EES1_PKS1_PKT1_SA_S7_PKT3_PKT4_S5_PT5_21rocsparse_index_base_b: ; @_ZN9rocsparseL20bsrxmvn_17_32_kernelILj28EfiiDF16_DF16_fEEvT2_20rocsparse_direction_NS_24const_host_device_scalarIT0_EES1_PKS1_PKT1_SA_S7_PKT3_PKT4_S5_PT5_21rocsparse_index_base_b
; %bb.0:
	s_load_dwordx2 s[18:19], s[4:5], 0x58
	s_load_dwordx2 s[14:15], s[4:5], 0x8
	;; [unrolled: 1-line block ×3, first 2 shown]
	s_waitcnt lgkmcnt(0)
	s_bitcmp1_b32 s19, 0
	s_cselect_b64 s[2:3], -1, 0
	s_xor_b64 s[0:1], s[2:3], -1
	s_and_b64 vcc, exec, s[2:3]
	s_cbranch_vccnz .LBB299_2
; %bb.1:
	s_load_dword s14, s[14:15], 0x0
.LBB299_2:
	s_andn2_b64 vcc, exec, s[0:1]
	s_cbranch_vccnz .LBB299_4
; %bb.3:
	s_load_dword s12, s[12:13], 0x0
.LBB299_4:
	s_waitcnt lgkmcnt(0)
	v_cmp_neq_f32_e64 s[0:1], s14, 0
	v_cmp_neq_f32_e64 s[2:3], s12, 1.0
	s_or_b64 s[0:1], s[0:1], s[2:3]
	s_andn2_b64 vcc, exec, s[0:1]
	s_cbranch_vccnz .LBB299_40
; %bb.5:
	s_load_dwordx4 s[0:3], s[4:5], 0x18
	s_load_dwordx2 s[8:9], s[4:5], 0x28
	s_waitcnt lgkmcnt(0)
	s_cmp_eq_u64 s[0:1], 0
	s_cbranch_scc1 .LBB299_7
; %bb.6:
	s_ashr_i32 s7, s6, 31
	s_lshl_b64 s[6:7], s[6:7], 2
	s_add_u32 s0, s0, s6
	s_addc_u32 s1, s1, s7
	s_load_dword s0, s[0:1], 0x0
	s_waitcnt lgkmcnt(0)
	s_sub_i32 s6, s0, s18
.LBB299_7:
	s_load_dword s0, s[4:5], 0x4
	s_load_dwordx2 s[16:17], s[4:5], 0x50
	v_mul_u32_u24_e32 v1, 0x925, v0
	v_mov_b32_e32 v2, 28
	v_mul_lo_u16_sdwa v2, v1, v2 dst_sel:DWORD dst_unused:UNUSED_PAD src0_sel:WORD_1 src1_sel:DWORD
	s_waitcnt lgkmcnt(0)
	s_cmp_eq_u32 s0, 1
	s_cselect_b64 vcc, -1, 0
	s_cmp_lg_u32 s0, 1
	s_cselect_b64 s[20:21], -1, 0
	s_ashr_i32 s7, s6, 31
	s_lshl_b64 s[0:1], s[6:7], 2
	s_add_u32 s2, s2, s0
	s_addc_u32 s3, s3, s1
	s_load_dword s7, s[2:3], 0x0
	s_add_u32 s2, s2, 4
	s_addc_u32 s3, s3, 0
	s_add_u32 s0, s8, s0
	s_addc_u32 s1, s9, s1
	s_cmp_eq_u64 s[8:9], 0
	s_cselect_b32 s1, s3, s1
	s_cselect_b32 s0, s2, s0
	s_load_dword s0, s[0:1], 0x0
	v_sub_u16_e32 v7, v0, v2
	v_mov_b32_e32 v6, 0
	s_waitcnt lgkmcnt(0)
	s_cmp_ge_i32 s7, s0
	s_cbranch_scc1 .LBB299_12
; %bb.8:
	s_load_dwordx4 s[8:11], s[4:5], 0x30
	s_load_dwordx2 s[2:3], s[4:5], 0x40
	s_sub_i32 s4, s0, s18
	s_mov_b32 s0, 0xffff
	s_movk_i32 s1, 0x310
	v_and_b32_sdwa v1, s0, v1 dst_sel:DWORD dst_unused:UNUSED_PAD src0_sel:DWORD src1_sel:WORD_1
	v_subrev_u32_e32 v2, 28, v1
	v_cmp_gt_u32_e64 s[0:1], s1, v0
	s_sub_i32 s5, s7, s18
	v_cndmask_b32_e64 v1, v2, v1, s[0:1]
	s_mul_i32 s1, s5, 0x620
	s_mul_hi_i32 s0, s5, 0x620
	s_waitcnt lgkmcnt(0)
	s_add_u32 s1, s10, s1
	s_addc_u32 s0, s11, s0
	v_lshlrev_b32_e32 v2, 1, v0
	v_cndmask_b32_e32 v1, v7, v1, vcc
	v_mov_b32_e32 v3, s0
	v_add_co_u32_e32 v2, vcc, s1, v2
	v_addc_co_u32_e32 v3, vcc, 0, v3, vcc
	s_movk_i32 s0, 0x30f
	v_cmp_lt_u32_e32 vcc, s0, v0
	v_mov_b32_e32 v6, 0
	v_cndmask_b32_e64 v8, 0, 1, vcc
	s_branch .LBB299_10
.LBB299_9:                              ;   in Loop: Header=BB299_10 Depth=1
	s_or_b64 exec, exec, s[0:1]
	s_add_i32 s5, s5, 1
	s_cmp_lt_i32 s5, s4
	s_cbranch_scc0 .LBB299_12
.LBB299_10:                             ; =>This Inner Loop Header: Depth=1
	v_add_u32_e32 v4, s5, v8
	v_cmp_gt_i32_e32 vcc, s4, v4
	s_and_saveexec_b64 s[0:1], vcc
	s_cbranch_execz .LBB299_9
; %bb.11:                               ;   in Loop: Header=BB299_10 Depth=1
	v_ashrrev_i32_e32 v5, 31, v4
	v_lshlrev_b64 v[4:5], 2, v[4:5]
	v_mov_b32_e32 v9, s9
	v_add_co_u32_e32 v4, vcc, s8, v4
	v_addc_co_u32_e32 v5, vcc, v9, v5, vcc
	global_load_dword v4, v[4:5], off
	v_mov_b32_e32 v10, s3
	global_load_ushort v9, v[2:3], off
	s_waitcnt vmcnt(1)
	v_subrev_u32_e32 v4, s18, v4
	v_mad_u64_u32 v[4:5], s[10:11], v4, 28, v[1:2]
	v_ashrrev_i32_e32 v5, 31, v4
	v_lshlrev_b64 v[4:5], 1, v[4:5]
	v_add_co_u32_e32 v4, vcc, s2, v4
	v_addc_co_u32_e32 v5, vcc, v10, v5, vcc
	global_load_ushort v4, v[4:5], off
	v_add_co_u32_e32 v2, vcc, 0x620, v2
	v_addc_co_u32_e32 v3, vcc, 0, v3, vcc
	s_waitcnt vmcnt(0)
	v_fma_mix_f32 v6, v9, v4, v6 op_sel_hi:[1,1,0]
	s_branch .LBB299_9
.LBB299_12:
	v_lshlrev_b32_e32 v1, 2, v0
	s_and_b64 vcc, exec, s[20:21]
	ds_write_b32 v1, v6
	s_waitcnt lgkmcnt(0)
	s_barrier
	s_cbranch_vccz .LBB299_24
; %bb.13:
	v_cmp_gt_u16_e32 vcc, 12, v7
	s_and_saveexec_b64 s[0:1], vcc
	s_cbranch_execz .LBB299_15
; %bb.14:
	ds_read2_b32 v[2:3], v1 offset1:16
	s_waitcnt lgkmcnt(0)
	v_add_f32_e32 v2, v3, v2
	ds_write_b32 v1, v2
.LBB299_15:
	s_or_b64 exec, exec, s[0:1]
	v_cmp_gt_u16_e32 vcc, 8, v7
	s_waitcnt lgkmcnt(0)
	s_barrier
	s_and_saveexec_b64 s[0:1], vcc
	s_cbranch_execz .LBB299_17
; %bb.16:
	ds_read2_b32 v[2:3], v1 offset1:8
	s_waitcnt lgkmcnt(0)
	v_add_f32_e32 v2, v3, v2
	ds_write_b32 v1, v2
.LBB299_17:
	s_or_b64 exec, exec, s[0:1]
	v_cmp_gt_u16_e32 vcc, 4, v7
	s_waitcnt lgkmcnt(0)
	s_barrier
	;; [unrolled: 12-line block ×3, first 2 shown]
	s_and_saveexec_b64 s[0:1], vcc
	s_cbranch_execz .LBB299_21
; %bb.20:
	ds_read2_b32 v[2:3], v1 offset1:2
	s_waitcnt lgkmcnt(0)
	v_add_f32_e32 v2, v3, v2
	ds_write_b32 v1, v2
.LBB299_21:
	s_or_b64 exec, exec, s[0:1]
	v_cmp_gt_u32_e32 vcc, 28, v0
	v_mov_b32_e32 v2, v6
	s_waitcnt lgkmcnt(0)
	s_barrier
	s_and_saveexec_b64 s[0:1], vcc
	s_cbranch_execz .LBB299_23
; %bb.22:
	s_movk_i32 s2, 0x6c
	v_mad_u32_u24 v2, v0, s2, v1
	ds_read_b64 v[2:3], v2
	s_waitcnt lgkmcnt(0)
	v_add_f32_e32 v2, v2, v3
.LBB299_23:
	s_or_b64 exec, exec, s[0:1]
	s_branch .LBB299_36
.LBB299_24:
                                        ; implicit-def: $vgpr2
	s_cbranch_execz .LBB299_36
; %bb.25:
	s_movk_i32 s0, 0x150
	v_cmp_gt_u32_e32 vcc, s0, v0
	s_and_saveexec_b64 s[0:1], vcc
	s_cbranch_execz .LBB299_27
; %bb.26:
	ds_read2st64_b32 v[2:3], v1 offset1:7
	s_waitcnt lgkmcnt(0)
	v_add_f32_e32 v2, v3, v2
	ds_write_b32 v1, v2
.LBB299_27:
	s_or_b64 exec, exec, s[0:1]
	s_movk_i32 s0, 0xe0
	v_cmp_gt_u32_e32 vcc, s0, v0
	s_waitcnt lgkmcnt(0)
	s_barrier
	s_and_saveexec_b64 s[0:1], vcc
	s_cbranch_execz .LBB299_29
; %bb.28:
	ds_read2_b32 v[2:3], v1 offset1:224
	s_waitcnt lgkmcnt(0)
	v_add_f32_e32 v2, v3, v2
	ds_write_b32 v1, v2
.LBB299_29:
	s_or_b64 exec, exec, s[0:1]
	s_movk_i32 s0, 0x70
	v_cmp_gt_u32_e32 vcc, s0, v0
	s_waitcnt lgkmcnt(0)
	s_barrier
	s_and_saveexec_b64 s[0:1], vcc
	s_cbranch_execz .LBB299_31
; %bb.30:
	ds_read2_b32 v[2:3], v1 offset1:112
	s_waitcnt lgkmcnt(0)
	v_add_f32_e32 v2, v3, v2
	ds_write_b32 v1, v2
.LBB299_31:
	s_or_b64 exec, exec, s[0:1]
	v_cmp_gt_u32_e32 vcc, 56, v0
	s_waitcnt lgkmcnt(0)
	s_barrier
	s_and_saveexec_b64 s[0:1], vcc
	s_cbranch_execz .LBB299_33
; %bb.32:
	ds_read2_b32 v[2:3], v1 offset1:56
	s_waitcnt lgkmcnt(0)
	v_add_f32_e32 v2, v3, v2
	ds_write_b32 v1, v2
.LBB299_33:
	s_or_b64 exec, exec, s[0:1]
	v_cmp_gt_u32_e32 vcc, 28, v0
	s_waitcnt lgkmcnt(0)
	s_and_saveexec_b64 s[0:1], vcc
	s_cbranch_execz .LBB299_35
; %bb.34:
	ds_read2_b32 v[1:2], v1 offset1:28
	s_waitcnt lgkmcnt(0)
	v_add_f32_e32 v6, v1, v2
.LBB299_35:
	s_or_b64 exec, exec, s[0:1]
	v_mov_b32_e32 v2, v6
.LBB299_36:
	v_cmp_gt_u32_e32 vcc, 28, v0
	s_and_saveexec_b64 s[0:1], vcc
	s_cbranch_execz .LBB299_40
; %bb.37:
	v_cmp_eq_f32_e64 s[0:1], s12, 0
	s_and_b64 vcc, exec, s[0:1]
	v_mul_f32_e32 v1, s14, v2
	s_cbranch_vccz .LBB299_41
; %bb.38:
	v_mad_u64_u32 v[2:3], s[0:1], s6, 28, v[0:1]
	v_mov_b32_e32 v3, 0
	v_mov_b32_e32 v4, s17
	v_lshlrev_b64 v[2:3], 2, v[2:3]
	v_add_co_u32_e32 v2, vcc, s16, v2
	v_addc_co_u32_e32 v3, vcc, v4, v3, vcc
	global_store_dword v[2:3], v1, off
	s_cbranch_execnz .LBB299_40
.LBB299_39:
	v_mad_u64_u32 v[2:3], s[0:1], s6, 28, v[0:1]
	v_mov_b32_e32 v3, 0
	v_mov_b32_e32 v0, s17
	v_lshlrev_b64 v[2:3], 2, v[2:3]
	v_add_co_u32_e32 v2, vcc, s16, v2
	v_addc_co_u32_e32 v3, vcc, v0, v3, vcc
	global_load_dword v0, v[2:3], off
	s_waitcnt vmcnt(0)
	v_fmac_f32_e32 v1, s12, v0
	global_store_dword v[2:3], v1, off
.LBB299_40:
	s_endpgm
.LBB299_41:
	s_branch .LBB299_39
	.section	.rodata,"a",@progbits
	.p2align	6, 0x0
	.amdhsa_kernel _ZN9rocsparseL20bsrxmvn_17_32_kernelILj28EfiiDF16_DF16_fEEvT2_20rocsparse_direction_NS_24const_host_device_scalarIT0_EES1_PKS1_PKT1_SA_S7_PKT3_PKT4_S5_PT5_21rocsparse_index_base_b
		.amdhsa_group_segment_fixed_size 3136
		.amdhsa_private_segment_fixed_size 0
		.amdhsa_kernarg_size 96
		.amdhsa_user_sgpr_count 6
		.amdhsa_user_sgpr_private_segment_buffer 1
		.amdhsa_user_sgpr_dispatch_ptr 0
		.amdhsa_user_sgpr_queue_ptr 0
		.amdhsa_user_sgpr_kernarg_segment_ptr 1
		.amdhsa_user_sgpr_dispatch_id 0
		.amdhsa_user_sgpr_flat_scratch_init 0
		.amdhsa_user_sgpr_private_segment_size 0
		.amdhsa_uses_dynamic_stack 0
		.amdhsa_system_sgpr_private_segment_wavefront_offset 0
		.amdhsa_system_sgpr_workgroup_id_x 1
		.amdhsa_system_sgpr_workgroup_id_y 0
		.amdhsa_system_sgpr_workgroup_id_z 0
		.amdhsa_system_sgpr_workgroup_info 0
		.amdhsa_system_vgpr_workitem_id 0
		.amdhsa_next_free_vgpr 11
		.amdhsa_next_free_sgpr 22
		.amdhsa_reserve_vcc 1
		.amdhsa_reserve_flat_scratch 0
		.amdhsa_float_round_mode_32 0
		.amdhsa_float_round_mode_16_64 0
		.amdhsa_float_denorm_mode_32 3
		.amdhsa_float_denorm_mode_16_64 3
		.amdhsa_dx10_clamp 1
		.amdhsa_ieee_mode 1
		.amdhsa_fp16_overflow 0
		.amdhsa_exception_fp_ieee_invalid_op 0
		.amdhsa_exception_fp_denorm_src 0
		.amdhsa_exception_fp_ieee_div_zero 0
		.amdhsa_exception_fp_ieee_overflow 0
		.amdhsa_exception_fp_ieee_underflow 0
		.amdhsa_exception_fp_ieee_inexact 0
		.amdhsa_exception_int_div_zero 0
	.end_amdhsa_kernel
	.section	.text._ZN9rocsparseL20bsrxmvn_17_32_kernelILj28EfiiDF16_DF16_fEEvT2_20rocsparse_direction_NS_24const_host_device_scalarIT0_EES1_PKS1_PKT1_SA_S7_PKT3_PKT4_S5_PT5_21rocsparse_index_base_b,"axG",@progbits,_ZN9rocsparseL20bsrxmvn_17_32_kernelILj28EfiiDF16_DF16_fEEvT2_20rocsparse_direction_NS_24const_host_device_scalarIT0_EES1_PKS1_PKT1_SA_S7_PKT3_PKT4_S5_PT5_21rocsparse_index_base_b,comdat
.Lfunc_end299:
	.size	_ZN9rocsparseL20bsrxmvn_17_32_kernelILj28EfiiDF16_DF16_fEEvT2_20rocsparse_direction_NS_24const_host_device_scalarIT0_EES1_PKS1_PKT1_SA_S7_PKT3_PKT4_S5_PT5_21rocsparse_index_base_b, .Lfunc_end299-_ZN9rocsparseL20bsrxmvn_17_32_kernelILj28EfiiDF16_DF16_fEEvT2_20rocsparse_direction_NS_24const_host_device_scalarIT0_EES1_PKS1_PKT1_SA_S7_PKT3_PKT4_S5_PT5_21rocsparse_index_base_b
                                        ; -- End function
	.set _ZN9rocsparseL20bsrxmvn_17_32_kernelILj28EfiiDF16_DF16_fEEvT2_20rocsparse_direction_NS_24const_host_device_scalarIT0_EES1_PKS1_PKT1_SA_S7_PKT3_PKT4_S5_PT5_21rocsparse_index_base_b.num_vgpr, 11
	.set _ZN9rocsparseL20bsrxmvn_17_32_kernelILj28EfiiDF16_DF16_fEEvT2_20rocsparse_direction_NS_24const_host_device_scalarIT0_EES1_PKS1_PKT1_SA_S7_PKT3_PKT4_S5_PT5_21rocsparse_index_base_b.num_agpr, 0
	.set _ZN9rocsparseL20bsrxmvn_17_32_kernelILj28EfiiDF16_DF16_fEEvT2_20rocsparse_direction_NS_24const_host_device_scalarIT0_EES1_PKS1_PKT1_SA_S7_PKT3_PKT4_S5_PT5_21rocsparse_index_base_b.numbered_sgpr, 22
	.set _ZN9rocsparseL20bsrxmvn_17_32_kernelILj28EfiiDF16_DF16_fEEvT2_20rocsparse_direction_NS_24const_host_device_scalarIT0_EES1_PKS1_PKT1_SA_S7_PKT3_PKT4_S5_PT5_21rocsparse_index_base_b.num_named_barrier, 0
	.set _ZN9rocsparseL20bsrxmvn_17_32_kernelILj28EfiiDF16_DF16_fEEvT2_20rocsparse_direction_NS_24const_host_device_scalarIT0_EES1_PKS1_PKT1_SA_S7_PKT3_PKT4_S5_PT5_21rocsparse_index_base_b.private_seg_size, 0
	.set _ZN9rocsparseL20bsrxmvn_17_32_kernelILj28EfiiDF16_DF16_fEEvT2_20rocsparse_direction_NS_24const_host_device_scalarIT0_EES1_PKS1_PKT1_SA_S7_PKT3_PKT4_S5_PT5_21rocsparse_index_base_b.uses_vcc, 1
	.set _ZN9rocsparseL20bsrxmvn_17_32_kernelILj28EfiiDF16_DF16_fEEvT2_20rocsparse_direction_NS_24const_host_device_scalarIT0_EES1_PKS1_PKT1_SA_S7_PKT3_PKT4_S5_PT5_21rocsparse_index_base_b.uses_flat_scratch, 0
	.set _ZN9rocsparseL20bsrxmvn_17_32_kernelILj28EfiiDF16_DF16_fEEvT2_20rocsparse_direction_NS_24const_host_device_scalarIT0_EES1_PKS1_PKT1_SA_S7_PKT3_PKT4_S5_PT5_21rocsparse_index_base_b.has_dyn_sized_stack, 0
	.set _ZN9rocsparseL20bsrxmvn_17_32_kernelILj28EfiiDF16_DF16_fEEvT2_20rocsparse_direction_NS_24const_host_device_scalarIT0_EES1_PKS1_PKT1_SA_S7_PKT3_PKT4_S5_PT5_21rocsparse_index_base_b.has_recursion, 0
	.set _ZN9rocsparseL20bsrxmvn_17_32_kernelILj28EfiiDF16_DF16_fEEvT2_20rocsparse_direction_NS_24const_host_device_scalarIT0_EES1_PKS1_PKT1_SA_S7_PKT3_PKT4_S5_PT5_21rocsparse_index_base_b.has_indirect_call, 0
	.section	.AMDGPU.csdata,"",@progbits
; Kernel info:
; codeLenInByte = 1236
; TotalNumSgprs: 26
; NumVgprs: 11
; ScratchSize: 0
; MemoryBound: 0
; FloatMode: 240
; IeeeMode: 1
; LDSByteSize: 3136 bytes/workgroup (compile time only)
; SGPRBlocks: 3
; VGPRBlocks: 2
; NumSGPRsForWavesPerEU: 26
; NumVGPRsForWavesPerEU: 11
; Occupancy: 10
; WaveLimiterHint : 1
; COMPUTE_PGM_RSRC2:SCRATCH_EN: 0
; COMPUTE_PGM_RSRC2:USER_SGPR: 6
; COMPUTE_PGM_RSRC2:TRAP_HANDLER: 0
; COMPUTE_PGM_RSRC2:TGID_X_EN: 1
; COMPUTE_PGM_RSRC2:TGID_Y_EN: 0
; COMPUTE_PGM_RSRC2:TGID_Z_EN: 0
; COMPUTE_PGM_RSRC2:TIDIG_COMP_CNT: 0
	.section	.text._ZN9rocsparseL20bsrxmvn_17_32_kernelILj29EfiiDF16_DF16_fEEvT2_20rocsparse_direction_NS_24const_host_device_scalarIT0_EES1_PKS1_PKT1_SA_S7_PKT3_PKT4_S5_PT5_21rocsparse_index_base_b,"axG",@progbits,_ZN9rocsparseL20bsrxmvn_17_32_kernelILj29EfiiDF16_DF16_fEEvT2_20rocsparse_direction_NS_24const_host_device_scalarIT0_EES1_PKS1_PKT1_SA_S7_PKT3_PKT4_S5_PT5_21rocsparse_index_base_b,comdat
	.globl	_ZN9rocsparseL20bsrxmvn_17_32_kernelILj29EfiiDF16_DF16_fEEvT2_20rocsparse_direction_NS_24const_host_device_scalarIT0_EES1_PKS1_PKT1_SA_S7_PKT3_PKT4_S5_PT5_21rocsparse_index_base_b ; -- Begin function _ZN9rocsparseL20bsrxmvn_17_32_kernelILj29EfiiDF16_DF16_fEEvT2_20rocsparse_direction_NS_24const_host_device_scalarIT0_EES1_PKS1_PKT1_SA_S7_PKT3_PKT4_S5_PT5_21rocsparse_index_base_b
	.p2align	8
	.type	_ZN9rocsparseL20bsrxmvn_17_32_kernelILj29EfiiDF16_DF16_fEEvT2_20rocsparse_direction_NS_24const_host_device_scalarIT0_EES1_PKS1_PKT1_SA_S7_PKT3_PKT4_S5_PT5_21rocsparse_index_base_b,@function
_ZN9rocsparseL20bsrxmvn_17_32_kernelILj29EfiiDF16_DF16_fEEvT2_20rocsparse_direction_NS_24const_host_device_scalarIT0_EES1_PKS1_PKT1_SA_S7_PKT3_PKT4_S5_PT5_21rocsparse_index_base_b: ; @_ZN9rocsparseL20bsrxmvn_17_32_kernelILj29EfiiDF16_DF16_fEEvT2_20rocsparse_direction_NS_24const_host_device_scalarIT0_EES1_PKS1_PKT1_SA_S7_PKT3_PKT4_S5_PT5_21rocsparse_index_base_b
; %bb.0:
	s_load_dwordx2 s[18:19], s[4:5], 0x58
	s_load_dwordx2 s[14:15], s[4:5], 0x8
	;; [unrolled: 1-line block ×3, first 2 shown]
	s_waitcnt lgkmcnt(0)
	s_bitcmp1_b32 s19, 0
	s_cselect_b64 s[2:3], -1, 0
	s_xor_b64 s[0:1], s[2:3], -1
	s_and_b64 vcc, exec, s[2:3]
	s_cbranch_vccnz .LBB300_2
; %bb.1:
	s_load_dword s14, s[14:15], 0x0
.LBB300_2:
	s_andn2_b64 vcc, exec, s[0:1]
	s_cbranch_vccnz .LBB300_4
; %bb.3:
	s_load_dword s12, s[12:13], 0x0
.LBB300_4:
	s_waitcnt lgkmcnt(0)
	v_cmp_neq_f32_e64 s[0:1], s14, 0
	v_cmp_neq_f32_e64 s[2:3], s12, 1.0
	s_or_b64 s[0:1], s[0:1], s[2:3]
	s_andn2_b64 vcc, exec, s[0:1]
	s_cbranch_vccnz .LBB300_40
; %bb.5:
	s_load_dwordx4 s[0:3], s[4:5], 0x18
	s_load_dwordx2 s[8:9], s[4:5], 0x28
	s_waitcnt lgkmcnt(0)
	s_cmp_eq_u64 s[0:1], 0
	s_cbranch_scc1 .LBB300_7
; %bb.6:
	s_ashr_i32 s7, s6, 31
	s_lshl_b64 s[6:7], s[6:7], 2
	s_add_u32 s0, s0, s6
	s_addc_u32 s1, s1, s7
	s_load_dword s0, s[0:1], 0x0
	s_waitcnt lgkmcnt(0)
	s_sub_i32 s6, s0, s18
.LBB300_7:
	s_load_dword s0, s[4:5], 0x4
	s_load_dwordx2 s[16:17], s[4:5], 0x50
	v_mul_u32_u24_e32 v1, 0x8d4, v0
	v_mov_b32_e32 v2, 29
	v_mul_lo_u16_sdwa v2, v1, v2 dst_sel:DWORD dst_unused:UNUSED_PAD src0_sel:WORD_1 src1_sel:DWORD
	s_waitcnt lgkmcnt(0)
	s_cmp_eq_u32 s0, 1
	s_cselect_b64 vcc, -1, 0
	s_cmp_lg_u32 s0, 1
	s_cselect_b64 s[20:21], -1, 0
	s_ashr_i32 s7, s6, 31
	s_lshl_b64 s[0:1], s[6:7], 2
	s_add_u32 s2, s2, s0
	s_addc_u32 s3, s3, s1
	s_load_dword s7, s[2:3], 0x0
	s_add_u32 s2, s2, 4
	s_addc_u32 s3, s3, 0
	s_add_u32 s0, s8, s0
	s_addc_u32 s1, s9, s1
	s_cmp_eq_u64 s[8:9], 0
	s_cselect_b32 s1, s3, s1
	s_cselect_b32 s0, s2, s0
	s_load_dword s0, s[0:1], 0x0
	v_sub_u16_e32 v7, v0, v2
	v_mov_b32_e32 v6, 0
	s_waitcnt lgkmcnt(0)
	s_cmp_ge_i32 s7, s0
	s_cbranch_scc1 .LBB300_12
; %bb.8:
	s_load_dwordx4 s[8:11], s[4:5], 0x30
	s_load_dwordx2 s[2:3], s[4:5], 0x40
	s_sub_i32 s4, s0, s18
	s_mov_b32 s0, 0xffff
	s_movk_i32 s1, 0x349
	v_and_b32_sdwa v1, s0, v1 dst_sel:DWORD dst_unused:UNUSED_PAD src0_sel:DWORD src1_sel:WORD_1
	v_subrev_u32_e32 v2, 29, v1
	v_cmp_gt_u32_e64 s[0:1], s1, v0
	s_sub_i32 s5, s7, s18
	v_cndmask_b32_e64 v1, v2, v1, s[0:1]
	s_mul_i32 s1, s5, 0x692
	s_mul_hi_i32 s0, s5, 0x692
	s_waitcnt lgkmcnt(0)
	s_add_u32 s1, s10, s1
	s_addc_u32 s0, s11, s0
	v_lshlrev_b32_e32 v2, 1, v0
	v_cndmask_b32_e32 v1, v7, v1, vcc
	v_mov_b32_e32 v3, s0
	v_add_co_u32_e32 v2, vcc, s1, v2
	v_addc_co_u32_e32 v3, vcc, 0, v3, vcc
	s_movk_i32 s0, 0x348
	v_cmp_lt_u32_e32 vcc, s0, v0
	v_mov_b32_e32 v6, 0
	v_cndmask_b32_e64 v8, 0, 1, vcc
	s_branch .LBB300_10
.LBB300_9:                              ;   in Loop: Header=BB300_10 Depth=1
	s_or_b64 exec, exec, s[0:1]
	s_add_i32 s5, s5, 1
	s_cmp_lt_i32 s5, s4
	s_cbranch_scc0 .LBB300_12
.LBB300_10:                             ; =>This Inner Loop Header: Depth=1
	v_add_u32_e32 v4, s5, v8
	v_cmp_gt_i32_e32 vcc, s4, v4
	s_and_saveexec_b64 s[0:1], vcc
	s_cbranch_execz .LBB300_9
; %bb.11:                               ;   in Loop: Header=BB300_10 Depth=1
	v_ashrrev_i32_e32 v5, 31, v4
	v_lshlrev_b64 v[4:5], 2, v[4:5]
	v_mov_b32_e32 v9, s9
	v_add_co_u32_e32 v4, vcc, s8, v4
	v_addc_co_u32_e32 v5, vcc, v9, v5, vcc
	global_load_dword v4, v[4:5], off
	v_mov_b32_e32 v10, s3
	global_load_ushort v9, v[2:3], off
	s_waitcnt vmcnt(1)
	v_subrev_u32_e32 v4, s18, v4
	v_mad_u64_u32 v[4:5], s[10:11], v4, 29, v[1:2]
	v_ashrrev_i32_e32 v5, 31, v4
	v_lshlrev_b64 v[4:5], 1, v[4:5]
	v_add_co_u32_e32 v4, vcc, s2, v4
	v_addc_co_u32_e32 v5, vcc, v10, v5, vcc
	global_load_ushort v4, v[4:5], off
	v_add_co_u32_e32 v2, vcc, 0x692, v2
	v_addc_co_u32_e32 v3, vcc, 0, v3, vcc
	s_waitcnt vmcnt(0)
	v_fma_mix_f32 v6, v9, v4, v6 op_sel_hi:[1,1,0]
	s_branch .LBB300_9
.LBB300_12:
	v_lshlrev_b32_e32 v1, 2, v0
	s_and_b64 vcc, exec, s[20:21]
	ds_write_b32 v1, v6
	s_waitcnt lgkmcnt(0)
	s_barrier
	s_cbranch_vccz .LBB300_24
; %bb.13:
	v_cmp_gt_u16_e32 vcc, 13, v7
	s_and_saveexec_b64 s[0:1], vcc
	s_cbranch_execz .LBB300_15
; %bb.14:
	ds_read2_b32 v[2:3], v1 offset1:16
	s_waitcnt lgkmcnt(0)
	v_add_f32_e32 v2, v3, v2
	ds_write_b32 v1, v2
.LBB300_15:
	s_or_b64 exec, exec, s[0:1]
	v_cmp_gt_u16_e32 vcc, 8, v7
	s_waitcnt lgkmcnt(0)
	s_barrier
	s_and_saveexec_b64 s[0:1], vcc
	s_cbranch_execz .LBB300_17
; %bb.16:
	ds_read2_b32 v[2:3], v1 offset1:8
	s_waitcnt lgkmcnt(0)
	v_add_f32_e32 v2, v3, v2
	ds_write_b32 v1, v2
.LBB300_17:
	s_or_b64 exec, exec, s[0:1]
	v_cmp_gt_u16_e32 vcc, 4, v7
	s_waitcnt lgkmcnt(0)
	s_barrier
	;; [unrolled: 12-line block ×3, first 2 shown]
	s_and_saveexec_b64 s[0:1], vcc
	s_cbranch_execz .LBB300_21
; %bb.20:
	ds_read2_b32 v[2:3], v1 offset1:2
	s_waitcnt lgkmcnt(0)
	v_add_f32_e32 v2, v3, v2
	ds_write_b32 v1, v2
.LBB300_21:
	s_or_b64 exec, exec, s[0:1]
	v_cmp_gt_u32_e32 vcc, 29, v0
	v_mov_b32_e32 v2, v6
	s_waitcnt lgkmcnt(0)
	s_barrier
	s_and_saveexec_b64 s[0:1], vcc
	s_cbranch_execz .LBB300_23
; %bb.22:
	s_movk_i32 s2, 0x70
	v_mad_u32_u24 v2, v0, s2, v1
	ds_read2_b32 v[2:3], v2 offset1:1
	s_waitcnt lgkmcnt(0)
	v_add_f32_e32 v2, v2, v3
.LBB300_23:
	s_or_b64 exec, exec, s[0:1]
	s_branch .LBB300_36
.LBB300_24:
                                        ; implicit-def: $vgpr2
	s_cbranch_execz .LBB300_36
; %bb.25:
	s_movk_i32 s0, 0x179
	v_cmp_gt_u32_e32 vcc, s0, v0
	s_and_saveexec_b64 s[0:1], vcc
	s_cbranch_execz .LBB300_27
; %bb.26:
	ds_read_b32 v2, v1 offset:1856
	ds_read_b32 v3, v1
	s_waitcnt lgkmcnt(0)
	v_add_f32_e32 v2, v2, v3
	ds_write_b32 v1, v2
.LBB300_27:
	s_or_b64 exec, exec, s[0:1]
	s_movk_i32 s0, 0xe8
	v_cmp_gt_u32_e32 vcc, s0, v0
	s_waitcnt lgkmcnt(0)
	s_barrier
	s_and_saveexec_b64 s[0:1], vcc
	s_cbranch_execz .LBB300_29
; %bb.28:
	ds_read2_b32 v[2:3], v1 offset1:232
	s_waitcnt lgkmcnt(0)
	v_add_f32_e32 v2, v3, v2
	ds_write_b32 v1, v2
.LBB300_29:
	s_or_b64 exec, exec, s[0:1]
	s_movk_i32 s0, 0x74
	v_cmp_gt_u32_e32 vcc, s0, v0
	s_waitcnt lgkmcnt(0)
	s_barrier
	s_and_saveexec_b64 s[0:1], vcc
	s_cbranch_execz .LBB300_31
; %bb.30:
	ds_read2_b32 v[2:3], v1 offset1:116
	s_waitcnt lgkmcnt(0)
	v_add_f32_e32 v2, v3, v2
	ds_write_b32 v1, v2
.LBB300_31:
	s_or_b64 exec, exec, s[0:1]
	v_cmp_gt_u32_e32 vcc, 58, v0
	s_waitcnt lgkmcnt(0)
	s_barrier
	s_and_saveexec_b64 s[0:1], vcc
	s_cbranch_execz .LBB300_33
; %bb.32:
	ds_read2_b32 v[2:3], v1 offset1:58
	s_waitcnt lgkmcnt(0)
	v_add_f32_e32 v2, v3, v2
	ds_write_b32 v1, v2
.LBB300_33:
	s_or_b64 exec, exec, s[0:1]
	v_cmp_gt_u32_e32 vcc, 29, v0
	s_waitcnt lgkmcnt(0)
	s_and_saveexec_b64 s[0:1], vcc
	s_cbranch_execz .LBB300_35
; %bb.34:
	ds_read2_b32 v[1:2], v1 offset1:29
	s_waitcnt lgkmcnt(0)
	v_add_f32_e32 v6, v1, v2
.LBB300_35:
	s_or_b64 exec, exec, s[0:1]
	v_mov_b32_e32 v2, v6
.LBB300_36:
	v_cmp_gt_u32_e32 vcc, 29, v0
	s_and_saveexec_b64 s[0:1], vcc
	s_cbranch_execz .LBB300_40
; %bb.37:
	v_cmp_eq_f32_e64 s[0:1], s12, 0
	s_and_b64 vcc, exec, s[0:1]
	v_mul_f32_e32 v1, s14, v2
	s_cbranch_vccz .LBB300_41
; %bb.38:
	v_mad_u64_u32 v[2:3], s[0:1], s6, 29, v[0:1]
	v_mov_b32_e32 v3, 0
	v_mov_b32_e32 v4, s17
	v_lshlrev_b64 v[2:3], 2, v[2:3]
	v_add_co_u32_e32 v2, vcc, s16, v2
	v_addc_co_u32_e32 v3, vcc, v4, v3, vcc
	global_store_dword v[2:3], v1, off
	s_cbranch_execnz .LBB300_40
.LBB300_39:
	v_mad_u64_u32 v[2:3], s[0:1], s6, 29, v[0:1]
	v_mov_b32_e32 v3, 0
	v_mov_b32_e32 v0, s17
	v_lshlrev_b64 v[2:3], 2, v[2:3]
	v_add_co_u32_e32 v2, vcc, s16, v2
	v_addc_co_u32_e32 v3, vcc, v0, v3, vcc
	global_load_dword v0, v[2:3], off
	s_waitcnt vmcnt(0)
	v_fmac_f32_e32 v1, s12, v0
	global_store_dword v[2:3], v1, off
.LBB300_40:
	s_endpgm
.LBB300_41:
	s_branch .LBB300_39
	.section	.rodata,"a",@progbits
	.p2align	6, 0x0
	.amdhsa_kernel _ZN9rocsparseL20bsrxmvn_17_32_kernelILj29EfiiDF16_DF16_fEEvT2_20rocsparse_direction_NS_24const_host_device_scalarIT0_EES1_PKS1_PKT1_SA_S7_PKT3_PKT4_S5_PT5_21rocsparse_index_base_b
		.amdhsa_group_segment_fixed_size 3364
		.amdhsa_private_segment_fixed_size 0
		.amdhsa_kernarg_size 96
		.amdhsa_user_sgpr_count 6
		.amdhsa_user_sgpr_private_segment_buffer 1
		.amdhsa_user_sgpr_dispatch_ptr 0
		.amdhsa_user_sgpr_queue_ptr 0
		.amdhsa_user_sgpr_kernarg_segment_ptr 1
		.amdhsa_user_sgpr_dispatch_id 0
		.amdhsa_user_sgpr_flat_scratch_init 0
		.amdhsa_user_sgpr_private_segment_size 0
		.amdhsa_uses_dynamic_stack 0
		.amdhsa_system_sgpr_private_segment_wavefront_offset 0
		.amdhsa_system_sgpr_workgroup_id_x 1
		.amdhsa_system_sgpr_workgroup_id_y 0
		.amdhsa_system_sgpr_workgroup_id_z 0
		.amdhsa_system_sgpr_workgroup_info 0
		.amdhsa_system_vgpr_workitem_id 0
		.amdhsa_next_free_vgpr 33
		.amdhsa_next_free_sgpr 77
		.amdhsa_reserve_vcc 1
		.amdhsa_reserve_flat_scratch 0
		.amdhsa_float_round_mode_32 0
		.amdhsa_float_round_mode_16_64 0
		.amdhsa_float_denorm_mode_32 3
		.amdhsa_float_denorm_mode_16_64 3
		.amdhsa_dx10_clamp 1
		.amdhsa_ieee_mode 1
		.amdhsa_fp16_overflow 0
		.amdhsa_exception_fp_ieee_invalid_op 0
		.amdhsa_exception_fp_denorm_src 0
		.amdhsa_exception_fp_ieee_div_zero 0
		.amdhsa_exception_fp_ieee_overflow 0
		.amdhsa_exception_fp_ieee_underflow 0
		.amdhsa_exception_fp_ieee_inexact 0
		.amdhsa_exception_int_div_zero 0
	.end_amdhsa_kernel
	.section	.text._ZN9rocsparseL20bsrxmvn_17_32_kernelILj29EfiiDF16_DF16_fEEvT2_20rocsparse_direction_NS_24const_host_device_scalarIT0_EES1_PKS1_PKT1_SA_S7_PKT3_PKT4_S5_PT5_21rocsparse_index_base_b,"axG",@progbits,_ZN9rocsparseL20bsrxmvn_17_32_kernelILj29EfiiDF16_DF16_fEEvT2_20rocsparse_direction_NS_24const_host_device_scalarIT0_EES1_PKS1_PKT1_SA_S7_PKT3_PKT4_S5_PT5_21rocsparse_index_base_b,comdat
.Lfunc_end300:
	.size	_ZN9rocsparseL20bsrxmvn_17_32_kernelILj29EfiiDF16_DF16_fEEvT2_20rocsparse_direction_NS_24const_host_device_scalarIT0_EES1_PKS1_PKT1_SA_S7_PKT3_PKT4_S5_PT5_21rocsparse_index_base_b, .Lfunc_end300-_ZN9rocsparseL20bsrxmvn_17_32_kernelILj29EfiiDF16_DF16_fEEvT2_20rocsparse_direction_NS_24const_host_device_scalarIT0_EES1_PKS1_PKT1_SA_S7_PKT3_PKT4_S5_PT5_21rocsparse_index_base_b
                                        ; -- End function
	.set _ZN9rocsparseL20bsrxmvn_17_32_kernelILj29EfiiDF16_DF16_fEEvT2_20rocsparse_direction_NS_24const_host_device_scalarIT0_EES1_PKS1_PKT1_SA_S7_PKT3_PKT4_S5_PT5_21rocsparse_index_base_b.num_vgpr, 11
	.set _ZN9rocsparseL20bsrxmvn_17_32_kernelILj29EfiiDF16_DF16_fEEvT2_20rocsparse_direction_NS_24const_host_device_scalarIT0_EES1_PKS1_PKT1_SA_S7_PKT3_PKT4_S5_PT5_21rocsparse_index_base_b.num_agpr, 0
	.set _ZN9rocsparseL20bsrxmvn_17_32_kernelILj29EfiiDF16_DF16_fEEvT2_20rocsparse_direction_NS_24const_host_device_scalarIT0_EES1_PKS1_PKT1_SA_S7_PKT3_PKT4_S5_PT5_21rocsparse_index_base_b.numbered_sgpr, 22
	.set _ZN9rocsparseL20bsrxmvn_17_32_kernelILj29EfiiDF16_DF16_fEEvT2_20rocsparse_direction_NS_24const_host_device_scalarIT0_EES1_PKS1_PKT1_SA_S7_PKT3_PKT4_S5_PT5_21rocsparse_index_base_b.num_named_barrier, 0
	.set _ZN9rocsparseL20bsrxmvn_17_32_kernelILj29EfiiDF16_DF16_fEEvT2_20rocsparse_direction_NS_24const_host_device_scalarIT0_EES1_PKS1_PKT1_SA_S7_PKT3_PKT4_S5_PT5_21rocsparse_index_base_b.private_seg_size, 0
	.set _ZN9rocsparseL20bsrxmvn_17_32_kernelILj29EfiiDF16_DF16_fEEvT2_20rocsparse_direction_NS_24const_host_device_scalarIT0_EES1_PKS1_PKT1_SA_S7_PKT3_PKT4_S5_PT5_21rocsparse_index_base_b.uses_vcc, 1
	.set _ZN9rocsparseL20bsrxmvn_17_32_kernelILj29EfiiDF16_DF16_fEEvT2_20rocsparse_direction_NS_24const_host_device_scalarIT0_EES1_PKS1_PKT1_SA_S7_PKT3_PKT4_S5_PT5_21rocsparse_index_base_b.uses_flat_scratch, 0
	.set _ZN9rocsparseL20bsrxmvn_17_32_kernelILj29EfiiDF16_DF16_fEEvT2_20rocsparse_direction_NS_24const_host_device_scalarIT0_EES1_PKS1_PKT1_SA_S7_PKT3_PKT4_S5_PT5_21rocsparse_index_base_b.has_dyn_sized_stack, 0
	.set _ZN9rocsparseL20bsrxmvn_17_32_kernelILj29EfiiDF16_DF16_fEEvT2_20rocsparse_direction_NS_24const_host_device_scalarIT0_EES1_PKS1_PKT1_SA_S7_PKT3_PKT4_S5_PT5_21rocsparse_index_base_b.has_recursion, 0
	.set _ZN9rocsparseL20bsrxmvn_17_32_kernelILj29EfiiDF16_DF16_fEEvT2_20rocsparse_direction_NS_24const_host_device_scalarIT0_EES1_PKS1_PKT1_SA_S7_PKT3_PKT4_S5_PT5_21rocsparse_index_base_b.has_indirect_call, 0
	.section	.AMDGPU.csdata,"",@progbits
; Kernel info:
; codeLenInByte = 1244
; TotalNumSgprs: 26
; NumVgprs: 11
; ScratchSize: 0
; MemoryBound: 0
; FloatMode: 240
; IeeeMode: 1
; LDSByteSize: 3364 bytes/workgroup (compile time only)
; SGPRBlocks: 10
; VGPRBlocks: 8
; NumSGPRsForWavesPerEU: 81
; NumVGPRsForWavesPerEU: 33
; Occupancy: 7
; WaveLimiterHint : 1
; COMPUTE_PGM_RSRC2:SCRATCH_EN: 0
; COMPUTE_PGM_RSRC2:USER_SGPR: 6
; COMPUTE_PGM_RSRC2:TRAP_HANDLER: 0
; COMPUTE_PGM_RSRC2:TGID_X_EN: 1
; COMPUTE_PGM_RSRC2:TGID_Y_EN: 0
; COMPUTE_PGM_RSRC2:TGID_Z_EN: 0
; COMPUTE_PGM_RSRC2:TIDIG_COMP_CNT: 0
	.section	.text._ZN9rocsparseL20bsrxmvn_17_32_kernelILj30EfiiDF16_DF16_fEEvT2_20rocsparse_direction_NS_24const_host_device_scalarIT0_EES1_PKS1_PKT1_SA_S7_PKT3_PKT4_S5_PT5_21rocsparse_index_base_b,"axG",@progbits,_ZN9rocsparseL20bsrxmvn_17_32_kernelILj30EfiiDF16_DF16_fEEvT2_20rocsparse_direction_NS_24const_host_device_scalarIT0_EES1_PKS1_PKT1_SA_S7_PKT3_PKT4_S5_PT5_21rocsparse_index_base_b,comdat
	.globl	_ZN9rocsparseL20bsrxmvn_17_32_kernelILj30EfiiDF16_DF16_fEEvT2_20rocsparse_direction_NS_24const_host_device_scalarIT0_EES1_PKS1_PKT1_SA_S7_PKT3_PKT4_S5_PT5_21rocsparse_index_base_b ; -- Begin function _ZN9rocsparseL20bsrxmvn_17_32_kernelILj30EfiiDF16_DF16_fEEvT2_20rocsparse_direction_NS_24const_host_device_scalarIT0_EES1_PKS1_PKT1_SA_S7_PKT3_PKT4_S5_PT5_21rocsparse_index_base_b
	.p2align	8
	.type	_ZN9rocsparseL20bsrxmvn_17_32_kernelILj30EfiiDF16_DF16_fEEvT2_20rocsparse_direction_NS_24const_host_device_scalarIT0_EES1_PKS1_PKT1_SA_S7_PKT3_PKT4_S5_PT5_21rocsparse_index_base_b,@function
_ZN9rocsparseL20bsrxmvn_17_32_kernelILj30EfiiDF16_DF16_fEEvT2_20rocsparse_direction_NS_24const_host_device_scalarIT0_EES1_PKS1_PKT1_SA_S7_PKT3_PKT4_S5_PT5_21rocsparse_index_base_b: ; @_ZN9rocsparseL20bsrxmvn_17_32_kernelILj30EfiiDF16_DF16_fEEvT2_20rocsparse_direction_NS_24const_host_device_scalarIT0_EES1_PKS1_PKT1_SA_S7_PKT3_PKT4_S5_PT5_21rocsparse_index_base_b
; %bb.0:
	s_load_dwordx2 s[18:19], s[4:5], 0x58
	s_load_dwordx2 s[14:15], s[4:5], 0x8
	;; [unrolled: 1-line block ×3, first 2 shown]
	s_waitcnt lgkmcnt(0)
	s_bitcmp1_b32 s19, 0
	s_cselect_b64 s[2:3], -1, 0
	s_xor_b64 s[0:1], s[2:3], -1
	s_and_b64 vcc, exec, s[2:3]
	s_cbranch_vccnz .LBB301_2
; %bb.1:
	s_load_dword s14, s[14:15], 0x0
.LBB301_2:
	s_andn2_b64 vcc, exec, s[0:1]
	s_cbranch_vccnz .LBB301_4
; %bb.3:
	s_load_dword s12, s[12:13], 0x0
.LBB301_4:
	s_waitcnt lgkmcnt(0)
	v_cmp_neq_f32_e64 s[0:1], s14, 0
	v_cmp_neq_f32_e64 s[2:3], s12, 1.0
	s_or_b64 s[0:1], s[0:1], s[2:3]
	s_andn2_b64 vcc, exec, s[0:1]
	s_cbranch_vccnz .LBB301_40
; %bb.5:
	s_load_dwordx4 s[0:3], s[4:5], 0x18
	s_load_dwordx2 s[8:9], s[4:5], 0x28
	s_waitcnt lgkmcnt(0)
	s_cmp_eq_u64 s[0:1], 0
	s_cbranch_scc1 .LBB301_7
; %bb.6:
	s_ashr_i32 s7, s6, 31
	s_lshl_b64 s[6:7], s[6:7], 2
	s_add_u32 s0, s0, s6
	s_addc_u32 s1, s1, s7
	s_load_dword s0, s[0:1], 0x0
	s_waitcnt lgkmcnt(0)
	s_sub_i32 s6, s0, s18
.LBB301_7:
	s_load_dword s0, s[4:5], 0x4
	s_load_dwordx2 s[16:17], s[4:5], 0x50
	v_mul_u32_u24_e32 v1, 0x889, v0
	v_mov_b32_e32 v2, 30
	v_mul_lo_u16_sdwa v2, v1, v2 dst_sel:DWORD dst_unused:UNUSED_PAD src0_sel:WORD_1 src1_sel:DWORD
	s_waitcnt lgkmcnt(0)
	s_cmp_eq_u32 s0, 1
	s_cselect_b64 vcc, -1, 0
	s_cmp_lg_u32 s0, 1
	s_cselect_b64 s[20:21], -1, 0
	s_ashr_i32 s7, s6, 31
	s_lshl_b64 s[0:1], s[6:7], 2
	s_add_u32 s2, s2, s0
	s_addc_u32 s3, s3, s1
	s_load_dword s7, s[2:3], 0x0
	s_add_u32 s2, s2, 4
	s_addc_u32 s3, s3, 0
	s_add_u32 s0, s8, s0
	s_addc_u32 s1, s9, s1
	s_cmp_eq_u64 s[8:9], 0
	s_cselect_b32 s1, s3, s1
	s_cselect_b32 s0, s2, s0
	s_load_dword s0, s[0:1], 0x0
	v_sub_u16_e32 v7, v0, v2
	v_mov_b32_e32 v6, 0
	s_waitcnt lgkmcnt(0)
	s_cmp_ge_i32 s7, s0
	s_cbranch_scc1 .LBB301_12
; %bb.8:
	s_load_dwordx4 s[8:11], s[4:5], 0x30
	s_load_dwordx2 s[2:3], s[4:5], 0x40
	s_sub_i32 s4, s0, s18
	s_mov_b32 s0, 0xffff
	s_movk_i32 s1, 0x384
	v_and_b32_sdwa v1, s0, v1 dst_sel:DWORD dst_unused:UNUSED_PAD src0_sel:DWORD src1_sel:WORD_1
	v_subrev_u32_e32 v2, 30, v1
	v_cmp_gt_u32_e64 s[0:1], s1, v0
	s_sub_i32 s5, s7, s18
	v_cndmask_b32_e64 v1, v2, v1, s[0:1]
	s_mul_i32 s1, s5, 0x708
	s_mul_hi_i32 s0, s5, 0x708
	s_waitcnt lgkmcnt(0)
	s_add_u32 s1, s10, s1
	s_addc_u32 s0, s11, s0
	v_lshlrev_b32_e32 v2, 1, v0
	v_cndmask_b32_e32 v1, v7, v1, vcc
	v_mov_b32_e32 v3, s0
	v_add_co_u32_e32 v2, vcc, s1, v2
	v_addc_co_u32_e32 v3, vcc, 0, v3, vcc
	s_movk_i32 s0, 0x383
	v_cmp_lt_u32_e32 vcc, s0, v0
	v_mov_b32_e32 v6, 0
	v_cndmask_b32_e64 v8, 0, 1, vcc
	s_branch .LBB301_10
.LBB301_9:                              ;   in Loop: Header=BB301_10 Depth=1
	s_or_b64 exec, exec, s[0:1]
	s_add_i32 s5, s5, 1
	s_cmp_lt_i32 s5, s4
	s_cbranch_scc0 .LBB301_12
.LBB301_10:                             ; =>This Inner Loop Header: Depth=1
	v_add_u32_e32 v4, s5, v8
	v_cmp_gt_i32_e32 vcc, s4, v4
	s_and_saveexec_b64 s[0:1], vcc
	s_cbranch_execz .LBB301_9
; %bb.11:                               ;   in Loop: Header=BB301_10 Depth=1
	v_ashrrev_i32_e32 v5, 31, v4
	v_lshlrev_b64 v[4:5], 2, v[4:5]
	v_mov_b32_e32 v9, s9
	v_add_co_u32_e32 v4, vcc, s8, v4
	v_addc_co_u32_e32 v5, vcc, v9, v5, vcc
	global_load_dword v4, v[4:5], off
	v_mov_b32_e32 v10, s3
	global_load_ushort v9, v[2:3], off
	s_waitcnt vmcnt(1)
	v_subrev_u32_e32 v4, s18, v4
	v_mad_u64_u32 v[4:5], s[10:11], v4, 30, v[1:2]
	v_ashrrev_i32_e32 v5, 31, v4
	v_lshlrev_b64 v[4:5], 1, v[4:5]
	v_add_co_u32_e32 v4, vcc, s2, v4
	v_addc_co_u32_e32 v5, vcc, v10, v5, vcc
	global_load_ushort v4, v[4:5], off
	v_add_co_u32_e32 v2, vcc, 0x708, v2
	v_addc_co_u32_e32 v3, vcc, 0, v3, vcc
	s_waitcnt vmcnt(0)
	v_fma_mix_f32 v6, v9, v4, v6 op_sel_hi:[1,1,0]
	s_branch .LBB301_9
.LBB301_12:
	v_lshlrev_b32_e32 v1, 2, v0
	s_and_b64 vcc, exec, s[20:21]
	ds_write_b32 v1, v6
	s_waitcnt lgkmcnt(0)
	s_barrier
	s_cbranch_vccz .LBB301_24
; %bb.13:
	v_cmp_gt_u16_e32 vcc, 14, v7
	s_and_saveexec_b64 s[0:1], vcc
	s_cbranch_execz .LBB301_15
; %bb.14:
	ds_read2_b32 v[2:3], v1 offset1:16
	s_waitcnt lgkmcnt(0)
	v_add_f32_e32 v2, v3, v2
	ds_write_b32 v1, v2
.LBB301_15:
	s_or_b64 exec, exec, s[0:1]
	v_cmp_gt_u16_e32 vcc, 8, v7
	s_waitcnt lgkmcnt(0)
	s_barrier
	s_and_saveexec_b64 s[0:1], vcc
	s_cbranch_execz .LBB301_17
; %bb.16:
	ds_read2_b32 v[2:3], v1 offset1:8
	s_waitcnt lgkmcnt(0)
	v_add_f32_e32 v2, v3, v2
	ds_write_b32 v1, v2
.LBB301_17:
	s_or_b64 exec, exec, s[0:1]
	v_cmp_gt_u16_e32 vcc, 4, v7
	s_waitcnt lgkmcnt(0)
	s_barrier
	;; [unrolled: 12-line block ×3, first 2 shown]
	s_and_saveexec_b64 s[0:1], vcc
	s_cbranch_execz .LBB301_21
; %bb.20:
	ds_read2_b32 v[2:3], v1 offset1:2
	s_waitcnt lgkmcnt(0)
	v_add_f32_e32 v2, v3, v2
	ds_write_b32 v1, v2
.LBB301_21:
	s_or_b64 exec, exec, s[0:1]
	v_cmp_gt_u32_e32 vcc, 30, v0
	v_mov_b32_e32 v2, v6
	s_waitcnt lgkmcnt(0)
	s_barrier
	s_and_saveexec_b64 s[0:1], vcc
	s_cbranch_execz .LBB301_23
; %bb.22:
	s_movk_i32 s2, 0x74
	v_mad_u32_u24 v2, v0, s2, v1
	ds_read_b64 v[2:3], v2
	s_waitcnt lgkmcnt(0)
	v_add_f32_e32 v2, v2, v3
.LBB301_23:
	s_or_b64 exec, exec, s[0:1]
	s_branch .LBB301_36
.LBB301_24:
                                        ; implicit-def: $vgpr2
	s_cbranch_execz .LBB301_36
; %bb.25:
	s_movk_i32 s0, 0x1a4
	v_cmp_gt_u32_e32 vcc, s0, v0
	s_and_saveexec_b64 s[0:1], vcc
	s_cbranch_execz .LBB301_27
; %bb.26:
	ds_read_b32 v2, v1 offset:1920
	ds_read_b32 v3, v1
	s_waitcnt lgkmcnt(0)
	v_add_f32_e32 v2, v2, v3
	ds_write_b32 v1, v2
.LBB301_27:
	s_or_b64 exec, exec, s[0:1]
	s_movk_i32 s0, 0xf0
	v_cmp_gt_u32_e32 vcc, s0, v0
	s_waitcnt lgkmcnt(0)
	s_barrier
	s_and_saveexec_b64 s[0:1], vcc
	s_cbranch_execz .LBB301_29
; %bb.28:
	ds_read2_b32 v[2:3], v1 offset1:240
	s_waitcnt lgkmcnt(0)
	v_add_f32_e32 v2, v3, v2
	ds_write_b32 v1, v2
.LBB301_29:
	s_or_b64 exec, exec, s[0:1]
	s_movk_i32 s0, 0x78
	v_cmp_gt_u32_e32 vcc, s0, v0
	s_waitcnt lgkmcnt(0)
	s_barrier
	s_and_saveexec_b64 s[0:1], vcc
	s_cbranch_execz .LBB301_31
; %bb.30:
	ds_read2_b32 v[2:3], v1 offset1:120
	s_waitcnt lgkmcnt(0)
	v_add_f32_e32 v2, v3, v2
	ds_write_b32 v1, v2
.LBB301_31:
	s_or_b64 exec, exec, s[0:1]
	v_cmp_gt_u32_e32 vcc, 60, v0
	s_waitcnt lgkmcnt(0)
	s_barrier
	s_and_saveexec_b64 s[0:1], vcc
	s_cbranch_execz .LBB301_33
; %bb.32:
	ds_read2_b32 v[2:3], v1 offset1:60
	s_waitcnt lgkmcnt(0)
	v_add_f32_e32 v2, v3, v2
	ds_write_b32 v1, v2
.LBB301_33:
	s_or_b64 exec, exec, s[0:1]
	v_cmp_gt_u32_e32 vcc, 30, v0
	s_waitcnt lgkmcnt(0)
	s_and_saveexec_b64 s[0:1], vcc
	s_cbranch_execz .LBB301_35
; %bb.34:
	ds_read2_b32 v[1:2], v1 offset1:30
	s_waitcnt lgkmcnt(0)
	v_add_f32_e32 v6, v1, v2
.LBB301_35:
	s_or_b64 exec, exec, s[0:1]
	v_mov_b32_e32 v2, v6
.LBB301_36:
	v_cmp_gt_u32_e32 vcc, 30, v0
	s_and_saveexec_b64 s[0:1], vcc
	s_cbranch_execz .LBB301_40
; %bb.37:
	v_cmp_eq_f32_e64 s[0:1], s12, 0
	s_and_b64 vcc, exec, s[0:1]
	v_mul_f32_e32 v1, s14, v2
	s_cbranch_vccz .LBB301_41
; %bb.38:
	v_mad_u64_u32 v[2:3], s[0:1], s6, 30, v[0:1]
	v_mov_b32_e32 v3, 0
	v_mov_b32_e32 v4, s17
	v_lshlrev_b64 v[2:3], 2, v[2:3]
	v_add_co_u32_e32 v2, vcc, s16, v2
	v_addc_co_u32_e32 v3, vcc, v4, v3, vcc
	global_store_dword v[2:3], v1, off
	s_cbranch_execnz .LBB301_40
.LBB301_39:
	v_mad_u64_u32 v[2:3], s[0:1], s6, 30, v[0:1]
	v_mov_b32_e32 v3, 0
	v_mov_b32_e32 v0, s17
	v_lshlrev_b64 v[2:3], 2, v[2:3]
	v_add_co_u32_e32 v2, vcc, s16, v2
	v_addc_co_u32_e32 v3, vcc, v0, v3, vcc
	global_load_dword v0, v[2:3], off
	s_waitcnt vmcnt(0)
	v_fmac_f32_e32 v1, s12, v0
	global_store_dword v[2:3], v1, off
.LBB301_40:
	s_endpgm
.LBB301_41:
	s_branch .LBB301_39
	.section	.rodata,"a",@progbits
	.p2align	6, 0x0
	.amdhsa_kernel _ZN9rocsparseL20bsrxmvn_17_32_kernelILj30EfiiDF16_DF16_fEEvT2_20rocsparse_direction_NS_24const_host_device_scalarIT0_EES1_PKS1_PKT1_SA_S7_PKT3_PKT4_S5_PT5_21rocsparse_index_base_b
		.amdhsa_group_segment_fixed_size 3600
		.amdhsa_private_segment_fixed_size 0
		.amdhsa_kernarg_size 96
		.amdhsa_user_sgpr_count 6
		.amdhsa_user_sgpr_private_segment_buffer 1
		.amdhsa_user_sgpr_dispatch_ptr 0
		.amdhsa_user_sgpr_queue_ptr 0
		.amdhsa_user_sgpr_kernarg_segment_ptr 1
		.amdhsa_user_sgpr_dispatch_id 0
		.amdhsa_user_sgpr_flat_scratch_init 0
		.amdhsa_user_sgpr_private_segment_size 0
		.amdhsa_uses_dynamic_stack 0
		.amdhsa_system_sgpr_private_segment_wavefront_offset 0
		.amdhsa_system_sgpr_workgroup_id_x 1
		.amdhsa_system_sgpr_workgroup_id_y 0
		.amdhsa_system_sgpr_workgroup_id_z 0
		.amdhsa_system_sgpr_workgroup_info 0
		.amdhsa_system_vgpr_workitem_id 0
		.amdhsa_next_free_vgpr 29
		.amdhsa_next_free_sgpr 61
		.amdhsa_reserve_vcc 1
		.amdhsa_reserve_flat_scratch 0
		.amdhsa_float_round_mode_32 0
		.amdhsa_float_round_mode_16_64 0
		.amdhsa_float_denorm_mode_32 3
		.amdhsa_float_denorm_mode_16_64 3
		.amdhsa_dx10_clamp 1
		.amdhsa_ieee_mode 1
		.amdhsa_fp16_overflow 0
		.amdhsa_exception_fp_ieee_invalid_op 0
		.amdhsa_exception_fp_denorm_src 0
		.amdhsa_exception_fp_ieee_div_zero 0
		.amdhsa_exception_fp_ieee_overflow 0
		.amdhsa_exception_fp_ieee_underflow 0
		.amdhsa_exception_fp_ieee_inexact 0
		.amdhsa_exception_int_div_zero 0
	.end_amdhsa_kernel
	.section	.text._ZN9rocsparseL20bsrxmvn_17_32_kernelILj30EfiiDF16_DF16_fEEvT2_20rocsparse_direction_NS_24const_host_device_scalarIT0_EES1_PKS1_PKT1_SA_S7_PKT3_PKT4_S5_PT5_21rocsparse_index_base_b,"axG",@progbits,_ZN9rocsparseL20bsrxmvn_17_32_kernelILj30EfiiDF16_DF16_fEEvT2_20rocsparse_direction_NS_24const_host_device_scalarIT0_EES1_PKS1_PKT1_SA_S7_PKT3_PKT4_S5_PT5_21rocsparse_index_base_b,comdat
.Lfunc_end301:
	.size	_ZN9rocsparseL20bsrxmvn_17_32_kernelILj30EfiiDF16_DF16_fEEvT2_20rocsparse_direction_NS_24const_host_device_scalarIT0_EES1_PKS1_PKT1_SA_S7_PKT3_PKT4_S5_PT5_21rocsparse_index_base_b, .Lfunc_end301-_ZN9rocsparseL20bsrxmvn_17_32_kernelILj30EfiiDF16_DF16_fEEvT2_20rocsparse_direction_NS_24const_host_device_scalarIT0_EES1_PKS1_PKT1_SA_S7_PKT3_PKT4_S5_PT5_21rocsparse_index_base_b
                                        ; -- End function
	.set _ZN9rocsparseL20bsrxmvn_17_32_kernelILj30EfiiDF16_DF16_fEEvT2_20rocsparse_direction_NS_24const_host_device_scalarIT0_EES1_PKS1_PKT1_SA_S7_PKT3_PKT4_S5_PT5_21rocsparse_index_base_b.num_vgpr, 11
	.set _ZN9rocsparseL20bsrxmvn_17_32_kernelILj30EfiiDF16_DF16_fEEvT2_20rocsparse_direction_NS_24const_host_device_scalarIT0_EES1_PKS1_PKT1_SA_S7_PKT3_PKT4_S5_PT5_21rocsparse_index_base_b.num_agpr, 0
	.set _ZN9rocsparseL20bsrxmvn_17_32_kernelILj30EfiiDF16_DF16_fEEvT2_20rocsparse_direction_NS_24const_host_device_scalarIT0_EES1_PKS1_PKT1_SA_S7_PKT3_PKT4_S5_PT5_21rocsparse_index_base_b.numbered_sgpr, 22
	.set _ZN9rocsparseL20bsrxmvn_17_32_kernelILj30EfiiDF16_DF16_fEEvT2_20rocsparse_direction_NS_24const_host_device_scalarIT0_EES1_PKS1_PKT1_SA_S7_PKT3_PKT4_S5_PT5_21rocsparse_index_base_b.num_named_barrier, 0
	.set _ZN9rocsparseL20bsrxmvn_17_32_kernelILj30EfiiDF16_DF16_fEEvT2_20rocsparse_direction_NS_24const_host_device_scalarIT0_EES1_PKS1_PKT1_SA_S7_PKT3_PKT4_S5_PT5_21rocsparse_index_base_b.private_seg_size, 0
	.set _ZN9rocsparseL20bsrxmvn_17_32_kernelILj30EfiiDF16_DF16_fEEvT2_20rocsparse_direction_NS_24const_host_device_scalarIT0_EES1_PKS1_PKT1_SA_S7_PKT3_PKT4_S5_PT5_21rocsparse_index_base_b.uses_vcc, 1
	.set _ZN9rocsparseL20bsrxmvn_17_32_kernelILj30EfiiDF16_DF16_fEEvT2_20rocsparse_direction_NS_24const_host_device_scalarIT0_EES1_PKS1_PKT1_SA_S7_PKT3_PKT4_S5_PT5_21rocsparse_index_base_b.uses_flat_scratch, 0
	.set _ZN9rocsparseL20bsrxmvn_17_32_kernelILj30EfiiDF16_DF16_fEEvT2_20rocsparse_direction_NS_24const_host_device_scalarIT0_EES1_PKS1_PKT1_SA_S7_PKT3_PKT4_S5_PT5_21rocsparse_index_base_b.has_dyn_sized_stack, 0
	.set _ZN9rocsparseL20bsrxmvn_17_32_kernelILj30EfiiDF16_DF16_fEEvT2_20rocsparse_direction_NS_24const_host_device_scalarIT0_EES1_PKS1_PKT1_SA_S7_PKT3_PKT4_S5_PT5_21rocsparse_index_base_b.has_recursion, 0
	.set _ZN9rocsparseL20bsrxmvn_17_32_kernelILj30EfiiDF16_DF16_fEEvT2_20rocsparse_direction_NS_24const_host_device_scalarIT0_EES1_PKS1_PKT1_SA_S7_PKT3_PKT4_S5_PT5_21rocsparse_index_base_b.has_indirect_call, 0
	.section	.AMDGPU.csdata,"",@progbits
; Kernel info:
; codeLenInByte = 1244
; TotalNumSgprs: 26
; NumVgprs: 11
; ScratchSize: 0
; MemoryBound: 0
; FloatMode: 240
; IeeeMode: 1
; LDSByteSize: 3600 bytes/workgroup (compile time only)
; SGPRBlocks: 8
; VGPRBlocks: 7
; NumSGPRsForWavesPerEU: 65
; NumVGPRsForWavesPerEU: 29
; Occupancy: 8
; WaveLimiterHint : 1
; COMPUTE_PGM_RSRC2:SCRATCH_EN: 0
; COMPUTE_PGM_RSRC2:USER_SGPR: 6
; COMPUTE_PGM_RSRC2:TRAP_HANDLER: 0
; COMPUTE_PGM_RSRC2:TGID_X_EN: 1
; COMPUTE_PGM_RSRC2:TGID_Y_EN: 0
; COMPUTE_PGM_RSRC2:TGID_Z_EN: 0
; COMPUTE_PGM_RSRC2:TIDIG_COMP_CNT: 0
	.section	.text._ZN9rocsparseL20bsrxmvn_17_32_kernelILj31EfiiDF16_DF16_fEEvT2_20rocsparse_direction_NS_24const_host_device_scalarIT0_EES1_PKS1_PKT1_SA_S7_PKT3_PKT4_S5_PT5_21rocsparse_index_base_b,"axG",@progbits,_ZN9rocsparseL20bsrxmvn_17_32_kernelILj31EfiiDF16_DF16_fEEvT2_20rocsparse_direction_NS_24const_host_device_scalarIT0_EES1_PKS1_PKT1_SA_S7_PKT3_PKT4_S5_PT5_21rocsparse_index_base_b,comdat
	.globl	_ZN9rocsparseL20bsrxmvn_17_32_kernelILj31EfiiDF16_DF16_fEEvT2_20rocsparse_direction_NS_24const_host_device_scalarIT0_EES1_PKS1_PKT1_SA_S7_PKT3_PKT4_S5_PT5_21rocsparse_index_base_b ; -- Begin function _ZN9rocsparseL20bsrxmvn_17_32_kernelILj31EfiiDF16_DF16_fEEvT2_20rocsparse_direction_NS_24const_host_device_scalarIT0_EES1_PKS1_PKT1_SA_S7_PKT3_PKT4_S5_PT5_21rocsparse_index_base_b
	.p2align	8
	.type	_ZN9rocsparseL20bsrxmvn_17_32_kernelILj31EfiiDF16_DF16_fEEvT2_20rocsparse_direction_NS_24const_host_device_scalarIT0_EES1_PKS1_PKT1_SA_S7_PKT3_PKT4_S5_PT5_21rocsparse_index_base_b,@function
_ZN9rocsparseL20bsrxmvn_17_32_kernelILj31EfiiDF16_DF16_fEEvT2_20rocsparse_direction_NS_24const_host_device_scalarIT0_EES1_PKS1_PKT1_SA_S7_PKT3_PKT4_S5_PT5_21rocsparse_index_base_b: ; @_ZN9rocsparseL20bsrxmvn_17_32_kernelILj31EfiiDF16_DF16_fEEvT2_20rocsparse_direction_NS_24const_host_device_scalarIT0_EES1_PKS1_PKT1_SA_S7_PKT3_PKT4_S5_PT5_21rocsparse_index_base_b
; %bb.0:
	s_load_dwordx2 s[18:19], s[4:5], 0x58
	s_load_dwordx2 s[14:15], s[4:5], 0x8
	;; [unrolled: 1-line block ×3, first 2 shown]
	s_waitcnt lgkmcnt(0)
	s_bitcmp1_b32 s19, 0
	s_cselect_b64 s[2:3], -1, 0
	s_xor_b64 s[0:1], s[2:3], -1
	s_and_b64 vcc, exec, s[2:3]
	s_cbranch_vccnz .LBB302_2
; %bb.1:
	s_load_dword s14, s[14:15], 0x0
.LBB302_2:
	s_andn2_b64 vcc, exec, s[0:1]
	s_cbranch_vccnz .LBB302_4
; %bb.3:
	s_load_dword s12, s[12:13], 0x0
.LBB302_4:
	s_waitcnt lgkmcnt(0)
	v_cmp_neq_f32_e64 s[0:1], s14, 0
	v_cmp_neq_f32_e64 s[2:3], s12, 1.0
	s_or_b64 s[0:1], s[0:1], s[2:3]
	s_andn2_b64 vcc, exec, s[0:1]
	s_cbranch_vccnz .LBB302_40
; %bb.5:
	s_load_dwordx4 s[0:3], s[4:5], 0x18
	s_load_dwordx2 s[8:9], s[4:5], 0x28
	s_waitcnt lgkmcnt(0)
	s_cmp_eq_u64 s[0:1], 0
	s_cbranch_scc1 .LBB302_7
; %bb.6:
	s_ashr_i32 s7, s6, 31
	s_lshl_b64 s[6:7], s[6:7], 2
	s_add_u32 s0, s0, s6
	s_addc_u32 s1, s1, s7
	s_load_dword s0, s[0:1], 0x0
	s_waitcnt lgkmcnt(0)
	s_sub_i32 s6, s0, s18
.LBB302_7:
	s_load_dword s0, s[4:5], 0x4
	s_load_dwordx2 s[16:17], s[4:5], 0x50
	v_mul_u32_u24_e32 v1, 0x843, v0
	v_mov_b32_e32 v2, 31
	v_mul_lo_u16_sdwa v2, v1, v2 dst_sel:DWORD dst_unused:UNUSED_PAD src0_sel:WORD_1 src1_sel:DWORD
	s_waitcnt lgkmcnt(0)
	s_cmp_eq_u32 s0, 1
	s_cselect_b64 vcc, -1, 0
	s_cmp_lg_u32 s0, 1
	s_cselect_b64 s[20:21], -1, 0
	s_ashr_i32 s7, s6, 31
	s_lshl_b64 s[0:1], s[6:7], 2
	s_add_u32 s2, s2, s0
	s_addc_u32 s3, s3, s1
	s_load_dword s7, s[2:3], 0x0
	s_add_u32 s2, s2, 4
	s_addc_u32 s3, s3, 0
	s_add_u32 s0, s8, s0
	s_addc_u32 s1, s9, s1
	s_cmp_eq_u64 s[8:9], 0
	s_cselect_b32 s1, s3, s1
	s_cselect_b32 s0, s2, s0
	s_load_dword s0, s[0:1], 0x0
	v_sub_u16_e32 v7, v0, v2
	v_mov_b32_e32 v6, 0
	s_waitcnt lgkmcnt(0)
	s_cmp_ge_i32 s7, s0
	s_cbranch_scc1 .LBB302_12
; %bb.8:
	s_load_dwordx4 s[8:11], s[4:5], 0x30
	s_load_dwordx2 s[2:3], s[4:5], 0x40
	s_sub_i32 s4, s0, s18
	s_mov_b32 s0, 0xffff
	s_movk_i32 s1, 0x3c1
	v_and_b32_sdwa v1, s0, v1 dst_sel:DWORD dst_unused:UNUSED_PAD src0_sel:DWORD src1_sel:WORD_1
	v_subrev_u32_e32 v2, 31, v1
	v_cmp_gt_u32_e64 s[0:1], s1, v0
	s_sub_i32 s5, s7, s18
	v_cndmask_b32_e64 v1, v2, v1, s[0:1]
	s_mul_i32 s1, s5, 0x782
	s_mul_hi_i32 s0, s5, 0x782
	s_waitcnt lgkmcnt(0)
	s_add_u32 s1, s10, s1
	s_addc_u32 s0, s11, s0
	v_lshlrev_b32_e32 v2, 1, v0
	v_cndmask_b32_e32 v1, v7, v1, vcc
	v_mov_b32_e32 v3, s0
	v_add_co_u32_e32 v2, vcc, s1, v2
	v_addc_co_u32_e32 v3, vcc, 0, v3, vcc
	s_movk_i32 s0, 0x3c0
	v_cmp_lt_u32_e32 vcc, s0, v0
	v_mov_b32_e32 v6, 0
	v_cndmask_b32_e64 v8, 0, 1, vcc
	s_branch .LBB302_10
.LBB302_9:                              ;   in Loop: Header=BB302_10 Depth=1
	s_or_b64 exec, exec, s[0:1]
	s_add_i32 s5, s5, 1
	s_cmp_lt_i32 s5, s4
	s_cbranch_scc0 .LBB302_12
.LBB302_10:                             ; =>This Inner Loop Header: Depth=1
	v_add_u32_e32 v4, s5, v8
	v_cmp_gt_i32_e32 vcc, s4, v4
	s_and_saveexec_b64 s[0:1], vcc
	s_cbranch_execz .LBB302_9
; %bb.11:                               ;   in Loop: Header=BB302_10 Depth=1
	v_ashrrev_i32_e32 v5, 31, v4
	v_lshlrev_b64 v[4:5], 2, v[4:5]
	v_mov_b32_e32 v9, s9
	v_add_co_u32_e32 v4, vcc, s8, v4
	v_addc_co_u32_e32 v5, vcc, v9, v5, vcc
	global_load_dword v4, v[4:5], off
	v_mov_b32_e32 v10, s3
	global_load_ushort v9, v[2:3], off
	s_waitcnt vmcnt(1)
	v_subrev_u32_e32 v4, s18, v4
	v_mad_u64_u32 v[4:5], s[10:11], v4, 31, v[1:2]
	v_ashrrev_i32_e32 v5, 31, v4
	v_lshlrev_b64 v[4:5], 1, v[4:5]
	v_add_co_u32_e32 v4, vcc, s2, v4
	v_addc_co_u32_e32 v5, vcc, v10, v5, vcc
	global_load_ushort v4, v[4:5], off
	v_add_co_u32_e32 v2, vcc, 0x782, v2
	v_addc_co_u32_e32 v3, vcc, 0, v3, vcc
	s_waitcnt vmcnt(0)
	v_fma_mix_f32 v6, v9, v4, v6 op_sel_hi:[1,1,0]
	s_branch .LBB302_9
.LBB302_12:
	v_lshlrev_b32_e32 v1, 2, v0
	s_and_b64 vcc, exec, s[20:21]
	ds_write_b32 v1, v6
	s_waitcnt lgkmcnt(0)
	s_barrier
	s_cbranch_vccz .LBB302_24
; %bb.13:
	v_cmp_gt_u16_e32 vcc, 15, v7
	s_and_saveexec_b64 s[0:1], vcc
	s_cbranch_execz .LBB302_15
; %bb.14:
	ds_read2_b32 v[2:3], v1 offset1:16
	s_waitcnt lgkmcnt(0)
	v_add_f32_e32 v2, v3, v2
	ds_write_b32 v1, v2
.LBB302_15:
	s_or_b64 exec, exec, s[0:1]
	v_cmp_gt_u16_e32 vcc, 8, v7
	s_waitcnt lgkmcnt(0)
	s_barrier
	s_and_saveexec_b64 s[0:1], vcc
	s_cbranch_execz .LBB302_17
; %bb.16:
	ds_read2_b32 v[2:3], v1 offset1:8
	s_waitcnt lgkmcnt(0)
	v_add_f32_e32 v2, v3, v2
	ds_write_b32 v1, v2
.LBB302_17:
	s_or_b64 exec, exec, s[0:1]
	v_cmp_gt_u16_e32 vcc, 4, v7
	s_waitcnt lgkmcnt(0)
	s_barrier
	;; [unrolled: 12-line block ×3, first 2 shown]
	s_and_saveexec_b64 s[0:1], vcc
	s_cbranch_execz .LBB302_21
; %bb.20:
	ds_read2_b32 v[2:3], v1 offset1:2
	s_waitcnt lgkmcnt(0)
	v_add_f32_e32 v2, v3, v2
	ds_write_b32 v1, v2
.LBB302_21:
	s_or_b64 exec, exec, s[0:1]
	v_cmp_gt_u32_e32 vcc, 31, v0
	v_mov_b32_e32 v2, v6
	s_waitcnt lgkmcnt(0)
	s_barrier
	s_and_saveexec_b64 s[0:1], vcc
	s_cbranch_execz .LBB302_23
; %bb.22:
	s_movk_i32 s2, 0x78
	v_mad_u32_u24 v2, v0, s2, v1
	ds_read2_b32 v[2:3], v2 offset1:1
	s_waitcnt lgkmcnt(0)
	v_add_f32_e32 v2, v2, v3
.LBB302_23:
	s_or_b64 exec, exec, s[0:1]
	s_branch .LBB302_36
.LBB302_24:
                                        ; implicit-def: $vgpr2
	s_cbranch_execz .LBB302_36
; %bb.25:
	s_movk_i32 s0, 0x1d1
	v_cmp_gt_u32_e32 vcc, s0, v0
	s_and_saveexec_b64 s[0:1], vcc
	s_cbranch_execz .LBB302_27
; %bb.26:
	ds_read_b32 v2, v1 offset:1984
	ds_read_b32 v3, v1
	s_waitcnt lgkmcnt(0)
	v_add_f32_e32 v2, v2, v3
	ds_write_b32 v1, v2
.LBB302_27:
	s_or_b64 exec, exec, s[0:1]
	s_movk_i32 s0, 0xf8
	v_cmp_gt_u32_e32 vcc, s0, v0
	s_waitcnt lgkmcnt(0)
	s_barrier
	s_and_saveexec_b64 s[0:1], vcc
	s_cbranch_execz .LBB302_29
; %bb.28:
	ds_read2_b32 v[2:3], v1 offset1:248
	s_waitcnt lgkmcnt(0)
	v_add_f32_e32 v2, v3, v2
	ds_write_b32 v1, v2
.LBB302_29:
	s_or_b64 exec, exec, s[0:1]
	s_movk_i32 s0, 0x7c
	v_cmp_gt_u32_e32 vcc, s0, v0
	s_waitcnt lgkmcnt(0)
	s_barrier
	s_and_saveexec_b64 s[0:1], vcc
	s_cbranch_execz .LBB302_31
; %bb.30:
	ds_read2_b32 v[2:3], v1 offset1:124
	s_waitcnt lgkmcnt(0)
	v_add_f32_e32 v2, v3, v2
	ds_write_b32 v1, v2
.LBB302_31:
	s_or_b64 exec, exec, s[0:1]
	v_cmp_gt_u32_e32 vcc, 62, v0
	s_waitcnt lgkmcnt(0)
	s_barrier
	s_and_saveexec_b64 s[0:1], vcc
	s_cbranch_execz .LBB302_33
; %bb.32:
	ds_read2_b32 v[2:3], v1 offset1:62
	s_waitcnt lgkmcnt(0)
	v_add_f32_e32 v2, v3, v2
	ds_write_b32 v1, v2
.LBB302_33:
	s_or_b64 exec, exec, s[0:1]
	v_cmp_gt_u32_e32 vcc, 31, v0
	s_waitcnt lgkmcnt(0)
	s_and_saveexec_b64 s[0:1], vcc
	s_cbranch_execz .LBB302_35
; %bb.34:
	ds_read2_b32 v[1:2], v1 offset1:31
	s_waitcnt lgkmcnt(0)
	v_add_f32_e32 v6, v1, v2
.LBB302_35:
	s_or_b64 exec, exec, s[0:1]
	v_mov_b32_e32 v2, v6
.LBB302_36:
	v_cmp_gt_u32_e32 vcc, 31, v0
	s_and_saveexec_b64 s[0:1], vcc
	s_cbranch_execz .LBB302_40
; %bb.37:
	v_cmp_eq_f32_e64 s[0:1], s12, 0
	s_and_b64 vcc, exec, s[0:1]
	v_mul_f32_e32 v1, s14, v2
	s_cbranch_vccz .LBB302_41
; %bb.38:
	v_mad_u64_u32 v[2:3], s[0:1], s6, 31, v[0:1]
	v_mov_b32_e32 v3, 0
	v_mov_b32_e32 v4, s17
	v_lshlrev_b64 v[2:3], 2, v[2:3]
	v_add_co_u32_e32 v2, vcc, s16, v2
	v_addc_co_u32_e32 v3, vcc, v4, v3, vcc
	global_store_dword v[2:3], v1, off
	s_cbranch_execnz .LBB302_40
.LBB302_39:
	v_mad_u64_u32 v[2:3], s[0:1], s6, 31, v[0:1]
	v_mov_b32_e32 v3, 0
	v_mov_b32_e32 v0, s17
	v_lshlrev_b64 v[2:3], 2, v[2:3]
	v_add_co_u32_e32 v2, vcc, s16, v2
	v_addc_co_u32_e32 v3, vcc, v0, v3, vcc
	global_load_dword v0, v[2:3], off
	s_waitcnt vmcnt(0)
	v_fmac_f32_e32 v1, s12, v0
	global_store_dword v[2:3], v1, off
.LBB302_40:
	s_endpgm
.LBB302_41:
	s_branch .LBB302_39
	.section	.rodata,"a",@progbits
	.p2align	6, 0x0
	.amdhsa_kernel _ZN9rocsparseL20bsrxmvn_17_32_kernelILj31EfiiDF16_DF16_fEEvT2_20rocsparse_direction_NS_24const_host_device_scalarIT0_EES1_PKS1_PKT1_SA_S7_PKT3_PKT4_S5_PT5_21rocsparse_index_base_b
		.amdhsa_group_segment_fixed_size 3844
		.amdhsa_private_segment_fixed_size 0
		.amdhsa_kernarg_size 96
		.amdhsa_user_sgpr_count 6
		.amdhsa_user_sgpr_private_segment_buffer 1
		.amdhsa_user_sgpr_dispatch_ptr 0
		.amdhsa_user_sgpr_queue_ptr 0
		.amdhsa_user_sgpr_kernarg_segment_ptr 1
		.amdhsa_user_sgpr_dispatch_id 0
		.amdhsa_user_sgpr_flat_scratch_init 0
		.amdhsa_user_sgpr_private_segment_size 0
		.amdhsa_uses_dynamic_stack 0
		.amdhsa_system_sgpr_private_segment_wavefront_offset 0
		.amdhsa_system_sgpr_workgroup_id_x 1
		.amdhsa_system_sgpr_workgroup_id_y 0
		.amdhsa_system_sgpr_workgroup_id_z 0
		.amdhsa_system_sgpr_workgroup_info 0
		.amdhsa_system_vgpr_workitem_id 0
		.amdhsa_next_free_vgpr 29
		.amdhsa_next_free_sgpr 61
		.amdhsa_reserve_vcc 1
		.amdhsa_reserve_flat_scratch 0
		.amdhsa_float_round_mode_32 0
		.amdhsa_float_round_mode_16_64 0
		.amdhsa_float_denorm_mode_32 3
		.amdhsa_float_denorm_mode_16_64 3
		.amdhsa_dx10_clamp 1
		.amdhsa_ieee_mode 1
		.amdhsa_fp16_overflow 0
		.amdhsa_exception_fp_ieee_invalid_op 0
		.amdhsa_exception_fp_denorm_src 0
		.amdhsa_exception_fp_ieee_div_zero 0
		.amdhsa_exception_fp_ieee_overflow 0
		.amdhsa_exception_fp_ieee_underflow 0
		.amdhsa_exception_fp_ieee_inexact 0
		.amdhsa_exception_int_div_zero 0
	.end_amdhsa_kernel
	.section	.text._ZN9rocsparseL20bsrxmvn_17_32_kernelILj31EfiiDF16_DF16_fEEvT2_20rocsparse_direction_NS_24const_host_device_scalarIT0_EES1_PKS1_PKT1_SA_S7_PKT3_PKT4_S5_PT5_21rocsparse_index_base_b,"axG",@progbits,_ZN9rocsparseL20bsrxmvn_17_32_kernelILj31EfiiDF16_DF16_fEEvT2_20rocsparse_direction_NS_24const_host_device_scalarIT0_EES1_PKS1_PKT1_SA_S7_PKT3_PKT4_S5_PT5_21rocsparse_index_base_b,comdat
.Lfunc_end302:
	.size	_ZN9rocsparseL20bsrxmvn_17_32_kernelILj31EfiiDF16_DF16_fEEvT2_20rocsparse_direction_NS_24const_host_device_scalarIT0_EES1_PKS1_PKT1_SA_S7_PKT3_PKT4_S5_PT5_21rocsparse_index_base_b, .Lfunc_end302-_ZN9rocsparseL20bsrxmvn_17_32_kernelILj31EfiiDF16_DF16_fEEvT2_20rocsparse_direction_NS_24const_host_device_scalarIT0_EES1_PKS1_PKT1_SA_S7_PKT3_PKT4_S5_PT5_21rocsparse_index_base_b
                                        ; -- End function
	.set _ZN9rocsparseL20bsrxmvn_17_32_kernelILj31EfiiDF16_DF16_fEEvT2_20rocsparse_direction_NS_24const_host_device_scalarIT0_EES1_PKS1_PKT1_SA_S7_PKT3_PKT4_S5_PT5_21rocsparse_index_base_b.num_vgpr, 11
	.set _ZN9rocsparseL20bsrxmvn_17_32_kernelILj31EfiiDF16_DF16_fEEvT2_20rocsparse_direction_NS_24const_host_device_scalarIT0_EES1_PKS1_PKT1_SA_S7_PKT3_PKT4_S5_PT5_21rocsparse_index_base_b.num_agpr, 0
	.set _ZN9rocsparseL20bsrxmvn_17_32_kernelILj31EfiiDF16_DF16_fEEvT2_20rocsparse_direction_NS_24const_host_device_scalarIT0_EES1_PKS1_PKT1_SA_S7_PKT3_PKT4_S5_PT5_21rocsparse_index_base_b.numbered_sgpr, 22
	.set _ZN9rocsparseL20bsrxmvn_17_32_kernelILj31EfiiDF16_DF16_fEEvT2_20rocsparse_direction_NS_24const_host_device_scalarIT0_EES1_PKS1_PKT1_SA_S7_PKT3_PKT4_S5_PT5_21rocsparse_index_base_b.num_named_barrier, 0
	.set _ZN9rocsparseL20bsrxmvn_17_32_kernelILj31EfiiDF16_DF16_fEEvT2_20rocsparse_direction_NS_24const_host_device_scalarIT0_EES1_PKS1_PKT1_SA_S7_PKT3_PKT4_S5_PT5_21rocsparse_index_base_b.private_seg_size, 0
	.set _ZN9rocsparseL20bsrxmvn_17_32_kernelILj31EfiiDF16_DF16_fEEvT2_20rocsparse_direction_NS_24const_host_device_scalarIT0_EES1_PKS1_PKT1_SA_S7_PKT3_PKT4_S5_PT5_21rocsparse_index_base_b.uses_vcc, 1
	.set _ZN9rocsparseL20bsrxmvn_17_32_kernelILj31EfiiDF16_DF16_fEEvT2_20rocsparse_direction_NS_24const_host_device_scalarIT0_EES1_PKS1_PKT1_SA_S7_PKT3_PKT4_S5_PT5_21rocsparse_index_base_b.uses_flat_scratch, 0
	.set _ZN9rocsparseL20bsrxmvn_17_32_kernelILj31EfiiDF16_DF16_fEEvT2_20rocsparse_direction_NS_24const_host_device_scalarIT0_EES1_PKS1_PKT1_SA_S7_PKT3_PKT4_S5_PT5_21rocsparse_index_base_b.has_dyn_sized_stack, 0
	.set _ZN9rocsparseL20bsrxmvn_17_32_kernelILj31EfiiDF16_DF16_fEEvT2_20rocsparse_direction_NS_24const_host_device_scalarIT0_EES1_PKS1_PKT1_SA_S7_PKT3_PKT4_S5_PT5_21rocsparse_index_base_b.has_recursion, 0
	.set _ZN9rocsparseL20bsrxmvn_17_32_kernelILj31EfiiDF16_DF16_fEEvT2_20rocsparse_direction_NS_24const_host_device_scalarIT0_EES1_PKS1_PKT1_SA_S7_PKT3_PKT4_S5_PT5_21rocsparse_index_base_b.has_indirect_call, 0
	.section	.AMDGPU.csdata,"",@progbits
; Kernel info:
; codeLenInByte = 1244
; TotalNumSgprs: 26
; NumVgprs: 11
; ScratchSize: 0
; MemoryBound: 0
; FloatMode: 240
; IeeeMode: 1
; LDSByteSize: 3844 bytes/workgroup (compile time only)
; SGPRBlocks: 8
; VGPRBlocks: 7
; NumSGPRsForWavesPerEU: 65
; NumVGPRsForWavesPerEU: 29
; Occupancy: 8
; WaveLimiterHint : 1
; COMPUTE_PGM_RSRC2:SCRATCH_EN: 0
; COMPUTE_PGM_RSRC2:USER_SGPR: 6
; COMPUTE_PGM_RSRC2:TRAP_HANDLER: 0
; COMPUTE_PGM_RSRC2:TGID_X_EN: 1
; COMPUTE_PGM_RSRC2:TGID_Y_EN: 0
; COMPUTE_PGM_RSRC2:TGID_Z_EN: 0
; COMPUTE_PGM_RSRC2:TIDIG_COMP_CNT: 0
	.section	.text._ZN9rocsparseL20bsrxmvn_17_32_kernelILj32EfiiDF16_DF16_fEEvT2_20rocsparse_direction_NS_24const_host_device_scalarIT0_EES1_PKS1_PKT1_SA_S7_PKT3_PKT4_S5_PT5_21rocsparse_index_base_b,"axG",@progbits,_ZN9rocsparseL20bsrxmvn_17_32_kernelILj32EfiiDF16_DF16_fEEvT2_20rocsparse_direction_NS_24const_host_device_scalarIT0_EES1_PKS1_PKT1_SA_S7_PKT3_PKT4_S5_PT5_21rocsparse_index_base_b,comdat
	.globl	_ZN9rocsparseL20bsrxmvn_17_32_kernelILj32EfiiDF16_DF16_fEEvT2_20rocsparse_direction_NS_24const_host_device_scalarIT0_EES1_PKS1_PKT1_SA_S7_PKT3_PKT4_S5_PT5_21rocsparse_index_base_b ; -- Begin function _ZN9rocsparseL20bsrxmvn_17_32_kernelILj32EfiiDF16_DF16_fEEvT2_20rocsparse_direction_NS_24const_host_device_scalarIT0_EES1_PKS1_PKT1_SA_S7_PKT3_PKT4_S5_PT5_21rocsparse_index_base_b
	.p2align	8
	.type	_ZN9rocsparseL20bsrxmvn_17_32_kernelILj32EfiiDF16_DF16_fEEvT2_20rocsparse_direction_NS_24const_host_device_scalarIT0_EES1_PKS1_PKT1_SA_S7_PKT3_PKT4_S5_PT5_21rocsparse_index_base_b,@function
_ZN9rocsparseL20bsrxmvn_17_32_kernelILj32EfiiDF16_DF16_fEEvT2_20rocsparse_direction_NS_24const_host_device_scalarIT0_EES1_PKS1_PKT1_SA_S7_PKT3_PKT4_S5_PT5_21rocsparse_index_base_b: ; @_ZN9rocsparseL20bsrxmvn_17_32_kernelILj32EfiiDF16_DF16_fEEvT2_20rocsparse_direction_NS_24const_host_device_scalarIT0_EES1_PKS1_PKT1_SA_S7_PKT3_PKT4_S5_PT5_21rocsparse_index_base_b
; %bb.0:
	s_load_dwordx2 s[12:13], s[4:5], 0x58
	s_load_dwordx2 s[10:11], s[4:5], 0x8
	;; [unrolled: 1-line block ×3, first 2 shown]
	s_waitcnt lgkmcnt(0)
	s_bitcmp1_b32 s13, 0
	s_cselect_b64 s[2:3], -1, 0
	s_xor_b64 s[0:1], s[2:3], -1
	s_and_b64 vcc, exec, s[2:3]
	s_cbranch_vccnz .LBB303_2
; %bb.1:
	s_load_dword s10, s[10:11], 0x0
.LBB303_2:
	s_andn2_b64 vcc, exec, s[0:1]
	s_cbranch_vccnz .LBB303_4
; %bb.3:
	s_load_dword s8, s[8:9], 0x0
.LBB303_4:
	s_waitcnt lgkmcnt(0)
	v_cmp_neq_f32_e64 s[0:1], s10, 0
	v_cmp_neq_f32_e64 s[2:3], s8, 1.0
	s_or_b64 s[0:1], s[0:1], s[2:3]
	s_andn2_b64 vcc, exec, s[0:1]
	s_cbranch_vccnz .LBB303_38
; %bb.5:
	s_load_dwordx4 s[0:3], s[4:5], 0x18
	s_load_dwordx2 s[16:17], s[4:5], 0x28
	s_waitcnt lgkmcnt(0)
	s_cmp_eq_u64 s[0:1], 0
	s_cbranch_scc1 .LBB303_7
; %bb.6:
	s_ashr_i32 s7, s6, 31
	s_lshl_b64 s[6:7], s[6:7], 2
	s_add_u32 s0, s0, s6
	s_addc_u32 s1, s1, s7
	s_load_dword s0, s[0:1], 0x0
	s_waitcnt lgkmcnt(0)
	s_sub_i32 s6, s0, s12
.LBB303_7:
	s_load_dword s0, s[4:5], 0x4
	v_and_b32_e32 v4, 31, v0
	v_mov_b32_e32 v3, 0
	s_waitcnt lgkmcnt(0)
	s_cmp_eq_u32 s0, 1
	s_cselect_b64 vcc, -1, 0
	s_cmp_lg_u32 s0, 1
	s_cselect_b64 s[14:15], -1, 0
	s_ashr_i32 s7, s6, 31
	s_lshl_b64 s[0:1], s[6:7], 2
	s_add_u32 s2, s2, s0
	s_addc_u32 s3, s3, s1
	s_load_dword s9, s[2:3], 0x0
	s_add_u32 s2, s2, 4
	s_addc_u32 s3, s3, 0
	s_add_u32 s0, s16, s0
	s_addc_u32 s1, s17, s1
	s_cmp_eq_u64 s[16:17], 0
	s_cselect_b32 s3, s3, s1
	s_cselect_b32 s2, s2, s0
	s_load_dword s7, s[2:3], 0x0
	s_load_dwordx2 s[0:1], s[4:5], 0x50
	s_waitcnt lgkmcnt(0)
	s_cmp_ge_i32 s9, s7
	s_cbranch_scc1 .LBB303_10
; %bb.8:
	s_load_dwordx4 s[16:19], s[4:5], 0x30
	s_load_dwordx2 s[2:3], s[4:5], 0x40
	s_sub_i32 s4, s9, s12
	s_ashr_i32 s5, s4, 31
	s_sub_i32 s7, s7, s12
	s_lshl_b64 s[20:21], s[4:5], 11
	v_lshrrev_b32_e32 v1, 5, v0
	s_waitcnt lgkmcnt(0)
	s_add_u32 s9, s18, s20
	v_cndmask_b32_e32 v5, v4, v1, vcc
	s_addc_u32 s11, s19, s21
	v_lshlrev_b32_e32 v1, 1, v0
	s_lshl_b64 s[18:19], s[4:5], 2
	v_mov_b32_e32 v2, s11
	v_add_co_u32_e32 v1, vcc, s9, v1
	s_add_u32 s16, s16, s18
	v_mov_b32_e32 v3, 0
	v_addc_co_u32_e32 v2, vcc, 0, v2, vcc
	s_addc_u32 s17, s17, s19
	v_mov_b32_e32 v6, s3
.LBB303_9:                              ; =>This Inner Loop Header: Depth=1
	s_load_dword s3, s[16:17], 0x0
	global_load_ushort v9, v[1:2], off
	s_add_i32 s4, s4, 1
	s_waitcnt lgkmcnt(0)
	s_sub_i32 s3, s3, s12
	v_lshl_or_b32 v7, s3, 5, v5
	v_ashrrev_i32_e32 v8, 31, v7
	v_lshlrev_b64 v[7:8], 1, v[7:8]
	s_add_u32 s16, s16, 4
	v_add_co_u32_e32 v7, vcc, s2, v7
	v_addc_co_u32_e32 v8, vcc, v6, v8, vcc
	global_load_ushort v7, v[7:8], off
	v_add_co_u32_e32 v1, vcc, 0x800, v1
	s_addc_u32 s17, s17, 0
	v_addc_co_u32_e32 v2, vcc, 0, v2, vcc
	s_cmp_lt_i32 s4, s7
	s_waitcnt vmcnt(0)
	v_fma_mix_f32 v3, v9, v7, v3 op_sel_hi:[1,1,0]
	s_cbranch_scc1 .LBB303_9
.LBB303_10:
	v_lshlrev_b32_e32 v1, 2, v0
	s_and_b64 vcc, exec, s[14:15]
	ds_write_b32 v1, v3
	s_waitcnt lgkmcnt(0)
	s_barrier
	s_cbranch_vccz .LBB303_22
; %bb.11:
	v_cmp_gt_u32_e32 vcc, 16, v4
	s_and_saveexec_b64 s[2:3], vcc
	s_cbranch_execz .LBB303_13
; %bb.12:
	ds_read2_b32 v[5:6], v1 offset1:16
	s_waitcnt lgkmcnt(0)
	v_add_f32_e32 v2, v6, v5
	ds_write_b32 v1, v2
.LBB303_13:
	s_or_b64 exec, exec, s[2:3]
	v_cmp_gt_u32_e32 vcc, 8, v4
	s_waitcnt lgkmcnt(0)
	s_barrier
	s_and_saveexec_b64 s[2:3], vcc
	s_cbranch_execz .LBB303_15
; %bb.14:
	ds_read2_b32 v[5:6], v1 offset1:8
	s_waitcnt lgkmcnt(0)
	v_add_f32_e32 v2, v6, v5
	ds_write_b32 v1, v2
.LBB303_15:
	s_or_b64 exec, exec, s[2:3]
	v_cmp_gt_u32_e32 vcc, 4, v4
	s_waitcnt lgkmcnt(0)
	s_barrier
	;; [unrolled: 12-line block ×3, first 2 shown]
	s_and_saveexec_b64 s[2:3], vcc
	s_cbranch_execz .LBB303_19
; %bb.18:
	ds_read2_b32 v[4:5], v1 offset1:2
	s_waitcnt lgkmcnt(0)
	v_add_f32_e32 v2, v5, v4
	ds_write_b32 v1, v2
.LBB303_19:
	s_or_b64 exec, exec, s[2:3]
	v_cmp_gt_u32_e32 vcc, 32, v0
	v_mov_b32_e32 v2, v3
	s_waitcnt lgkmcnt(0)
	s_barrier
	s_and_saveexec_b64 s[2:3], vcc
	s_cbranch_execz .LBB303_21
; %bb.20:
	s_movk_i32 s4, 0x7c
	v_mad_u32_u24 v2, v0, s4, v1
	ds_read_b64 v[4:5], v2
	s_waitcnt lgkmcnt(0)
	v_add_f32_e32 v2, v4, v5
.LBB303_21:
	s_or_b64 exec, exec, s[2:3]
	s_branch .LBB303_34
.LBB303_22:
                                        ; implicit-def: $vgpr2
	s_cbranch_execz .LBB303_34
; %bb.23:
	s_movk_i32 s2, 0x200
	v_cmp_gt_u32_e32 vcc, s2, v0
	s_and_saveexec_b64 s[2:3], vcc
	s_cbranch_execz .LBB303_25
; %bb.24:
	ds_read2st64_b32 v[4:5], v1 offset1:8
	s_waitcnt lgkmcnt(0)
	v_add_f32_e32 v2, v5, v4
	ds_write_b32 v1, v2
.LBB303_25:
	s_or_b64 exec, exec, s[2:3]
	s_movk_i32 s2, 0x100
	v_cmp_gt_u32_e32 vcc, s2, v0
	s_waitcnt lgkmcnt(0)
	s_barrier
	s_and_saveexec_b64 s[2:3], vcc
	s_cbranch_execz .LBB303_27
; %bb.26:
	ds_read2st64_b32 v[4:5], v1 offset1:4
	s_waitcnt lgkmcnt(0)
	v_add_f32_e32 v2, v5, v4
	ds_write_b32 v1, v2
.LBB303_27:
	s_or_b64 exec, exec, s[2:3]
	s_movk_i32 s2, 0x80
	v_cmp_gt_u32_e32 vcc, s2, v0
	s_waitcnt lgkmcnt(0)
	s_barrier
	s_and_saveexec_b64 s[2:3], vcc
	s_cbranch_execz .LBB303_29
; %bb.28:
	ds_read2st64_b32 v[4:5], v1 offset1:2
	s_waitcnt lgkmcnt(0)
	v_add_f32_e32 v2, v5, v4
	ds_write_b32 v1, v2
.LBB303_29:
	s_or_b64 exec, exec, s[2:3]
	v_cmp_gt_u32_e32 vcc, 64, v0
	s_waitcnt lgkmcnt(0)
	s_barrier
	s_and_saveexec_b64 s[2:3], vcc
	s_cbranch_execz .LBB303_31
; %bb.30:
	ds_read2st64_b32 v[4:5], v1 offset1:1
	s_waitcnt lgkmcnt(0)
	v_add_f32_e32 v2, v5, v4
	ds_write_b32 v1, v2
.LBB303_31:
	s_or_b64 exec, exec, s[2:3]
	v_cmp_gt_u32_e32 vcc, 32, v0
	s_waitcnt lgkmcnt(0)
	s_and_saveexec_b64 s[2:3], vcc
	s_cbranch_execz .LBB303_33
; %bb.32:
	ds_read2_b32 v[1:2], v1 offset1:32
	s_waitcnt lgkmcnt(0)
	v_add_f32_e32 v3, v1, v2
.LBB303_33:
	s_or_b64 exec, exec, s[2:3]
	v_mov_b32_e32 v2, v3
.LBB303_34:
	v_cmp_gt_u32_e32 vcc, 32, v0
	s_and_saveexec_b64 s[2:3], vcc
	s_cbranch_execz .LBB303_38
; %bb.35:
	v_cmp_eq_f32_e64 s[2:3], s8, 0
	s_and_b64 vcc, exec, s[2:3]
	v_mul_f32_e32 v2, s10, v2
	v_lshl_or_b32 v0, s6, 5, v0
	s_cbranch_vccz .LBB303_39
; %bb.36:
	v_mov_b32_e32 v1, 0
	v_lshlrev_b64 v[3:4], 2, v[0:1]
	v_mov_b32_e32 v1, s1
	v_add_co_u32_e32 v3, vcc, s0, v3
	v_addc_co_u32_e32 v4, vcc, v1, v4, vcc
	global_store_dword v[3:4], v2, off
	s_cbranch_execnz .LBB303_38
.LBB303_37:
	v_mov_b32_e32 v1, 0
	v_lshlrev_b64 v[0:1], 2, v[0:1]
	v_mov_b32_e32 v3, s1
	v_add_co_u32_e32 v0, vcc, s0, v0
	v_addc_co_u32_e32 v1, vcc, v3, v1, vcc
	global_load_dword v3, v[0:1], off
	s_waitcnt vmcnt(0)
	v_fmac_f32_e32 v2, s8, v3
	global_store_dword v[0:1], v2, off
.LBB303_38:
	s_endpgm
.LBB303_39:
	s_branch .LBB303_37
	.section	.rodata,"a",@progbits
	.p2align	6, 0x0
	.amdhsa_kernel _ZN9rocsparseL20bsrxmvn_17_32_kernelILj32EfiiDF16_DF16_fEEvT2_20rocsparse_direction_NS_24const_host_device_scalarIT0_EES1_PKS1_PKT1_SA_S7_PKT3_PKT4_S5_PT5_21rocsparse_index_base_b
		.amdhsa_group_segment_fixed_size 4096
		.amdhsa_private_segment_fixed_size 0
		.amdhsa_kernarg_size 96
		.amdhsa_user_sgpr_count 6
		.amdhsa_user_sgpr_private_segment_buffer 1
		.amdhsa_user_sgpr_dispatch_ptr 0
		.amdhsa_user_sgpr_queue_ptr 0
		.amdhsa_user_sgpr_kernarg_segment_ptr 1
		.amdhsa_user_sgpr_dispatch_id 0
		.amdhsa_user_sgpr_flat_scratch_init 0
		.amdhsa_user_sgpr_private_segment_size 0
		.amdhsa_uses_dynamic_stack 0
		.amdhsa_system_sgpr_private_segment_wavefront_offset 0
		.amdhsa_system_sgpr_workgroup_id_x 1
		.amdhsa_system_sgpr_workgroup_id_y 0
		.amdhsa_system_sgpr_workgroup_id_z 0
		.amdhsa_system_sgpr_workgroup_info 0
		.amdhsa_system_vgpr_workitem_id 0
		.amdhsa_next_free_vgpr 29
		.amdhsa_next_free_sgpr 61
		.amdhsa_reserve_vcc 1
		.amdhsa_reserve_flat_scratch 0
		.amdhsa_float_round_mode_32 0
		.amdhsa_float_round_mode_16_64 0
		.amdhsa_float_denorm_mode_32 3
		.amdhsa_float_denorm_mode_16_64 3
		.amdhsa_dx10_clamp 1
		.amdhsa_ieee_mode 1
		.amdhsa_fp16_overflow 0
		.amdhsa_exception_fp_ieee_invalid_op 0
		.amdhsa_exception_fp_denorm_src 0
		.amdhsa_exception_fp_ieee_div_zero 0
		.amdhsa_exception_fp_ieee_overflow 0
		.amdhsa_exception_fp_ieee_underflow 0
		.amdhsa_exception_fp_ieee_inexact 0
		.amdhsa_exception_int_div_zero 0
	.end_amdhsa_kernel
	.section	.text._ZN9rocsparseL20bsrxmvn_17_32_kernelILj32EfiiDF16_DF16_fEEvT2_20rocsparse_direction_NS_24const_host_device_scalarIT0_EES1_PKS1_PKT1_SA_S7_PKT3_PKT4_S5_PT5_21rocsparse_index_base_b,"axG",@progbits,_ZN9rocsparseL20bsrxmvn_17_32_kernelILj32EfiiDF16_DF16_fEEvT2_20rocsparse_direction_NS_24const_host_device_scalarIT0_EES1_PKS1_PKT1_SA_S7_PKT3_PKT4_S5_PT5_21rocsparse_index_base_b,comdat
.Lfunc_end303:
	.size	_ZN9rocsparseL20bsrxmvn_17_32_kernelILj32EfiiDF16_DF16_fEEvT2_20rocsparse_direction_NS_24const_host_device_scalarIT0_EES1_PKS1_PKT1_SA_S7_PKT3_PKT4_S5_PT5_21rocsparse_index_base_b, .Lfunc_end303-_ZN9rocsparseL20bsrxmvn_17_32_kernelILj32EfiiDF16_DF16_fEEvT2_20rocsparse_direction_NS_24const_host_device_scalarIT0_EES1_PKS1_PKT1_SA_S7_PKT3_PKT4_S5_PT5_21rocsparse_index_base_b
                                        ; -- End function
	.set _ZN9rocsparseL20bsrxmvn_17_32_kernelILj32EfiiDF16_DF16_fEEvT2_20rocsparse_direction_NS_24const_host_device_scalarIT0_EES1_PKS1_PKT1_SA_S7_PKT3_PKT4_S5_PT5_21rocsparse_index_base_b.num_vgpr, 10
	.set _ZN9rocsparseL20bsrxmvn_17_32_kernelILj32EfiiDF16_DF16_fEEvT2_20rocsparse_direction_NS_24const_host_device_scalarIT0_EES1_PKS1_PKT1_SA_S7_PKT3_PKT4_S5_PT5_21rocsparse_index_base_b.num_agpr, 0
	.set _ZN9rocsparseL20bsrxmvn_17_32_kernelILj32EfiiDF16_DF16_fEEvT2_20rocsparse_direction_NS_24const_host_device_scalarIT0_EES1_PKS1_PKT1_SA_S7_PKT3_PKT4_S5_PT5_21rocsparse_index_base_b.numbered_sgpr, 22
	.set _ZN9rocsparseL20bsrxmvn_17_32_kernelILj32EfiiDF16_DF16_fEEvT2_20rocsparse_direction_NS_24const_host_device_scalarIT0_EES1_PKS1_PKT1_SA_S7_PKT3_PKT4_S5_PT5_21rocsparse_index_base_b.num_named_barrier, 0
	.set _ZN9rocsparseL20bsrxmvn_17_32_kernelILj32EfiiDF16_DF16_fEEvT2_20rocsparse_direction_NS_24const_host_device_scalarIT0_EES1_PKS1_PKT1_SA_S7_PKT3_PKT4_S5_PT5_21rocsparse_index_base_b.private_seg_size, 0
	.set _ZN9rocsparseL20bsrxmvn_17_32_kernelILj32EfiiDF16_DF16_fEEvT2_20rocsparse_direction_NS_24const_host_device_scalarIT0_EES1_PKS1_PKT1_SA_S7_PKT3_PKT4_S5_PT5_21rocsparse_index_base_b.uses_vcc, 1
	.set _ZN9rocsparseL20bsrxmvn_17_32_kernelILj32EfiiDF16_DF16_fEEvT2_20rocsparse_direction_NS_24const_host_device_scalarIT0_EES1_PKS1_PKT1_SA_S7_PKT3_PKT4_S5_PT5_21rocsparse_index_base_b.uses_flat_scratch, 0
	.set _ZN9rocsparseL20bsrxmvn_17_32_kernelILj32EfiiDF16_DF16_fEEvT2_20rocsparse_direction_NS_24const_host_device_scalarIT0_EES1_PKS1_PKT1_SA_S7_PKT3_PKT4_S5_PT5_21rocsparse_index_base_b.has_dyn_sized_stack, 0
	.set _ZN9rocsparseL20bsrxmvn_17_32_kernelILj32EfiiDF16_DF16_fEEvT2_20rocsparse_direction_NS_24const_host_device_scalarIT0_EES1_PKS1_PKT1_SA_S7_PKT3_PKT4_S5_PT5_21rocsparse_index_base_b.has_recursion, 0
	.set _ZN9rocsparseL20bsrxmvn_17_32_kernelILj32EfiiDF16_DF16_fEEvT2_20rocsparse_direction_NS_24const_host_device_scalarIT0_EES1_PKS1_PKT1_SA_S7_PKT3_PKT4_S5_PT5_21rocsparse_index_base_b.has_indirect_call, 0
	.section	.AMDGPU.csdata,"",@progbits
; Kernel info:
; codeLenInByte = 1116
; TotalNumSgprs: 26
; NumVgprs: 10
; ScratchSize: 0
; MemoryBound: 0
; FloatMode: 240
; IeeeMode: 1
; LDSByteSize: 4096 bytes/workgroup (compile time only)
; SGPRBlocks: 8
; VGPRBlocks: 7
; NumSGPRsForWavesPerEU: 65
; NumVGPRsForWavesPerEU: 29
; Occupancy: 8
; WaveLimiterHint : 1
; COMPUTE_PGM_RSRC2:SCRATCH_EN: 0
; COMPUTE_PGM_RSRC2:USER_SGPR: 6
; COMPUTE_PGM_RSRC2:TRAP_HANDLER: 0
; COMPUTE_PGM_RSRC2:TGID_X_EN: 1
; COMPUTE_PGM_RSRC2:TGID_Y_EN: 0
; COMPUTE_PGM_RSRC2:TGID_Z_EN: 0
; COMPUTE_PGM_RSRC2:TIDIG_COMP_CNT: 0
	.section	.text._ZN9rocsparseL20bsrxmvn_17_32_kernelILj17EfliDF16_DF16_fEEvT2_20rocsparse_direction_NS_24const_host_device_scalarIT0_EES1_PKS1_PKT1_SA_S7_PKT3_PKT4_S5_PT5_21rocsparse_index_base_b,"axG",@progbits,_ZN9rocsparseL20bsrxmvn_17_32_kernelILj17EfliDF16_DF16_fEEvT2_20rocsparse_direction_NS_24const_host_device_scalarIT0_EES1_PKS1_PKT1_SA_S7_PKT3_PKT4_S5_PT5_21rocsparse_index_base_b,comdat
	.globl	_ZN9rocsparseL20bsrxmvn_17_32_kernelILj17EfliDF16_DF16_fEEvT2_20rocsparse_direction_NS_24const_host_device_scalarIT0_EES1_PKS1_PKT1_SA_S7_PKT3_PKT4_S5_PT5_21rocsparse_index_base_b ; -- Begin function _ZN9rocsparseL20bsrxmvn_17_32_kernelILj17EfliDF16_DF16_fEEvT2_20rocsparse_direction_NS_24const_host_device_scalarIT0_EES1_PKS1_PKT1_SA_S7_PKT3_PKT4_S5_PT5_21rocsparse_index_base_b
	.p2align	8
	.type	_ZN9rocsparseL20bsrxmvn_17_32_kernelILj17EfliDF16_DF16_fEEvT2_20rocsparse_direction_NS_24const_host_device_scalarIT0_EES1_PKS1_PKT1_SA_S7_PKT3_PKT4_S5_PT5_21rocsparse_index_base_b,@function
_ZN9rocsparseL20bsrxmvn_17_32_kernelILj17EfliDF16_DF16_fEEvT2_20rocsparse_direction_NS_24const_host_device_scalarIT0_EES1_PKS1_PKT1_SA_S7_PKT3_PKT4_S5_PT5_21rocsparse_index_base_b: ; @_ZN9rocsparseL20bsrxmvn_17_32_kernelILj17EfliDF16_DF16_fEEvT2_20rocsparse_direction_NS_24const_host_device_scalarIT0_EES1_PKS1_PKT1_SA_S7_PKT3_PKT4_S5_PT5_21rocsparse_index_base_b
; %bb.0:
	s_load_dwordx2 s[18:19], s[4:5], 0x58
	s_load_dwordx2 s[14:15], s[4:5], 0x8
	;; [unrolled: 1-line block ×3, first 2 shown]
	s_waitcnt lgkmcnt(0)
	s_bitcmp1_b32 s19, 0
	s_cselect_b64 s[2:3], -1, 0
	s_xor_b64 s[0:1], s[2:3], -1
	s_and_b64 vcc, exec, s[2:3]
	s_cbranch_vccnz .LBB304_2
; %bb.1:
	s_load_dword s14, s[14:15], 0x0
.LBB304_2:
	s_andn2_b64 vcc, exec, s[0:1]
	s_cbranch_vccnz .LBB304_4
; %bb.3:
	s_load_dword s12, s[12:13], 0x0
.LBB304_4:
	s_waitcnt lgkmcnt(0)
	v_cmp_neq_f32_e64 s[0:1], s14, 0
	v_cmp_neq_f32_e64 s[2:3], s12, 1.0
	s_or_b64 s[0:1], s[0:1], s[2:3]
	s_andn2_b64 vcc, exec, s[0:1]
	s_cbranch_vccnz .LBB304_40
; %bb.5:
	s_load_dwordx4 s[0:3], s[4:5], 0x18
	s_load_dwordx2 s[8:9], s[4:5], 0x28
	s_waitcnt lgkmcnt(0)
	s_cmp_eq_u64 s[0:1], 0
	s_cbranch_scc1 .LBB304_7
; %bb.6:
	s_ashr_i32 s7, s6, 31
	s_lshl_b64 s[6:7], s[6:7], 2
	s_add_u32 s0, s0, s6
	s_addc_u32 s1, s1, s7
	s_load_dword s0, s[0:1], 0x0
	s_waitcnt lgkmcnt(0)
	s_sub_i32 s6, s0, s18
.LBB304_7:
	s_load_dword s7, s[4:5], 0x4
	s_load_dwordx2 s[16:17], s[4:5], 0x50
	v_mul_u32_u24_e32 v1, 0xf10, v0
	v_mov_b32_e32 v2, 17
	v_mul_lo_u16_sdwa v2, v1, v2 dst_sel:DWORD dst_unused:UNUSED_PAD src0_sel:WORD_1 src1_sel:DWORD
	s_waitcnt lgkmcnt(0)
	s_cmp_eq_u32 s7, 1
	s_cselect_b64 s[0:1], -1, 0
	s_cmp_lg_u32 s7, 1
	s_cselect_b64 s[20:21], -1, 0
	s_ashr_i32 s7, s6, 31
	s_lshl_b64 s[10:11], s[6:7], 3
	s_add_u32 s2, s2, s10
	s_addc_u32 s3, s3, s11
	s_add_u32 s7, s2, 8
	s_addc_u32 s13, s3, 0
	;; [unrolled: 2-line block ×3, first 2 shown]
	s_cmp_eq_u64 s[8:9], 0
	s_cselect_b32 s9, s13, s11
	s_cselect_b32 s8, s7, s10
	s_load_dwordx2 s[22:23], s[8:9], 0x0
	s_load_dwordx2 s[24:25], s[2:3], 0x0
	v_sub_u16_e32 v7, v0, v2
	v_mov_b32_e32 v6, 0
	s_waitcnt lgkmcnt(0)
	v_mov_b32_e32 v2, s22
	v_mov_b32_e32 v3, s23
	v_cmp_ge_i64_e32 vcc, s[24:25], v[2:3]
	s_cbranch_vccnz .LBB304_12
; %bb.8:
	v_mov_b32_e32 v2, 31
	v_mul_lo_u16_sdwa v2, v1, v2 dst_sel:DWORD dst_unused:UNUSED_PAD src0_sel:WORD_1 src1_sel:DWORD
	s_load_dwordx4 s[8:11], s[4:5], 0x30
	s_load_dwordx2 s[2:3], s[4:5], 0x40
	s_sub_u32 s4, s22, s18
	v_lshrrev_b16_e32 v2, 9, v2
	s_subb_u32 s5, s23, 0
	v_mul_lo_u16_e32 v2, 17, v2
	v_sub_u16_sdwa v1, v1, v2 dst_sel:DWORD dst_unused:UNUSED_PAD src0_sel:WORD_1 src1_sel:DWORD
	s_sub_u32 s22, s24, s18
	v_and_b32_e32 v1, 0xff, v1
	s_subb_u32 s23, s25, 0
	v_cndmask_b32_e64 v1, v7, v1, s[0:1]
	s_mul_i32 s0, s23, 0x242
	s_mul_hi_u32 s1, s22, 0x242
	s_add_i32 s1, s1, s0
	s_mul_i32 s0, s22, 0x242
	s_waitcnt lgkmcnt(0)
	s_add_u32 s0, s10, s0
	v_lshlrev_b32_e32 v2, 1, v0
	s_addc_u32 s1, s11, s1
	v_add_co_u32_e32 v2, vcc, s0, v2
	s_movk_i32 s0, 0xe3
	v_mov_b32_e32 v3, s1
	v_mul_u32_u24_sdwa v4, v0, s0 dst_sel:DWORD dst_unused:UNUSED_PAD src0_sel:WORD_0 src1_sel:DWORD
	v_addc_co_u32_e32 v3, vcc, 0, v3, vcc
	v_lshrrev_b32_e32 v8, 16, v4
	v_mov_b32_e32 v4, s25
	v_add_co_u32_e32 v5, vcc, s24, v8
	v_addc_co_u32_e32 v9, vcc, 0, v4, vcc
	v_subrev_co_u32_e32 v4, vcc, s18, v5
	v_subbrev_co_u32_e32 v5, vcc, 0, v9, vcc
	v_lshlrev_b64 v[4:5], 2, v[4:5]
	v_mov_b32_e32 v9, s9
	v_add_co_u32_e32 v4, vcc, s8, v4
	v_mov_b32_e32 v6, 0
	v_addc_co_u32_e32 v5, vcc, v9, v5, vcc
	s_branch .LBB304_10
.LBB304_9:                              ;   in Loop: Header=BB304_10 Depth=1
	s_or_b64 exec, exec, s[0:1]
	s_add_u32 s22, s22, 1
	v_mov_b32_e32 v10, s5
	s_addc_u32 s23, s23, 0
	v_mov_b32_e32 v9, s4
	v_cmp_lt_i64_e32 vcc, s[22:23], v[9:10]
	v_add_co_u32_e64 v4, s[0:1], 4, v4
	v_addc_co_u32_e64 v5, s[0:1], 0, v5, s[0:1]
	s_cbranch_vccz .LBB304_12
.LBB304_10:                             ; =>This Inner Loop Header: Depth=1
	v_mov_b32_e32 v10, s23
	v_add_co_u32_e32 v9, vcc, s22, v8
	v_addc_co_u32_e32 v10, vcc, 0, v10, vcc
	v_cmp_gt_i64_e32 vcc, s[4:5], v[9:10]
	s_and_saveexec_b64 s[0:1], vcc
	s_cbranch_execz .LBB304_9
; %bb.11:                               ;   in Loop: Header=BB304_10 Depth=1
	global_load_dword v9, v[4:5], off
	v_mov_b32_e32 v12, s3
	global_load_ushort v11, v[2:3], off
	s_waitcnt vmcnt(1)
	v_subrev_u32_e32 v9, s18, v9
	v_mad_u64_u32 v[9:10], s[8:9], v9, 17, v[1:2]
	v_ashrrev_i32_e32 v10, 31, v9
	v_lshlrev_b64 v[9:10], 1, v[9:10]
	v_add_co_u32_e32 v9, vcc, s2, v9
	v_addc_co_u32_e32 v10, vcc, v12, v10, vcc
	global_load_ushort v9, v[9:10], off
	v_add_co_u32_e32 v2, vcc, 0x242, v2
	v_addc_co_u32_e32 v3, vcc, 0, v3, vcc
	s_waitcnt vmcnt(0)
	v_fma_mix_f32 v6, v11, v9, v6 op_sel_hi:[1,1,0]
	s_branch .LBB304_9
.LBB304_12:
	v_lshlrev_b32_e32 v1, 2, v0
	s_and_b64 vcc, exec, s[20:21]
	ds_write_b32 v1, v6
	s_waitcnt lgkmcnt(0)
	s_barrier
	s_cbranch_vccz .LBB304_24
; %bb.13:
	v_cmp_eq_u16_e32 vcc, 0, v7
	s_and_saveexec_b64 s[0:1], vcc
	s_cbranch_execz .LBB304_15
; %bb.14:
	ds_read2_b32 v[2:3], v1 offset1:16
	s_waitcnt lgkmcnt(0)
	v_add_f32_e32 v2, v3, v2
	ds_write_b32 v1, v2
.LBB304_15:
	s_or_b64 exec, exec, s[0:1]
	v_cmp_gt_u16_e32 vcc, 8, v7
	s_waitcnt lgkmcnt(0)
	s_barrier
	s_and_saveexec_b64 s[0:1], vcc
	s_cbranch_execz .LBB304_17
; %bb.16:
	ds_read2_b32 v[2:3], v1 offset1:8
	s_waitcnt lgkmcnt(0)
	v_add_f32_e32 v2, v3, v2
	ds_write_b32 v1, v2
.LBB304_17:
	s_or_b64 exec, exec, s[0:1]
	v_cmp_gt_u16_e32 vcc, 4, v7
	s_waitcnt lgkmcnt(0)
	s_barrier
	;; [unrolled: 12-line block ×3, first 2 shown]
	s_and_saveexec_b64 s[0:1], vcc
	s_cbranch_execz .LBB304_21
; %bb.20:
	ds_read2_b32 v[2:3], v1 offset1:2
	s_waitcnt lgkmcnt(0)
	v_add_f32_e32 v2, v3, v2
	ds_write_b32 v1, v2
.LBB304_21:
	s_or_b64 exec, exec, s[0:1]
	v_cmp_gt_u32_e32 vcc, 17, v0
	v_mov_b32_e32 v2, v6
	s_waitcnt lgkmcnt(0)
	s_barrier
	s_and_saveexec_b64 s[0:1], vcc
	s_cbranch_execz .LBB304_23
; %bb.22:
	v_lshl_add_u32 v2, v0, 6, v1
	ds_read2_b32 v[2:3], v2 offset1:1
	s_waitcnt lgkmcnt(0)
	v_add_f32_e32 v2, v2, v3
.LBB304_23:
	s_or_b64 exec, exec, s[0:1]
	v_cmp_gt_u32_e64 s[0:1], 17, v0
	s_branch .LBB304_36
.LBB304_24:
                                        ; implicit-def: $vgpr2
	v_cmp_gt_u32_e64 s[0:1], 17, v0
	s_cbranch_execz .LBB304_36
; %bb.25:
	s_and_saveexec_b64 s[2:3], s[0:1]
	s_cbranch_execz .LBB304_27
; %bb.26:
	ds_read_b32 v2, v1 offset:1088
	ds_read_b32 v3, v1
	s_waitcnt lgkmcnt(0)
	v_add_f32_e32 v2, v2, v3
	ds_write_b32 v1, v2
.LBB304_27:
	s_or_b64 exec, exec, s[2:3]
	s_movk_i32 s2, 0x88
	v_cmp_gt_u32_e32 vcc, s2, v0
	s_waitcnt lgkmcnt(0)
	s_barrier
	s_and_saveexec_b64 s[2:3], vcc
	s_cbranch_execz .LBB304_29
; %bb.28:
	ds_read2_b32 v[2:3], v1 offset1:136
	s_waitcnt lgkmcnt(0)
	v_add_f32_e32 v2, v3, v2
	ds_write_b32 v1, v2
.LBB304_29:
	s_or_b64 exec, exec, s[2:3]
	s_movk_i32 s2, 0x44
	v_cmp_gt_u32_e32 vcc, s2, v0
	s_waitcnt lgkmcnt(0)
	s_barrier
	s_and_saveexec_b64 s[2:3], vcc
	s_cbranch_execz .LBB304_31
; %bb.30:
	ds_read2_b32 v[2:3], v1 offset1:68
	s_waitcnt lgkmcnt(0)
	v_add_f32_e32 v2, v3, v2
	ds_write_b32 v1, v2
.LBB304_31:
	s_or_b64 exec, exec, s[2:3]
	v_cmp_gt_u32_e32 vcc, 34, v0
	s_waitcnt lgkmcnt(0)
	s_barrier
	s_and_saveexec_b64 s[2:3], vcc
	s_cbranch_execz .LBB304_33
; %bb.32:
	ds_read2_b32 v[2:3], v1 offset1:34
	s_waitcnt lgkmcnt(0)
	v_add_f32_e32 v2, v3, v2
	ds_write_b32 v1, v2
.LBB304_33:
	s_or_b64 exec, exec, s[2:3]
	s_waitcnt lgkmcnt(0)
	s_and_saveexec_b64 s[2:3], s[0:1]
	s_cbranch_execz .LBB304_35
; %bb.34:
	ds_read2_b32 v[1:2], v1 offset1:17
	s_waitcnt lgkmcnt(0)
	v_add_f32_e32 v6, v1, v2
.LBB304_35:
	s_or_b64 exec, exec, s[2:3]
	v_mov_b32_e32 v2, v6
.LBB304_36:
	v_cmp_gt_u32_e32 vcc, 17, v0
	s_and_saveexec_b64 s[0:1], vcc
	s_cbranch_execz .LBB304_40
; %bb.37:
	v_cmp_eq_f32_e64 s[0:1], s12, 0
	s_and_b64 vcc, exec, s[0:1]
	v_mul_f32_e32 v1, s14, v2
	s_cbranch_vccz .LBB304_41
; %bb.38:
	v_mad_u64_u32 v[2:3], s[0:1], s6, 17, v[0:1]
	v_mov_b32_e32 v3, 0
	v_mov_b32_e32 v4, s17
	v_lshlrev_b64 v[2:3], 2, v[2:3]
	v_add_co_u32_e32 v2, vcc, s16, v2
	v_addc_co_u32_e32 v3, vcc, v4, v3, vcc
	global_store_dword v[2:3], v1, off
	s_cbranch_execnz .LBB304_40
.LBB304_39:
	v_mad_u64_u32 v[2:3], s[0:1], s6, 17, v[0:1]
	v_mov_b32_e32 v3, 0
	v_mov_b32_e32 v0, s17
	v_lshlrev_b64 v[2:3], 2, v[2:3]
	v_add_co_u32_e32 v2, vcc, s16, v2
	v_addc_co_u32_e32 v3, vcc, v0, v3, vcc
	global_load_dword v0, v[2:3], off
	s_waitcnt vmcnt(0)
	v_fmac_f32_e32 v1, s12, v0
	global_store_dword v[2:3], v1, off
.LBB304_40:
	s_endpgm
.LBB304_41:
	s_branch .LBB304_39
	.section	.rodata,"a",@progbits
	.p2align	6, 0x0
	.amdhsa_kernel _ZN9rocsparseL20bsrxmvn_17_32_kernelILj17EfliDF16_DF16_fEEvT2_20rocsparse_direction_NS_24const_host_device_scalarIT0_EES1_PKS1_PKT1_SA_S7_PKT3_PKT4_S5_PT5_21rocsparse_index_base_b
		.amdhsa_group_segment_fixed_size 1156
		.amdhsa_private_segment_fixed_size 0
		.amdhsa_kernarg_size 96
		.amdhsa_user_sgpr_count 6
		.amdhsa_user_sgpr_private_segment_buffer 1
		.amdhsa_user_sgpr_dispatch_ptr 0
		.amdhsa_user_sgpr_queue_ptr 0
		.amdhsa_user_sgpr_kernarg_segment_ptr 1
		.amdhsa_user_sgpr_dispatch_id 0
		.amdhsa_user_sgpr_flat_scratch_init 0
		.amdhsa_user_sgpr_private_segment_size 0
		.amdhsa_uses_dynamic_stack 0
		.amdhsa_system_sgpr_private_segment_wavefront_offset 0
		.amdhsa_system_sgpr_workgroup_id_x 1
		.amdhsa_system_sgpr_workgroup_id_y 0
		.amdhsa_system_sgpr_workgroup_id_z 0
		.amdhsa_system_sgpr_workgroup_info 0
		.amdhsa_system_vgpr_workitem_id 0
		.amdhsa_next_free_vgpr 13
		.amdhsa_next_free_sgpr 26
		.amdhsa_reserve_vcc 1
		.amdhsa_reserve_flat_scratch 0
		.amdhsa_float_round_mode_32 0
		.amdhsa_float_round_mode_16_64 0
		.amdhsa_float_denorm_mode_32 3
		.amdhsa_float_denorm_mode_16_64 3
		.amdhsa_dx10_clamp 1
		.amdhsa_ieee_mode 1
		.amdhsa_fp16_overflow 0
		.amdhsa_exception_fp_ieee_invalid_op 0
		.amdhsa_exception_fp_denorm_src 0
		.amdhsa_exception_fp_ieee_div_zero 0
		.amdhsa_exception_fp_ieee_overflow 0
		.amdhsa_exception_fp_ieee_underflow 0
		.amdhsa_exception_fp_ieee_inexact 0
		.amdhsa_exception_int_div_zero 0
	.end_amdhsa_kernel
	.section	.text._ZN9rocsparseL20bsrxmvn_17_32_kernelILj17EfliDF16_DF16_fEEvT2_20rocsparse_direction_NS_24const_host_device_scalarIT0_EES1_PKS1_PKT1_SA_S7_PKT3_PKT4_S5_PT5_21rocsparse_index_base_b,"axG",@progbits,_ZN9rocsparseL20bsrxmvn_17_32_kernelILj17EfliDF16_DF16_fEEvT2_20rocsparse_direction_NS_24const_host_device_scalarIT0_EES1_PKS1_PKT1_SA_S7_PKT3_PKT4_S5_PT5_21rocsparse_index_base_b,comdat
.Lfunc_end304:
	.size	_ZN9rocsparseL20bsrxmvn_17_32_kernelILj17EfliDF16_DF16_fEEvT2_20rocsparse_direction_NS_24const_host_device_scalarIT0_EES1_PKS1_PKT1_SA_S7_PKT3_PKT4_S5_PT5_21rocsparse_index_base_b, .Lfunc_end304-_ZN9rocsparseL20bsrxmvn_17_32_kernelILj17EfliDF16_DF16_fEEvT2_20rocsparse_direction_NS_24const_host_device_scalarIT0_EES1_PKS1_PKT1_SA_S7_PKT3_PKT4_S5_PT5_21rocsparse_index_base_b
                                        ; -- End function
	.set _ZN9rocsparseL20bsrxmvn_17_32_kernelILj17EfliDF16_DF16_fEEvT2_20rocsparse_direction_NS_24const_host_device_scalarIT0_EES1_PKS1_PKT1_SA_S7_PKT3_PKT4_S5_PT5_21rocsparse_index_base_b.num_vgpr, 13
	.set _ZN9rocsparseL20bsrxmvn_17_32_kernelILj17EfliDF16_DF16_fEEvT2_20rocsparse_direction_NS_24const_host_device_scalarIT0_EES1_PKS1_PKT1_SA_S7_PKT3_PKT4_S5_PT5_21rocsparse_index_base_b.num_agpr, 0
	.set _ZN9rocsparseL20bsrxmvn_17_32_kernelILj17EfliDF16_DF16_fEEvT2_20rocsparse_direction_NS_24const_host_device_scalarIT0_EES1_PKS1_PKT1_SA_S7_PKT3_PKT4_S5_PT5_21rocsparse_index_base_b.numbered_sgpr, 26
	.set _ZN9rocsparseL20bsrxmvn_17_32_kernelILj17EfliDF16_DF16_fEEvT2_20rocsparse_direction_NS_24const_host_device_scalarIT0_EES1_PKS1_PKT1_SA_S7_PKT3_PKT4_S5_PT5_21rocsparse_index_base_b.num_named_barrier, 0
	.set _ZN9rocsparseL20bsrxmvn_17_32_kernelILj17EfliDF16_DF16_fEEvT2_20rocsparse_direction_NS_24const_host_device_scalarIT0_EES1_PKS1_PKT1_SA_S7_PKT3_PKT4_S5_PT5_21rocsparse_index_base_b.private_seg_size, 0
	.set _ZN9rocsparseL20bsrxmvn_17_32_kernelILj17EfliDF16_DF16_fEEvT2_20rocsparse_direction_NS_24const_host_device_scalarIT0_EES1_PKS1_PKT1_SA_S7_PKT3_PKT4_S5_PT5_21rocsparse_index_base_b.uses_vcc, 1
	.set _ZN9rocsparseL20bsrxmvn_17_32_kernelILj17EfliDF16_DF16_fEEvT2_20rocsparse_direction_NS_24const_host_device_scalarIT0_EES1_PKS1_PKT1_SA_S7_PKT3_PKT4_S5_PT5_21rocsparse_index_base_b.uses_flat_scratch, 0
	.set _ZN9rocsparseL20bsrxmvn_17_32_kernelILj17EfliDF16_DF16_fEEvT2_20rocsparse_direction_NS_24const_host_device_scalarIT0_EES1_PKS1_PKT1_SA_S7_PKT3_PKT4_S5_PT5_21rocsparse_index_base_b.has_dyn_sized_stack, 0
	.set _ZN9rocsparseL20bsrxmvn_17_32_kernelILj17EfliDF16_DF16_fEEvT2_20rocsparse_direction_NS_24const_host_device_scalarIT0_EES1_PKS1_PKT1_SA_S7_PKT3_PKT4_S5_PT5_21rocsparse_index_base_b.has_recursion, 0
	.set _ZN9rocsparseL20bsrxmvn_17_32_kernelILj17EfliDF16_DF16_fEEvT2_20rocsparse_direction_NS_24const_host_device_scalarIT0_EES1_PKS1_PKT1_SA_S7_PKT3_PKT4_S5_PT5_21rocsparse_index_base_b.has_indirect_call, 0
	.section	.AMDGPU.csdata,"",@progbits
; Kernel info:
; codeLenInByte = 1324
; TotalNumSgprs: 30
; NumVgprs: 13
; ScratchSize: 0
; MemoryBound: 0
; FloatMode: 240
; IeeeMode: 1
; LDSByteSize: 1156 bytes/workgroup (compile time only)
; SGPRBlocks: 3
; VGPRBlocks: 3
; NumSGPRsForWavesPerEU: 30
; NumVGPRsForWavesPerEU: 13
; Occupancy: 10
; WaveLimiterHint : 1
; COMPUTE_PGM_RSRC2:SCRATCH_EN: 0
; COMPUTE_PGM_RSRC2:USER_SGPR: 6
; COMPUTE_PGM_RSRC2:TRAP_HANDLER: 0
; COMPUTE_PGM_RSRC2:TGID_X_EN: 1
; COMPUTE_PGM_RSRC2:TGID_Y_EN: 0
; COMPUTE_PGM_RSRC2:TGID_Z_EN: 0
; COMPUTE_PGM_RSRC2:TIDIG_COMP_CNT: 0
	.section	.text._ZN9rocsparseL20bsrxmvn_17_32_kernelILj18EfliDF16_DF16_fEEvT2_20rocsparse_direction_NS_24const_host_device_scalarIT0_EES1_PKS1_PKT1_SA_S7_PKT3_PKT4_S5_PT5_21rocsparse_index_base_b,"axG",@progbits,_ZN9rocsparseL20bsrxmvn_17_32_kernelILj18EfliDF16_DF16_fEEvT2_20rocsparse_direction_NS_24const_host_device_scalarIT0_EES1_PKS1_PKT1_SA_S7_PKT3_PKT4_S5_PT5_21rocsparse_index_base_b,comdat
	.globl	_ZN9rocsparseL20bsrxmvn_17_32_kernelILj18EfliDF16_DF16_fEEvT2_20rocsparse_direction_NS_24const_host_device_scalarIT0_EES1_PKS1_PKT1_SA_S7_PKT3_PKT4_S5_PT5_21rocsparse_index_base_b ; -- Begin function _ZN9rocsparseL20bsrxmvn_17_32_kernelILj18EfliDF16_DF16_fEEvT2_20rocsparse_direction_NS_24const_host_device_scalarIT0_EES1_PKS1_PKT1_SA_S7_PKT3_PKT4_S5_PT5_21rocsparse_index_base_b
	.p2align	8
	.type	_ZN9rocsparseL20bsrxmvn_17_32_kernelILj18EfliDF16_DF16_fEEvT2_20rocsparse_direction_NS_24const_host_device_scalarIT0_EES1_PKS1_PKT1_SA_S7_PKT3_PKT4_S5_PT5_21rocsparse_index_base_b,@function
_ZN9rocsparseL20bsrxmvn_17_32_kernelILj18EfliDF16_DF16_fEEvT2_20rocsparse_direction_NS_24const_host_device_scalarIT0_EES1_PKS1_PKT1_SA_S7_PKT3_PKT4_S5_PT5_21rocsparse_index_base_b: ; @_ZN9rocsparseL20bsrxmvn_17_32_kernelILj18EfliDF16_DF16_fEEvT2_20rocsparse_direction_NS_24const_host_device_scalarIT0_EES1_PKS1_PKT1_SA_S7_PKT3_PKT4_S5_PT5_21rocsparse_index_base_b
; %bb.0:
	s_load_dwordx2 s[18:19], s[4:5], 0x58
	s_load_dwordx2 s[14:15], s[4:5], 0x8
	;; [unrolled: 1-line block ×3, first 2 shown]
	s_waitcnt lgkmcnt(0)
	s_bitcmp1_b32 s19, 0
	s_cselect_b64 s[2:3], -1, 0
	s_xor_b64 s[0:1], s[2:3], -1
	s_and_b64 vcc, exec, s[2:3]
	s_cbranch_vccnz .LBB305_2
; %bb.1:
	s_load_dword s14, s[14:15], 0x0
.LBB305_2:
	s_andn2_b64 vcc, exec, s[0:1]
	s_cbranch_vccnz .LBB305_4
; %bb.3:
	s_load_dword s12, s[12:13], 0x0
.LBB305_4:
	s_waitcnt lgkmcnt(0)
	v_cmp_neq_f32_e64 s[0:1], s14, 0
	v_cmp_neq_f32_e64 s[2:3], s12, 1.0
	s_or_b64 s[0:1], s[0:1], s[2:3]
	s_andn2_b64 vcc, exec, s[0:1]
	s_cbranch_vccnz .LBB305_40
; %bb.5:
	s_load_dwordx4 s[0:3], s[4:5], 0x18
	s_load_dwordx2 s[8:9], s[4:5], 0x28
	s_waitcnt lgkmcnt(0)
	s_cmp_eq_u64 s[0:1], 0
	s_cbranch_scc1 .LBB305_7
; %bb.6:
	s_ashr_i32 s7, s6, 31
	s_lshl_b64 s[6:7], s[6:7], 2
	s_add_u32 s0, s0, s6
	s_addc_u32 s1, s1, s7
	s_load_dword s0, s[0:1], 0x0
	s_waitcnt lgkmcnt(0)
	s_sub_i32 s6, s0, s18
.LBB305_7:
	s_load_dword s7, s[4:5], 0x4
	s_load_dwordx2 s[16:17], s[4:5], 0x50
	v_mul_u32_u24_e32 v1, 0xe39, v0
	v_mov_b32_e32 v2, 18
	v_mul_lo_u16_sdwa v3, v1, v2 dst_sel:DWORD dst_unused:UNUSED_PAD src0_sel:WORD_1 src1_sel:DWORD
	s_waitcnt lgkmcnt(0)
	s_cmp_eq_u32 s7, 1
	s_cselect_b64 s[0:1], -1, 0
	s_cmp_lg_u32 s7, 1
	s_cselect_b64 s[20:21], -1, 0
	s_ashr_i32 s7, s6, 31
	s_lshl_b64 s[10:11], s[6:7], 3
	s_add_u32 s2, s2, s10
	s_addc_u32 s3, s3, s11
	s_add_u32 s7, s2, 8
	s_addc_u32 s13, s3, 0
	s_add_u32 s10, s8, s10
	s_addc_u32 s11, s9, s11
	s_cmp_eq_u64 s[8:9], 0
	s_cselect_b32 s9, s13, s11
	s_cselect_b32 s8, s7, s10
	s_load_dwordx2 s[22:23], s[8:9], 0x0
	s_load_dwordx2 s[24:25], s[2:3], 0x0
	v_sub_u16_e32 v7, v0, v3
	v_mov_b32_e32 v6, 0
	s_waitcnt lgkmcnt(0)
	v_mov_b32_e32 v3, s22
	v_mov_b32_e32 v4, s23
	v_cmp_ge_i64_e32 vcc, s[24:25], v[3:4]
	s_cbranch_vccnz .LBB305_12
; %bb.8:
	v_mov_b32_e32 v3, 15
	s_load_dwordx4 s[8:11], s[4:5], 0x30
	s_load_dwordx2 s[2:3], s[4:5], 0x40
	s_sub_u32 s4, s22, s18
	v_mul_lo_u16_sdwa v3, v1, v3 dst_sel:DWORD dst_unused:UNUSED_PAD src0_sel:WORD_1 src1_sel:DWORD
	s_subb_u32 s5, s23, 0
	v_mul_lo_u16_sdwa v2, v3, v2 dst_sel:DWORD dst_unused:UNUSED_PAD src0_sel:BYTE_1 src1_sel:DWORD
	v_sub_u16_sdwa v1, v1, v2 dst_sel:DWORD dst_unused:UNUSED_PAD src0_sel:WORD_1 src1_sel:DWORD
	s_sub_u32 s22, s24, s18
	v_and_b32_e32 v1, 0xff, v1
	s_subb_u32 s23, s25, 0
	v_cndmask_b32_e64 v1, v7, v1, s[0:1]
	s_mul_i32 s0, s23, 0x288
	s_mul_hi_u32 s1, s22, 0x288
	s_add_i32 s1, s1, s0
	s_mul_i32 s0, s22, 0x288
	s_waitcnt lgkmcnt(0)
	s_add_u32 s0, s10, s0
	v_lshlrev_b32_e32 v2, 1, v0
	s_addc_u32 s1, s11, s1
	v_add_co_u32_e32 v2, vcc, s0, v2
	s_movk_i32 s0, 0x195
	v_mov_b32_e32 v3, s1
	v_mul_u32_u24_sdwa v4, v0, s0 dst_sel:DWORD dst_unused:UNUSED_PAD src0_sel:WORD_0 src1_sel:DWORD
	v_addc_co_u32_e32 v3, vcc, 0, v3, vcc
	v_lshrrev_b32_e32 v8, 17, v4
	v_mov_b32_e32 v4, s25
	v_add_co_u32_e32 v5, vcc, s24, v8
	v_addc_co_u32_e32 v9, vcc, 0, v4, vcc
	v_subrev_co_u32_e32 v4, vcc, s18, v5
	v_subbrev_co_u32_e32 v5, vcc, 0, v9, vcc
	v_lshlrev_b64 v[4:5], 2, v[4:5]
	v_mov_b32_e32 v9, s9
	v_add_co_u32_e32 v4, vcc, s8, v4
	v_mov_b32_e32 v6, 0
	v_addc_co_u32_e32 v5, vcc, v9, v5, vcc
	s_branch .LBB305_10
.LBB305_9:                              ;   in Loop: Header=BB305_10 Depth=1
	s_or_b64 exec, exec, s[0:1]
	s_add_u32 s22, s22, 1
	v_mov_b32_e32 v10, s5
	s_addc_u32 s23, s23, 0
	v_mov_b32_e32 v9, s4
	v_cmp_lt_i64_e32 vcc, s[22:23], v[9:10]
	v_add_co_u32_e64 v4, s[0:1], 4, v4
	v_addc_co_u32_e64 v5, s[0:1], 0, v5, s[0:1]
	s_cbranch_vccz .LBB305_12
.LBB305_10:                             ; =>This Inner Loop Header: Depth=1
	v_mov_b32_e32 v10, s23
	v_add_co_u32_e32 v9, vcc, s22, v8
	v_addc_co_u32_e32 v10, vcc, 0, v10, vcc
	v_cmp_gt_i64_e32 vcc, s[4:5], v[9:10]
	s_and_saveexec_b64 s[0:1], vcc
	s_cbranch_execz .LBB305_9
; %bb.11:                               ;   in Loop: Header=BB305_10 Depth=1
	global_load_dword v9, v[4:5], off
	v_mov_b32_e32 v12, s3
	global_load_ushort v11, v[2:3], off
	s_waitcnt vmcnt(1)
	v_subrev_u32_e32 v9, s18, v9
	v_mad_u64_u32 v[9:10], s[8:9], v9, 18, v[1:2]
	v_ashrrev_i32_e32 v10, 31, v9
	v_lshlrev_b64 v[9:10], 1, v[9:10]
	v_add_co_u32_e32 v9, vcc, s2, v9
	v_addc_co_u32_e32 v10, vcc, v12, v10, vcc
	global_load_ushort v9, v[9:10], off
	v_add_co_u32_e32 v2, vcc, 0x288, v2
	v_addc_co_u32_e32 v3, vcc, 0, v3, vcc
	s_waitcnt vmcnt(0)
	v_fma_mix_f32 v6, v11, v9, v6 op_sel_hi:[1,1,0]
	s_branch .LBB305_9
.LBB305_12:
	v_lshlrev_b32_e32 v1, 2, v0
	s_and_b64 vcc, exec, s[20:21]
	ds_write_b32 v1, v6
	s_waitcnt lgkmcnt(0)
	s_barrier
	s_cbranch_vccz .LBB305_24
; %bb.13:
	v_cmp_gt_u16_e32 vcc, 2, v7
	s_and_saveexec_b64 s[0:1], vcc
	s_cbranch_execz .LBB305_15
; %bb.14:
	ds_read2_b32 v[2:3], v1 offset1:16
	s_waitcnt lgkmcnt(0)
	v_add_f32_e32 v2, v3, v2
	ds_write_b32 v1, v2
.LBB305_15:
	s_or_b64 exec, exec, s[0:1]
	v_cmp_gt_u16_e64 s[0:1], 8, v7
	s_waitcnt lgkmcnt(0)
	s_barrier
	s_and_saveexec_b64 s[2:3], s[0:1]
	s_cbranch_execz .LBB305_17
; %bb.16:
	ds_read2_b32 v[2:3], v1 offset1:8
	s_waitcnt lgkmcnt(0)
	v_add_f32_e32 v2, v3, v2
	ds_write_b32 v1, v2
.LBB305_17:
	s_or_b64 exec, exec, s[2:3]
	v_cmp_gt_u16_e64 s[0:1], 4, v7
	s_waitcnt lgkmcnt(0)
	s_barrier
	s_and_saveexec_b64 s[2:3], s[0:1]
	s_cbranch_execz .LBB305_19
; %bb.18:
	ds_read2_b32 v[2:3], v1 offset1:4
	s_waitcnt lgkmcnt(0)
	v_add_f32_e32 v2, v3, v2
	ds_write_b32 v1, v2
.LBB305_19:
	s_or_b64 exec, exec, s[2:3]
	s_waitcnt lgkmcnt(0)
	s_barrier
	s_and_saveexec_b64 s[0:1], vcc
	s_cbranch_execz .LBB305_21
; %bb.20:
	ds_read2_b32 v[2:3], v1 offset1:2
	s_waitcnt lgkmcnt(0)
	v_add_f32_e32 v2, v3, v2
	ds_write_b32 v1, v2
.LBB305_21:
	s_or_b64 exec, exec, s[0:1]
	v_cmp_gt_u32_e32 vcc, 18, v0
	v_mov_b32_e32 v2, v6
	s_waitcnt lgkmcnt(0)
	s_barrier
	s_and_saveexec_b64 s[0:1], vcc
	s_cbranch_execz .LBB305_23
; %bb.22:
	s_movk_i32 s2, 0x44
	v_mad_u32_u24 v2, v0, s2, v1
	ds_read_b64 v[2:3], v2
	s_waitcnt lgkmcnt(0)
	v_add_f32_e32 v2, v2, v3
.LBB305_23:
	s_or_b64 exec, exec, s[0:1]
	s_branch .LBB305_36
.LBB305_24:
                                        ; implicit-def: $vgpr2
	s_cbranch_execz .LBB305_36
; %bb.25:
	v_cmp_gt_u32_e32 vcc, 36, v0
	s_and_saveexec_b64 s[0:1], vcc
	s_cbranch_execz .LBB305_27
; %bb.26:
	ds_read_b32 v2, v1 offset:1152
	ds_read_b32 v3, v1
	s_waitcnt lgkmcnt(0)
	v_add_f32_e32 v2, v2, v3
	ds_write_b32 v1, v2
.LBB305_27:
	s_or_b64 exec, exec, s[0:1]
	s_movk_i32 s0, 0x90
	v_cmp_gt_u32_e64 s[0:1], s0, v0
	s_waitcnt lgkmcnt(0)
	s_barrier
	s_and_saveexec_b64 s[2:3], s[0:1]
	s_cbranch_execz .LBB305_29
; %bb.28:
	ds_read2_b32 v[2:3], v1 offset1:144
	s_waitcnt lgkmcnt(0)
	v_add_f32_e32 v2, v3, v2
	ds_write_b32 v1, v2
.LBB305_29:
	s_or_b64 exec, exec, s[2:3]
	s_movk_i32 s0, 0x48
	v_cmp_gt_u32_e64 s[0:1], s0, v0
	s_waitcnt lgkmcnt(0)
	s_barrier
	s_and_saveexec_b64 s[2:3], s[0:1]
	s_cbranch_execz .LBB305_31
; %bb.30:
	ds_read2_b32 v[2:3], v1 offset1:72
	s_waitcnt lgkmcnt(0)
	v_add_f32_e32 v2, v3, v2
	ds_write_b32 v1, v2
.LBB305_31:
	s_or_b64 exec, exec, s[2:3]
	s_waitcnt lgkmcnt(0)
	s_barrier
	s_and_saveexec_b64 s[0:1], vcc
	s_cbranch_execz .LBB305_33
; %bb.32:
	ds_read2_b32 v[2:3], v1 offset1:36
	s_waitcnt lgkmcnt(0)
	v_add_f32_e32 v2, v3, v2
	ds_write_b32 v1, v2
.LBB305_33:
	s_or_b64 exec, exec, s[0:1]
	v_cmp_gt_u32_e32 vcc, 18, v0
	s_waitcnt lgkmcnt(0)
	s_and_saveexec_b64 s[0:1], vcc
	s_cbranch_execz .LBB305_35
; %bb.34:
	ds_read2_b32 v[1:2], v1 offset1:18
	s_waitcnt lgkmcnt(0)
	v_add_f32_e32 v6, v1, v2
.LBB305_35:
	s_or_b64 exec, exec, s[0:1]
	v_mov_b32_e32 v2, v6
.LBB305_36:
	v_cmp_gt_u32_e32 vcc, 18, v0
	s_and_saveexec_b64 s[0:1], vcc
	s_cbranch_execz .LBB305_40
; %bb.37:
	v_cmp_eq_f32_e64 s[0:1], s12, 0
	s_and_b64 vcc, exec, s[0:1]
	v_mul_f32_e32 v1, s14, v2
	s_cbranch_vccz .LBB305_41
; %bb.38:
	v_mad_u64_u32 v[2:3], s[0:1], s6, 18, v[0:1]
	v_mov_b32_e32 v3, 0
	v_mov_b32_e32 v4, s17
	v_lshlrev_b64 v[2:3], 2, v[2:3]
	v_add_co_u32_e32 v2, vcc, s16, v2
	v_addc_co_u32_e32 v3, vcc, v4, v3, vcc
	global_store_dword v[2:3], v1, off
	s_cbranch_execnz .LBB305_40
.LBB305_39:
	v_mad_u64_u32 v[2:3], s[0:1], s6, 18, v[0:1]
	v_mov_b32_e32 v3, 0
	v_mov_b32_e32 v0, s17
	v_lshlrev_b64 v[2:3], 2, v[2:3]
	v_add_co_u32_e32 v2, vcc, s16, v2
	v_addc_co_u32_e32 v3, vcc, v0, v3, vcc
	global_load_dword v0, v[2:3], off
	s_waitcnt vmcnt(0)
	v_fmac_f32_e32 v1, s12, v0
	global_store_dword v[2:3], v1, off
.LBB305_40:
	s_endpgm
.LBB305_41:
	s_branch .LBB305_39
	.section	.rodata,"a",@progbits
	.p2align	6, 0x0
	.amdhsa_kernel _ZN9rocsparseL20bsrxmvn_17_32_kernelILj18EfliDF16_DF16_fEEvT2_20rocsparse_direction_NS_24const_host_device_scalarIT0_EES1_PKS1_PKT1_SA_S7_PKT3_PKT4_S5_PT5_21rocsparse_index_base_b
		.amdhsa_group_segment_fixed_size 1296
		.amdhsa_private_segment_fixed_size 0
		.amdhsa_kernarg_size 96
		.amdhsa_user_sgpr_count 6
		.amdhsa_user_sgpr_private_segment_buffer 1
		.amdhsa_user_sgpr_dispatch_ptr 0
		.amdhsa_user_sgpr_queue_ptr 0
		.amdhsa_user_sgpr_kernarg_segment_ptr 1
		.amdhsa_user_sgpr_dispatch_id 0
		.amdhsa_user_sgpr_flat_scratch_init 0
		.amdhsa_user_sgpr_private_segment_size 0
		.amdhsa_uses_dynamic_stack 0
		.amdhsa_system_sgpr_private_segment_wavefront_offset 0
		.amdhsa_system_sgpr_workgroup_id_x 1
		.amdhsa_system_sgpr_workgroup_id_y 0
		.amdhsa_system_sgpr_workgroup_id_z 0
		.amdhsa_system_sgpr_workgroup_info 0
		.amdhsa_system_vgpr_workitem_id 0
		.amdhsa_next_free_vgpr 13
		.amdhsa_next_free_sgpr 26
		.amdhsa_reserve_vcc 1
		.amdhsa_reserve_flat_scratch 0
		.amdhsa_float_round_mode_32 0
		.amdhsa_float_round_mode_16_64 0
		.amdhsa_float_denorm_mode_32 3
		.amdhsa_float_denorm_mode_16_64 3
		.amdhsa_dx10_clamp 1
		.amdhsa_ieee_mode 1
		.amdhsa_fp16_overflow 0
		.amdhsa_exception_fp_ieee_invalid_op 0
		.amdhsa_exception_fp_denorm_src 0
		.amdhsa_exception_fp_ieee_div_zero 0
		.amdhsa_exception_fp_ieee_overflow 0
		.amdhsa_exception_fp_ieee_underflow 0
		.amdhsa_exception_fp_ieee_inexact 0
		.amdhsa_exception_int_div_zero 0
	.end_amdhsa_kernel
	.section	.text._ZN9rocsparseL20bsrxmvn_17_32_kernelILj18EfliDF16_DF16_fEEvT2_20rocsparse_direction_NS_24const_host_device_scalarIT0_EES1_PKS1_PKT1_SA_S7_PKT3_PKT4_S5_PT5_21rocsparse_index_base_b,"axG",@progbits,_ZN9rocsparseL20bsrxmvn_17_32_kernelILj18EfliDF16_DF16_fEEvT2_20rocsparse_direction_NS_24const_host_device_scalarIT0_EES1_PKS1_PKT1_SA_S7_PKT3_PKT4_S5_PT5_21rocsparse_index_base_b,comdat
.Lfunc_end305:
	.size	_ZN9rocsparseL20bsrxmvn_17_32_kernelILj18EfliDF16_DF16_fEEvT2_20rocsparse_direction_NS_24const_host_device_scalarIT0_EES1_PKS1_PKT1_SA_S7_PKT3_PKT4_S5_PT5_21rocsparse_index_base_b, .Lfunc_end305-_ZN9rocsparseL20bsrxmvn_17_32_kernelILj18EfliDF16_DF16_fEEvT2_20rocsparse_direction_NS_24const_host_device_scalarIT0_EES1_PKS1_PKT1_SA_S7_PKT3_PKT4_S5_PT5_21rocsparse_index_base_b
                                        ; -- End function
	.set _ZN9rocsparseL20bsrxmvn_17_32_kernelILj18EfliDF16_DF16_fEEvT2_20rocsparse_direction_NS_24const_host_device_scalarIT0_EES1_PKS1_PKT1_SA_S7_PKT3_PKT4_S5_PT5_21rocsparse_index_base_b.num_vgpr, 13
	.set _ZN9rocsparseL20bsrxmvn_17_32_kernelILj18EfliDF16_DF16_fEEvT2_20rocsparse_direction_NS_24const_host_device_scalarIT0_EES1_PKS1_PKT1_SA_S7_PKT3_PKT4_S5_PT5_21rocsparse_index_base_b.num_agpr, 0
	.set _ZN9rocsparseL20bsrxmvn_17_32_kernelILj18EfliDF16_DF16_fEEvT2_20rocsparse_direction_NS_24const_host_device_scalarIT0_EES1_PKS1_PKT1_SA_S7_PKT3_PKT4_S5_PT5_21rocsparse_index_base_b.numbered_sgpr, 26
	.set _ZN9rocsparseL20bsrxmvn_17_32_kernelILj18EfliDF16_DF16_fEEvT2_20rocsparse_direction_NS_24const_host_device_scalarIT0_EES1_PKS1_PKT1_SA_S7_PKT3_PKT4_S5_PT5_21rocsparse_index_base_b.num_named_barrier, 0
	.set _ZN9rocsparseL20bsrxmvn_17_32_kernelILj18EfliDF16_DF16_fEEvT2_20rocsparse_direction_NS_24const_host_device_scalarIT0_EES1_PKS1_PKT1_SA_S7_PKT3_PKT4_S5_PT5_21rocsparse_index_base_b.private_seg_size, 0
	.set _ZN9rocsparseL20bsrxmvn_17_32_kernelILj18EfliDF16_DF16_fEEvT2_20rocsparse_direction_NS_24const_host_device_scalarIT0_EES1_PKS1_PKT1_SA_S7_PKT3_PKT4_S5_PT5_21rocsparse_index_base_b.uses_vcc, 1
	.set _ZN9rocsparseL20bsrxmvn_17_32_kernelILj18EfliDF16_DF16_fEEvT2_20rocsparse_direction_NS_24const_host_device_scalarIT0_EES1_PKS1_PKT1_SA_S7_PKT3_PKT4_S5_PT5_21rocsparse_index_base_b.uses_flat_scratch, 0
	.set _ZN9rocsparseL20bsrxmvn_17_32_kernelILj18EfliDF16_DF16_fEEvT2_20rocsparse_direction_NS_24const_host_device_scalarIT0_EES1_PKS1_PKT1_SA_S7_PKT3_PKT4_S5_PT5_21rocsparse_index_base_b.has_dyn_sized_stack, 0
	.set _ZN9rocsparseL20bsrxmvn_17_32_kernelILj18EfliDF16_DF16_fEEvT2_20rocsparse_direction_NS_24const_host_device_scalarIT0_EES1_PKS1_PKT1_SA_S7_PKT3_PKT4_S5_PT5_21rocsparse_index_base_b.has_recursion, 0
	.set _ZN9rocsparseL20bsrxmvn_17_32_kernelILj18EfliDF16_DF16_fEEvT2_20rocsparse_direction_NS_24const_host_device_scalarIT0_EES1_PKS1_PKT1_SA_S7_PKT3_PKT4_S5_PT5_21rocsparse_index_base_b.has_indirect_call, 0
	.section	.AMDGPU.csdata,"",@progbits
; Kernel info:
; codeLenInByte = 1328
; TotalNumSgprs: 30
; NumVgprs: 13
; ScratchSize: 0
; MemoryBound: 0
; FloatMode: 240
; IeeeMode: 1
; LDSByteSize: 1296 bytes/workgroup (compile time only)
; SGPRBlocks: 3
; VGPRBlocks: 3
; NumSGPRsForWavesPerEU: 30
; NumVGPRsForWavesPerEU: 13
; Occupancy: 10
; WaveLimiterHint : 1
; COMPUTE_PGM_RSRC2:SCRATCH_EN: 0
; COMPUTE_PGM_RSRC2:USER_SGPR: 6
; COMPUTE_PGM_RSRC2:TRAP_HANDLER: 0
; COMPUTE_PGM_RSRC2:TGID_X_EN: 1
; COMPUTE_PGM_RSRC2:TGID_Y_EN: 0
; COMPUTE_PGM_RSRC2:TGID_Z_EN: 0
; COMPUTE_PGM_RSRC2:TIDIG_COMP_CNT: 0
	.section	.text._ZN9rocsparseL20bsrxmvn_17_32_kernelILj19EfliDF16_DF16_fEEvT2_20rocsparse_direction_NS_24const_host_device_scalarIT0_EES1_PKS1_PKT1_SA_S7_PKT3_PKT4_S5_PT5_21rocsparse_index_base_b,"axG",@progbits,_ZN9rocsparseL20bsrxmvn_17_32_kernelILj19EfliDF16_DF16_fEEvT2_20rocsparse_direction_NS_24const_host_device_scalarIT0_EES1_PKS1_PKT1_SA_S7_PKT3_PKT4_S5_PT5_21rocsparse_index_base_b,comdat
	.globl	_ZN9rocsparseL20bsrxmvn_17_32_kernelILj19EfliDF16_DF16_fEEvT2_20rocsparse_direction_NS_24const_host_device_scalarIT0_EES1_PKS1_PKT1_SA_S7_PKT3_PKT4_S5_PT5_21rocsparse_index_base_b ; -- Begin function _ZN9rocsparseL20bsrxmvn_17_32_kernelILj19EfliDF16_DF16_fEEvT2_20rocsparse_direction_NS_24const_host_device_scalarIT0_EES1_PKS1_PKT1_SA_S7_PKT3_PKT4_S5_PT5_21rocsparse_index_base_b
	.p2align	8
	.type	_ZN9rocsparseL20bsrxmvn_17_32_kernelILj19EfliDF16_DF16_fEEvT2_20rocsparse_direction_NS_24const_host_device_scalarIT0_EES1_PKS1_PKT1_SA_S7_PKT3_PKT4_S5_PT5_21rocsparse_index_base_b,@function
_ZN9rocsparseL20bsrxmvn_17_32_kernelILj19EfliDF16_DF16_fEEvT2_20rocsparse_direction_NS_24const_host_device_scalarIT0_EES1_PKS1_PKT1_SA_S7_PKT3_PKT4_S5_PT5_21rocsparse_index_base_b: ; @_ZN9rocsparseL20bsrxmvn_17_32_kernelILj19EfliDF16_DF16_fEEvT2_20rocsparse_direction_NS_24const_host_device_scalarIT0_EES1_PKS1_PKT1_SA_S7_PKT3_PKT4_S5_PT5_21rocsparse_index_base_b
; %bb.0:
	s_load_dwordx2 s[18:19], s[4:5], 0x58
	s_load_dwordx2 s[14:15], s[4:5], 0x8
	;; [unrolled: 1-line block ×3, first 2 shown]
	s_waitcnt lgkmcnt(0)
	s_bitcmp1_b32 s19, 0
	s_cselect_b64 s[2:3], -1, 0
	s_xor_b64 s[0:1], s[2:3], -1
	s_and_b64 vcc, exec, s[2:3]
	s_cbranch_vccnz .LBB306_2
; %bb.1:
	s_load_dword s14, s[14:15], 0x0
.LBB306_2:
	s_andn2_b64 vcc, exec, s[0:1]
	s_cbranch_vccnz .LBB306_4
; %bb.3:
	s_load_dword s12, s[12:13], 0x0
.LBB306_4:
	s_waitcnt lgkmcnt(0)
	v_cmp_neq_f32_e64 s[0:1], s14, 0
	v_cmp_neq_f32_e64 s[2:3], s12, 1.0
	s_or_b64 s[0:1], s[0:1], s[2:3]
	s_andn2_b64 vcc, exec, s[0:1]
	s_cbranch_vccnz .LBB306_40
; %bb.5:
	s_load_dwordx4 s[0:3], s[4:5], 0x18
	s_load_dwordx2 s[8:9], s[4:5], 0x28
	s_waitcnt lgkmcnt(0)
	s_cmp_eq_u64 s[0:1], 0
	s_cbranch_scc1 .LBB306_7
; %bb.6:
	s_ashr_i32 s7, s6, 31
	s_lshl_b64 s[6:7], s[6:7], 2
	s_add_u32 s0, s0, s6
	s_addc_u32 s1, s1, s7
	s_load_dword s0, s[0:1], 0x0
	s_waitcnt lgkmcnt(0)
	s_sub_i32 s6, s0, s18
.LBB306_7:
	s_load_dword s7, s[4:5], 0x4
	s_load_dwordx2 s[16:17], s[4:5], 0x50
	v_mul_u32_u24_e32 v1, 0xd7a, v0
	v_mov_b32_e32 v2, 19
	v_mul_lo_u16_sdwa v3, v1, v2 dst_sel:DWORD dst_unused:UNUSED_PAD src0_sel:WORD_1 src1_sel:DWORD
	s_waitcnt lgkmcnt(0)
	s_cmp_eq_u32 s7, 1
	s_cselect_b64 s[0:1], -1, 0
	s_cmp_lg_u32 s7, 1
	s_cselect_b64 s[20:21], -1, 0
	s_ashr_i32 s7, s6, 31
	s_lshl_b64 s[10:11], s[6:7], 3
	s_add_u32 s2, s2, s10
	s_addc_u32 s3, s3, s11
	s_add_u32 s7, s2, 8
	s_addc_u32 s13, s3, 0
	;; [unrolled: 2-line block ×3, first 2 shown]
	s_cmp_eq_u64 s[8:9], 0
	s_cselect_b32 s9, s13, s11
	s_cselect_b32 s8, s7, s10
	s_load_dwordx2 s[22:23], s[8:9], 0x0
	s_load_dwordx2 s[24:25], s[2:3], 0x0
	v_sub_u16_e32 v7, v0, v3
	v_mov_b32_e32 v6, 0
	s_waitcnt lgkmcnt(0)
	v_mov_b32_e32 v3, s22
	v_mov_b32_e32 v4, s23
	v_cmp_ge_i64_e32 vcc, s[24:25], v[3:4]
	s_cbranch_vccnz .LBB306_12
; %bb.8:
	v_mov_b32_e32 v3, 14
	s_load_dwordx4 s[8:11], s[4:5], 0x30
	s_load_dwordx2 s[2:3], s[4:5], 0x40
	s_sub_u32 s4, s22, s18
	v_mul_lo_u16_sdwa v3, v1, v3 dst_sel:DWORD dst_unused:UNUSED_PAD src0_sel:WORD_1 src1_sel:DWORD
	s_subb_u32 s5, s23, 0
	v_mul_lo_u16_sdwa v2, v3, v2 dst_sel:DWORD dst_unused:UNUSED_PAD src0_sel:BYTE_1 src1_sel:DWORD
	v_sub_u16_sdwa v1, v1, v2 dst_sel:DWORD dst_unused:UNUSED_PAD src0_sel:WORD_1 src1_sel:DWORD
	s_sub_u32 s22, s24, s18
	v_and_b32_e32 v1, 0xff, v1
	s_subb_u32 s23, s25, 0
	v_cndmask_b32_e64 v1, v7, v1, s[0:1]
	s_mul_i32 s0, s23, 0x2d2
	s_mul_hi_u32 s1, s22, 0x2d2
	s_add_i32 s1, s1, s0
	s_mul_i32 s0, s22, 0x2d2
	s_waitcnt lgkmcnt(0)
	s_add_u32 s0, s10, s0
	v_lshlrev_b32_e32 v2, 1, v0
	s_addc_u32 s1, s11, s1
	v_add_co_u32_e32 v2, vcc, s0, v2
	s_movk_i32 s0, 0xb6
	v_mov_b32_e32 v3, s1
	v_mul_u32_u24_sdwa v4, v0, s0 dst_sel:DWORD dst_unused:UNUSED_PAD src0_sel:WORD_0 src1_sel:DWORD
	v_addc_co_u32_e32 v3, vcc, 0, v3, vcc
	v_lshrrev_b32_e32 v8, 16, v4
	v_mov_b32_e32 v4, s25
	v_add_co_u32_e32 v5, vcc, s24, v8
	v_addc_co_u32_e32 v9, vcc, 0, v4, vcc
	v_subrev_co_u32_e32 v4, vcc, s18, v5
	v_subbrev_co_u32_e32 v5, vcc, 0, v9, vcc
	v_lshlrev_b64 v[4:5], 2, v[4:5]
	v_mov_b32_e32 v9, s9
	v_add_co_u32_e32 v4, vcc, s8, v4
	v_mov_b32_e32 v6, 0
	v_addc_co_u32_e32 v5, vcc, v9, v5, vcc
	s_branch .LBB306_10
.LBB306_9:                              ;   in Loop: Header=BB306_10 Depth=1
	s_or_b64 exec, exec, s[0:1]
	s_add_u32 s22, s22, 1
	v_mov_b32_e32 v10, s5
	s_addc_u32 s23, s23, 0
	v_mov_b32_e32 v9, s4
	v_cmp_lt_i64_e32 vcc, s[22:23], v[9:10]
	v_add_co_u32_e64 v4, s[0:1], 4, v4
	v_addc_co_u32_e64 v5, s[0:1], 0, v5, s[0:1]
	s_cbranch_vccz .LBB306_12
.LBB306_10:                             ; =>This Inner Loop Header: Depth=1
	v_mov_b32_e32 v10, s23
	v_add_co_u32_e32 v9, vcc, s22, v8
	v_addc_co_u32_e32 v10, vcc, 0, v10, vcc
	v_cmp_gt_i64_e32 vcc, s[4:5], v[9:10]
	s_and_saveexec_b64 s[0:1], vcc
	s_cbranch_execz .LBB306_9
; %bb.11:                               ;   in Loop: Header=BB306_10 Depth=1
	global_load_dword v9, v[4:5], off
	v_mov_b32_e32 v12, s3
	global_load_ushort v11, v[2:3], off
	s_waitcnt vmcnt(1)
	v_subrev_u32_e32 v9, s18, v9
	v_mad_u64_u32 v[9:10], s[8:9], v9, 19, v[1:2]
	v_ashrrev_i32_e32 v10, 31, v9
	v_lshlrev_b64 v[9:10], 1, v[9:10]
	v_add_co_u32_e32 v9, vcc, s2, v9
	v_addc_co_u32_e32 v10, vcc, v12, v10, vcc
	global_load_ushort v9, v[9:10], off
	v_add_co_u32_e32 v2, vcc, 0x2d2, v2
	v_addc_co_u32_e32 v3, vcc, 0, v3, vcc
	s_waitcnt vmcnt(0)
	v_fma_mix_f32 v6, v11, v9, v6 op_sel_hi:[1,1,0]
	s_branch .LBB306_9
.LBB306_12:
	v_lshlrev_b32_e32 v1, 2, v0
	s_and_b64 vcc, exec, s[20:21]
	ds_write_b32 v1, v6
	s_waitcnt lgkmcnt(0)
	s_barrier
	s_cbranch_vccz .LBB306_24
; %bb.13:
	v_cmp_gt_u16_e32 vcc, 3, v7
	s_and_saveexec_b64 s[0:1], vcc
	s_cbranch_execz .LBB306_15
; %bb.14:
	ds_read2_b32 v[2:3], v1 offset1:16
	s_waitcnt lgkmcnt(0)
	v_add_f32_e32 v2, v3, v2
	ds_write_b32 v1, v2
.LBB306_15:
	s_or_b64 exec, exec, s[0:1]
	v_cmp_gt_u16_e32 vcc, 8, v7
	s_waitcnt lgkmcnt(0)
	s_barrier
	s_and_saveexec_b64 s[0:1], vcc
	s_cbranch_execz .LBB306_17
; %bb.16:
	ds_read2_b32 v[2:3], v1 offset1:8
	s_waitcnt lgkmcnt(0)
	v_add_f32_e32 v2, v3, v2
	ds_write_b32 v1, v2
.LBB306_17:
	s_or_b64 exec, exec, s[0:1]
	v_cmp_gt_u16_e32 vcc, 4, v7
	s_waitcnt lgkmcnt(0)
	s_barrier
	;; [unrolled: 12-line block ×3, first 2 shown]
	s_and_saveexec_b64 s[0:1], vcc
	s_cbranch_execz .LBB306_21
; %bb.20:
	ds_read2_b32 v[2:3], v1 offset1:2
	s_waitcnt lgkmcnt(0)
	v_add_f32_e32 v2, v3, v2
	ds_write_b32 v1, v2
.LBB306_21:
	s_or_b64 exec, exec, s[0:1]
	v_cmp_gt_u32_e32 vcc, 19, v0
	v_mov_b32_e32 v2, v6
	s_waitcnt lgkmcnt(0)
	s_barrier
	s_and_saveexec_b64 s[0:1], vcc
	s_cbranch_execz .LBB306_23
; %bb.22:
	s_movk_i32 s2, 0x48
	v_mad_u32_u24 v2, v0, s2, v1
	ds_read2_b32 v[2:3], v2 offset1:1
	s_waitcnt lgkmcnt(0)
	v_add_f32_e32 v2, v2, v3
.LBB306_23:
	s_or_b64 exec, exec, s[0:1]
	s_branch .LBB306_36
.LBB306_24:
                                        ; implicit-def: $vgpr2
	s_cbranch_execz .LBB306_36
; %bb.25:
	v_cmp_gt_u32_e32 vcc, 57, v0
	s_and_saveexec_b64 s[0:1], vcc
	s_cbranch_execz .LBB306_27
; %bb.26:
	ds_read_b32 v2, v1 offset:1216
	ds_read_b32 v3, v1
	s_waitcnt lgkmcnt(0)
	v_add_f32_e32 v2, v2, v3
	ds_write_b32 v1, v2
.LBB306_27:
	s_or_b64 exec, exec, s[0:1]
	s_movk_i32 s0, 0x98
	v_cmp_gt_u32_e32 vcc, s0, v0
	s_waitcnt lgkmcnt(0)
	s_barrier
	s_and_saveexec_b64 s[0:1], vcc
	s_cbranch_execz .LBB306_29
; %bb.28:
	ds_read2_b32 v[2:3], v1 offset1:152
	s_waitcnt lgkmcnt(0)
	v_add_f32_e32 v2, v3, v2
	ds_write_b32 v1, v2
.LBB306_29:
	s_or_b64 exec, exec, s[0:1]
	s_movk_i32 s0, 0x4c
	v_cmp_gt_u32_e32 vcc, s0, v0
	s_waitcnt lgkmcnt(0)
	s_barrier
	s_and_saveexec_b64 s[0:1], vcc
	s_cbranch_execz .LBB306_31
; %bb.30:
	ds_read2_b32 v[2:3], v1 offset1:76
	s_waitcnt lgkmcnt(0)
	v_add_f32_e32 v2, v3, v2
	ds_write_b32 v1, v2
.LBB306_31:
	s_or_b64 exec, exec, s[0:1]
	v_cmp_gt_u32_e32 vcc, 38, v0
	s_waitcnt lgkmcnt(0)
	s_barrier
	s_and_saveexec_b64 s[0:1], vcc
	s_cbranch_execz .LBB306_33
; %bb.32:
	ds_read2_b32 v[2:3], v1 offset1:38
	s_waitcnt lgkmcnt(0)
	v_add_f32_e32 v2, v3, v2
	ds_write_b32 v1, v2
.LBB306_33:
	s_or_b64 exec, exec, s[0:1]
	v_cmp_gt_u32_e32 vcc, 19, v0
	s_waitcnt lgkmcnt(0)
	s_and_saveexec_b64 s[0:1], vcc
	s_cbranch_execz .LBB306_35
; %bb.34:
	ds_read2_b32 v[1:2], v1 offset1:19
	s_waitcnt lgkmcnt(0)
	v_add_f32_e32 v6, v1, v2
.LBB306_35:
	s_or_b64 exec, exec, s[0:1]
	v_mov_b32_e32 v2, v6
.LBB306_36:
	v_cmp_gt_u32_e32 vcc, 19, v0
	s_and_saveexec_b64 s[0:1], vcc
	s_cbranch_execz .LBB306_40
; %bb.37:
	v_cmp_eq_f32_e64 s[0:1], s12, 0
	s_and_b64 vcc, exec, s[0:1]
	v_mul_f32_e32 v1, s14, v2
	s_cbranch_vccz .LBB306_41
; %bb.38:
	v_mad_u64_u32 v[2:3], s[0:1], s6, 19, v[0:1]
	v_mov_b32_e32 v3, 0
	v_mov_b32_e32 v4, s17
	v_lshlrev_b64 v[2:3], 2, v[2:3]
	v_add_co_u32_e32 v2, vcc, s16, v2
	v_addc_co_u32_e32 v3, vcc, v4, v3, vcc
	global_store_dword v[2:3], v1, off
	s_cbranch_execnz .LBB306_40
.LBB306_39:
	v_mad_u64_u32 v[2:3], s[0:1], s6, 19, v[0:1]
	v_mov_b32_e32 v3, 0
	v_mov_b32_e32 v0, s17
	v_lshlrev_b64 v[2:3], 2, v[2:3]
	v_add_co_u32_e32 v2, vcc, s16, v2
	v_addc_co_u32_e32 v3, vcc, v0, v3, vcc
	global_load_dword v0, v[2:3], off
	s_waitcnt vmcnt(0)
	v_fmac_f32_e32 v1, s12, v0
	global_store_dword v[2:3], v1, off
.LBB306_40:
	s_endpgm
.LBB306_41:
	s_branch .LBB306_39
	.section	.rodata,"a",@progbits
	.p2align	6, 0x0
	.amdhsa_kernel _ZN9rocsparseL20bsrxmvn_17_32_kernelILj19EfliDF16_DF16_fEEvT2_20rocsparse_direction_NS_24const_host_device_scalarIT0_EES1_PKS1_PKT1_SA_S7_PKT3_PKT4_S5_PT5_21rocsparse_index_base_b
		.amdhsa_group_segment_fixed_size 1444
		.amdhsa_private_segment_fixed_size 0
		.amdhsa_kernarg_size 96
		.amdhsa_user_sgpr_count 6
		.amdhsa_user_sgpr_private_segment_buffer 1
		.amdhsa_user_sgpr_dispatch_ptr 0
		.amdhsa_user_sgpr_queue_ptr 0
		.amdhsa_user_sgpr_kernarg_segment_ptr 1
		.amdhsa_user_sgpr_dispatch_id 0
		.amdhsa_user_sgpr_flat_scratch_init 0
		.amdhsa_user_sgpr_private_segment_size 0
		.amdhsa_uses_dynamic_stack 0
		.amdhsa_system_sgpr_private_segment_wavefront_offset 0
		.amdhsa_system_sgpr_workgroup_id_x 1
		.amdhsa_system_sgpr_workgroup_id_y 0
		.amdhsa_system_sgpr_workgroup_id_z 0
		.amdhsa_system_sgpr_workgroup_info 0
		.amdhsa_system_vgpr_workitem_id 0
		.amdhsa_next_free_vgpr 13
		.amdhsa_next_free_sgpr 26
		.amdhsa_reserve_vcc 1
		.amdhsa_reserve_flat_scratch 0
		.amdhsa_float_round_mode_32 0
		.amdhsa_float_round_mode_16_64 0
		.amdhsa_float_denorm_mode_32 3
		.amdhsa_float_denorm_mode_16_64 3
		.amdhsa_dx10_clamp 1
		.amdhsa_ieee_mode 1
		.amdhsa_fp16_overflow 0
		.amdhsa_exception_fp_ieee_invalid_op 0
		.amdhsa_exception_fp_denorm_src 0
		.amdhsa_exception_fp_ieee_div_zero 0
		.amdhsa_exception_fp_ieee_overflow 0
		.amdhsa_exception_fp_ieee_underflow 0
		.amdhsa_exception_fp_ieee_inexact 0
		.amdhsa_exception_int_div_zero 0
	.end_amdhsa_kernel
	.section	.text._ZN9rocsparseL20bsrxmvn_17_32_kernelILj19EfliDF16_DF16_fEEvT2_20rocsparse_direction_NS_24const_host_device_scalarIT0_EES1_PKS1_PKT1_SA_S7_PKT3_PKT4_S5_PT5_21rocsparse_index_base_b,"axG",@progbits,_ZN9rocsparseL20bsrxmvn_17_32_kernelILj19EfliDF16_DF16_fEEvT2_20rocsparse_direction_NS_24const_host_device_scalarIT0_EES1_PKS1_PKT1_SA_S7_PKT3_PKT4_S5_PT5_21rocsparse_index_base_b,comdat
.Lfunc_end306:
	.size	_ZN9rocsparseL20bsrxmvn_17_32_kernelILj19EfliDF16_DF16_fEEvT2_20rocsparse_direction_NS_24const_host_device_scalarIT0_EES1_PKS1_PKT1_SA_S7_PKT3_PKT4_S5_PT5_21rocsparse_index_base_b, .Lfunc_end306-_ZN9rocsparseL20bsrxmvn_17_32_kernelILj19EfliDF16_DF16_fEEvT2_20rocsparse_direction_NS_24const_host_device_scalarIT0_EES1_PKS1_PKT1_SA_S7_PKT3_PKT4_S5_PT5_21rocsparse_index_base_b
                                        ; -- End function
	.set _ZN9rocsparseL20bsrxmvn_17_32_kernelILj19EfliDF16_DF16_fEEvT2_20rocsparse_direction_NS_24const_host_device_scalarIT0_EES1_PKS1_PKT1_SA_S7_PKT3_PKT4_S5_PT5_21rocsparse_index_base_b.num_vgpr, 13
	.set _ZN9rocsparseL20bsrxmvn_17_32_kernelILj19EfliDF16_DF16_fEEvT2_20rocsparse_direction_NS_24const_host_device_scalarIT0_EES1_PKS1_PKT1_SA_S7_PKT3_PKT4_S5_PT5_21rocsparse_index_base_b.num_agpr, 0
	.set _ZN9rocsparseL20bsrxmvn_17_32_kernelILj19EfliDF16_DF16_fEEvT2_20rocsparse_direction_NS_24const_host_device_scalarIT0_EES1_PKS1_PKT1_SA_S7_PKT3_PKT4_S5_PT5_21rocsparse_index_base_b.numbered_sgpr, 26
	.set _ZN9rocsparseL20bsrxmvn_17_32_kernelILj19EfliDF16_DF16_fEEvT2_20rocsparse_direction_NS_24const_host_device_scalarIT0_EES1_PKS1_PKT1_SA_S7_PKT3_PKT4_S5_PT5_21rocsparse_index_base_b.num_named_barrier, 0
	.set _ZN9rocsparseL20bsrxmvn_17_32_kernelILj19EfliDF16_DF16_fEEvT2_20rocsparse_direction_NS_24const_host_device_scalarIT0_EES1_PKS1_PKT1_SA_S7_PKT3_PKT4_S5_PT5_21rocsparse_index_base_b.private_seg_size, 0
	.set _ZN9rocsparseL20bsrxmvn_17_32_kernelILj19EfliDF16_DF16_fEEvT2_20rocsparse_direction_NS_24const_host_device_scalarIT0_EES1_PKS1_PKT1_SA_S7_PKT3_PKT4_S5_PT5_21rocsparse_index_base_b.uses_vcc, 1
	.set _ZN9rocsparseL20bsrxmvn_17_32_kernelILj19EfliDF16_DF16_fEEvT2_20rocsparse_direction_NS_24const_host_device_scalarIT0_EES1_PKS1_PKT1_SA_S7_PKT3_PKT4_S5_PT5_21rocsparse_index_base_b.uses_flat_scratch, 0
	.set _ZN9rocsparseL20bsrxmvn_17_32_kernelILj19EfliDF16_DF16_fEEvT2_20rocsparse_direction_NS_24const_host_device_scalarIT0_EES1_PKS1_PKT1_SA_S7_PKT3_PKT4_S5_PT5_21rocsparse_index_base_b.has_dyn_sized_stack, 0
	.set _ZN9rocsparseL20bsrxmvn_17_32_kernelILj19EfliDF16_DF16_fEEvT2_20rocsparse_direction_NS_24const_host_device_scalarIT0_EES1_PKS1_PKT1_SA_S7_PKT3_PKT4_S5_PT5_21rocsparse_index_base_b.has_recursion, 0
	.set _ZN9rocsparseL20bsrxmvn_17_32_kernelILj19EfliDF16_DF16_fEEvT2_20rocsparse_direction_NS_24const_host_device_scalarIT0_EES1_PKS1_PKT1_SA_S7_PKT3_PKT4_S5_PT5_21rocsparse_index_base_b.has_indirect_call, 0
	.section	.AMDGPU.csdata,"",@progbits
; Kernel info:
; codeLenInByte = 1320
; TotalNumSgprs: 30
; NumVgprs: 13
; ScratchSize: 0
; MemoryBound: 0
; FloatMode: 240
; IeeeMode: 1
; LDSByteSize: 1444 bytes/workgroup (compile time only)
; SGPRBlocks: 3
; VGPRBlocks: 3
; NumSGPRsForWavesPerEU: 30
; NumVGPRsForWavesPerEU: 13
; Occupancy: 10
; WaveLimiterHint : 1
; COMPUTE_PGM_RSRC2:SCRATCH_EN: 0
; COMPUTE_PGM_RSRC2:USER_SGPR: 6
; COMPUTE_PGM_RSRC2:TRAP_HANDLER: 0
; COMPUTE_PGM_RSRC2:TGID_X_EN: 1
; COMPUTE_PGM_RSRC2:TGID_Y_EN: 0
; COMPUTE_PGM_RSRC2:TGID_Z_EN: 0
; COMPUTE_PGM_RSRC2:TIDIG_COMP_CNT: 0
	.section	.text._ZN9rocsparseL20bsrxmvn_17_32_kernelILj20EfliDF16_DF16_fEEvT2_20rocsparse_direction_NS_24const_host_device_scalarIT0_EES1_PKS1_PKT1_SA_S7_PKT3_PKT4_S5_PT5_21rocsparse_index_base_b,"axG",@progbits,_ZN9rocsparseL20bsrxmvn_17_32_kernelILj20EfliDF16_DF16_fEEvT2_20rocsparse_direction_NS_24const_host_device_scalarIT0_EES1_PKS1_PKT1_SA_S7_PKT3_PKT4_S5_PT5_21rocsparse_index_base_b,comdat
	.globl	_ZN9rocsparseL20bsrxmvn_17_32_kernelILj20EfliDF16_DF16_fEEvT2_20rocsparse_direction_NS_24const_host_device_scalarIT0_EES1_PKS1_PKT1_SA_S7_PKT3_PKT4_S5_PT5_21rocsparse_index_base_b ; -- Begin function _ZN9rocsparseL20bsrxmvn_17_32_kernelILj20EfliDF16_DF16_fEEvT2_20rocsparse_direction_NS_24const_host_device_scalarIT0_EES1_PKS1_PKT1_SA_S7_PKT3_PKT4_S5_PT5_21rocsparse_index_base_b
	.p2align	8
	.type	_ZN9rocsparseL20bsrxmvn_17_32_kernelILj20EfliDF16_DF16_fEEvT2_20rocsparse_direction_NS_24const_host_device_scalarIT0_EES1_PKS1_PKT1_SA_S7_PKT3_PKT4_S5_PT5_21rocsparse_index_base_b,@function
_ZN9rocsparseL20bsrxmvn_17_32_kernelILj20EfliDF16_DF16_fEEvT2_20rocsparse_direction_NS_24const_host_device_scalarIT0_EES1_PKS1_PKT1_SA_S7_PKT3_PKT4_S5_PT5_21rocsparse_index_base_b: ; @_ZN9rocsparseL20bsrxmvn_17_32_kernelILj20EfliDF16_DF16_fEEvT2_20rocsparse_direction_NS_24const_host_device_scalarIT0_EES1_PKS1_PKT1_SA_S7_PKT3_PKT4_S5_PT5_21rocsparse_index_base_b
; %bb.0:
	s_load_dwordx2 s[18:19], s[4:5], 0x58
	s_load_dwordx2 s[14:15], s[4:5], 0x8
	;; [unrolled: 1-line block ×3, first 2 shown]
	s_waitcnt lgkmcnt(0)
	s_bitcmp1_b32 s19, 0
	s_cselect_b64 s[2:3], -1, 0
	s_xor_b64 s[0:1], s[2:3], -1
	s_and_b64 vcc, exec, s[2:3]
	s_cbranch_vccnz .LBB307_2
; %bb.1:
	s_load_dword s14, s[14:15], 0x0
.LBB307_2:
	s_andn2_b64 vcc, exec, s[0:1]
	s_cbranch_vccnz .LBB307_4
; %bb.3:
	s_load_dword s12, s[12:13], 0x0
.LBB307_4:
	s_waitcnt lgkmcnt(0)
	v_cmp_neq_f32_e64 s[0:1], s14, 0
	v_cmp_neq_f32_e64 s[2:3], s12, 1.0
	s_or_b64 s[0:1], s[0:1], s[2:3]
	s_andn2_b64 vcc, exec, s[0:1]
	s_cbranch_vccnz .LBB307_40
; %bb.5:
	s_load_dwordx4 s[0:3], s[4:5], 0x18
	s_load_dwordx2 s[8:9], s[4:5], 0x28
	s_waitcnt lgkmcnt(0)
	s_cmp_eq_u64 s[0:1], 0
	s_cbranch_scc1 .LBB307_7
; %bb.6:
	s_ashr_i32 s7, s6, 31
	s_lshl_b64 s[6:7], s[6:7], 2
	s_add_u32 s0, s0, s6
	s_addc_u32 s1, s1, s7
	s_load_dword s0, s[0:1], 0x0
	s_waitcnt lgkmcnt(0)
	s_sub_i32 s6, s0, s18
.LBB307_7:
	s_load_dword s7, s[4:5], 0x4
	s_load_dwordx2 s[16:17], s[4:5], 0x50
	v_mul_u32_u24_e32 v1, 0xccd, v0
	v_mov_b32_e32 v2, 20
	v_mul_lo_u16_sdwa v3, v1, v2 dst_sel:DWORD dst_unused:UNUSED_PAD src0_sel:WORD_1 src1_sel:DWORD
	s_waitcnt lgkmcnt(0)
	s_cmp_eq_u32 s7, 1
	s_cselect_b64 s[0:1], -1, 0
	s_cmp_lg_u32 s7, 1
	s_cselect_b64 s[20:21], -1, 0
	s_ashr_i32 s7, s6, 31
	s_lshl_b64 s[10:11], s[6:7], 3
	s_add_u32 s2, s2, s10
	s_addc_u32 s3, s3, s11
	s_add_u32 s7, s2, 8
	s_addc_u32 s13, s3, 0
	;; [unrolled: 2-line block ×3, first 2 shown]
	s_cmp_eq_u64 s[8:9], 0
	s_cselect_b32 s9, s13, s11
	s_cselect_b32 s8, s7, s10
	s_load_dwordx2 s[22:23], s[8:9], 0x0
	s_load_dwordx2 s[24:25], s[2:3], 0x0
	v_sub_u16_e32 v7, v0, v3
	v_mov_b32_e32 v6, 0
	s_waitcnt lgkmcnt(0)
	v_mov_b32_e32 v3, s22
	v_mov_b32_e32 v4, s23
	v_cmp_ge_i64_e32 vcc, s[24:25], v[3:4]
	s_cbranch_vccnz .LBB307_12
; %bb.8:
	v_mov_b32_e32 v3, 13
	s_load_dwordx4 s[8:11], s[4:5], 0x30
	s_load_dwordx2 s[2:3], s[4:5], 0x40
	s_sub_u32 s4, s22, s18
	v_mul_lo_u16_sdwa v3, v1, v3 dst_sel:DWORD dst_unused:UNUSED_PAD src0_sel:WORD_1 src1_sel:DWORD
	s_subb_u32 s5, s23, 0
	v_mul_lo_u16_sdwa v2, v3, v2 dst_sel:DWORD dst_unused:UNUSED_PAD src0_sel:BYTE_1 src1_sel:DWORD
	v_sub_u16_sdwa v1, v1, v2 dst_sel:DWORD dst_unused:UNUSED_PAD src0_sel:WORD_1 src1_sel:DWORD
	s_sub_u32 s22, s24, s18
	v_and_b32_e32 v1, 0xff, v1
	s_subb_u32 s23, s25, 0
	v_cndmask_b32_e64 v1, v7, v1, s[0:1]
	s_mul_i32 s0, s23, 0x320
	s_mul_hi_u32 s1, s22, 0x320
	s_add_i32 s1, s1, s0
	s_mul_i32 s0, s22, 0x320
	s_waitcnt lgkmcnt(0)
	s_add_u32 s0, s10, s0
	v_lshlrev_b32_e32 v2, 1, v0
	s_addc_u32 s1, s11, s1
	v_add_co_u32_e32 v2, vcc, s0, v2
	s_movk_i32 s0, 0xa4
	v_mov_b32_e32 v3, s1
	v_mul_u32_u24_sdwa v4, v0, s0 dst_sel:DWORD dst_unused:UNUSED_PAD src0_sel:WORD_0 src1_sel:DWORD
	v_addc_co_u32_e32 v3, vcc, 0, v3, vcc
	v_lshrrev_b32_e32 v8, 16, v4
	v_mov_b32_e32 v4, s25
	v_add_co_u32_e32 v5, vcc, s24, v8
	v_addc_co_u32_e32 v9, vcc, 0, v4, vcc
	v_subrev_co_u32_e32 v4, vcc, s18, v5
	v_subbrev_co_u32_e32 v5, vcc, 0, v9, vcc
	v_lshlrev_b64 v[4:5], 2, v[4:5]
	v_mov_b32_e32 v9, s9
	v_add_co_u32_e32 v4, vcc, s8, v4
	v_mov_b32_e32 v6, 0
	v_addc_co_u32_e32 v5, vcc, v9, v5, vcc
	s_branch .LBB307_10
.LBB307_9:                              ;   in Loop: Header=BB307_10 Depth=1
	s_or_b64 exec, exec, s[0:1]
	s_add_u32 s22, s22, 1
	v_mov_b32_e32 v10, s5
	s_addc_u32 s23, s23, 0
	v_mov_b32_e32 v9, s4
	v_cmp_lt_i64_e32 vcc, s[22:23], v[9:10]
	v_add_co_u32_e64 v4, s[0:1], 4, v4
	v_addc_co_u32_e64 v5, s[0:1], 0, v5, s[0:1]
	s_cbranch_vccz .LBB307_12
.LBB307_10:                             ; =>This Inner Loop Header: Depth=1
	v_mov_b32_e32 v10, s23
	v_add_co_u32_e32 v9, vcc, s22, v8
	v_addc_co_u32_e32 v10, vcc, 0, v10, vcc
	v_cmp_gt_i64_e32 vcc, s[4:5], v[9:10]
	s_and_saveexec_b64 s[0:1], vcc
	s_cbranch_execz .LBB307_9
; %bb.11:                               ;   in Loop: Header=BB307_10 Depth=1
	global_load_dword v9, v[4:5], off
	v_mov_b32_e32 v12, s3
	global_load_ushort v11, v[2:3], off
	s_waitcnt vmcnt(1)
	v_subrev_u32_e32 v9, s18, v9
	v_mad_u64_u32 v[9:10], s[8:9], v9, 20, v[1:2]
	v_ashrrev_i32_e32 v10, 31, v9
	v_lshlrev_b64 v[9:10], 1, v[9:10]
	v_add_co_u32_e32 v9, vcc, s2, v9
	v_addc_co_u32_e32 v10, vcc, v12, v10, vcc
	global_load_ushort v9, v[9:10], off
	v_add_co_u32_e32 v2, vcc, 0x320, v2
	v_addc_co_u32_e32 v3, vcc, 0, v3, vcc
	s_waitcnt vmcnt(0)
	v_fma_mix_f32 v6, v11, v9, v6 op_sel_hi:[1,1,0]
	s_branch .LBB307_9
.LBB307_12:
	v_lshlrev_b32_e32 v1, 2, v0
	s_and_b64 vcc, exec, s[20:21]
	ds_write_b32 v1, v6
	s_waitcnt lgkmcnt(0)
	s_barrier
	s_cbranch_vccz .LBB307_24
; %bb.13:
	v_cmp_gt_u16_e32 vcc, 4, v7
	s_and_saveexec_b64 s[0:1], vcc
	s_cbranch_execz .LBB307_15
; %bb.14:
	ds_read2_b32 v[2:3], v1 offset1:16
	s_waitcnt lgkmcnt(0)
	v_add_f32_e32 v2, v3, v2
	ds_write_b32 v1, v2
.LBB307_15:
	s_or_b64 exec, exec, s[0:1]
	v_cmp_gt_u16_e64 s[0:1], 8, v7
	s_waitcnt lgkmcnt(0)
	s_barrier
	s_and_saveexec_b64 s[2:3], s[0:1]
	s_cbranch_execz .LBB307_17
; %bb.16:
	ds_read2_b32 v[2:3], v1 offset1:8
	s_waitcnt lgkmcnt(0)
	v_add_f32_e32 v2, v3, v2
	ds_write_b32 v1, v2
.LBB307_17:
	s_or_b64 exec, exec, s[2:3]
	s_waitcnt lgkmcnt(0)
	s_barrier
	s_and_saveexec_b64 s[0:1], vcc
	s_cbranch_execz .LBB307_19
; %bb.18:
	ds_read2_b32 v[2:3], v1 offset1:4
	s_waitcnt lgkmcnt(0)
	v_add_f32_e32 v2, v3, v2
	ds_write_b32 v1, v2
.LBB307_19:
	s_or_b64 exec, exec, s[0:1]
	v_cmp_gt_u16_e32 vcc, 2, v7
	s_waitcnt lgkmcnt(0)
	s_barrier
	s_and_saveexec_b64 s[0:1], vcc
	s_cbranch_execz .LBB307_21
; %bb.20:
	ds_read2_b32 v[2:3], v1 offset1:2
	s_waitcnt lgkmcnt(0)
	v_add_f32_e32 v2, v3, v2
	ds_write_b32 v1, v2
.LBB307_21:
	s_or_b64 exec, exec, s[0:1]
	v_cmp_gt_u32_e32 vcc, 20, v0
	v_mov_b32_e32 v2, v6
	s_waitcnt lgkmcnt(0)
	s_barrier
	s_and_saveexec_b64 s[0:1], vcc
	s_cbranch_execz .LBB307_23
; %bb.22:
	s_movk_i32 s2, 0x4c
	v_mad_u32_u24 v2, v0, s2, v1
	ds_read_b64 v[2:3], v2
	s_waitcnt lgkmcnt(0)
	v_add_f32_e32 v2, v2, v3
.LBB307_23:
	s_or_b64 exec, exec, s[0:1]
	s_branch .LBB307_36
.LBB307_24:
                                        ; implicit-def: $vgpr2
	s_cbranch_execz .LBB307_36
; %bb.25:
	s_movk_i32 s0, 0x50
	v_cmp_gt_u32_e32 vcc, s0, v0
	s_and_saveexec_b64 s[0:1], vcc
	s_cbranch_execz .LBB307_27
; %bb.26:
	ds_read2st64_b32 v[2:3], v1 offset1:5
	s_waitcnt lgkmcnt(0)
	v_add_f32_e32 v2, v3, v2
	ds_write_b32 v1, v2
.LBB307_27:
	s_or_b64 exec, exec, s[0:1]
	s_movk_i32 s0, 0xa0
	v_cmp_gt_u32_e64 s[0:1], s0, v0
	s_waitcnt lgkmcnt(0)
	s_barrier
	s_and_saveexec_b64 s[2:3], s[0:1]
	s_cbranch_execz .LBB307_29
; %bb.28:
	ds_read2_b32 v[2:3], v1 offset1:160
	s_waitcnt lgkmcnt(0)
	v_add_f32_e32 v2, v3, v2
	ds_write_b32 v1, v2
.LBB307_29:
	s_or_b64 exec, exec, s[2:3]
	s_waitcnt lgkmcnt(0)
	s_barrier
	s_and_saveexec_b64 s[0:1], vcc
	s_cbranch_execz .LBB307_31
; %bb.30:
	ds_read2_b32 v[2:3], v1 offset1:80
	s_waitcnt lgkmcnt(0)
	v_add_f32_e32 v2, v3, v2
	ds_write_b32 v1, v2
.LBB307_31:
	s_or_b64 exec, exec, s[0:1]
	v_cmp_gt_u32_e32 vcc, 40, v0
	s_waitcnt lgkmcnt(0)
	s_barrier
	s_and_saveexec_b64 s[0:1], vcc
	s_cbranch_execz .LBB307_33
; %bb.32:
	ds_read2_b32 v[2:3], v1 offset1:40
	s_waitcnt lgkmcnt(0)
	v_add_f32_e32 v2, v3, v2
	ds_write_b32 v1, v2
.LBB307_33:
	s_or_b64 exec, exec, s[0:1]
	v_cmp_gt_u32_e32 vcc, 20, v0
	s_waitcnt lgkmcnt(0)
	s_and_saveexec_b64 s[0:1], vcc
	s_cbranch_execz .LBB307_35
; %bb.34:
	ds_read2_b32 v[1:2], v1 offset1:20
	s_waitcnt lgkmcnt(0)
	v_add_f32_e32 v6, v1, v2
.LBB307_35:
	s_or_b64 exec, exec, s[0:1]
	v_mov_b32_e32 v2, v6
.LBB307_36:
	v_cmp_gt_u32_e32 vcc, 20, v0
	s_and_saveexec_b64 s[0:1], vcc
	s_cbranch_execz .LBB307_40
; %bb.37:
	v_cmp_eq_f32_e64 s[0:1], s12, 0
	s_and_b64 vcc, exec, s[0:1]
	v_mul_f32_e32 v1, s14, v2
	s_cbranch_vccz .LBB307_41
; %bb.38:
	v_mad_u64_u32 v[2:3], s[0:1], s6, 20, v[0:1]
	v_mov_b32_e32 v3, 0
	v_mov_b32_e32 v4, s17
	v_lshlrev_b64 v[2:3], 2, v[2:3]
	v_add_co_u32_e32 v2, vcc, s16, v2
	v_addc_co_u32_e32 v3, vcc, v4, v3, vcc
	global_store_dword v[2:3], v1, off
	s_cbranch_execnz .LBB307_40
.LBB307_39:
	v_mad_u64_u32 v[2:3], s[0:1], s6, 20, v[0:1]
	v_mov_b32_e32 v3, 0
	v_mov_b32_e32 v0, s17
	v_lshlrev_b64 v[2:3], 2, v[2:3]
	v_add_co_u32_e32 v2, vcc, s16, v2
	v_addc_co_u32_e32 v3, vcc, v0, v3, vcc
	global_load_dword v0, v[2:3], off
	s_waitcnt vmcnt(0)
	v_fmac_f32_e32 v1, s12, v0
	global_store_dword v[2:3], v1, off
.LBB307_40:
	s_endpgm
.LBB307_41:
	s_branch .LBB307_39
	.section	.rodata,"a",@progbits
	.p2align	6, 0x0
	.amdhsa_kernel _ZN9rocsparseL20bsrxmvn_17_32_kernelILj20EfliDF16_DF16_fEEvT2_20rocsparse_direction_NS_24const_host_device_scalarIT0_EES1_PKS1_PKT1_SA_S7_PKT3_PKT4_S5_PT5_21rocsparse_index_base_b
		.amdhsa_group_segment_fixed_size 1600
		.amdhsa_private_segment_fixed_size 0
		.amdhsa_kernarg_size 96
		.amdhsa_user_sgpr_count 6
		.amdhsa_user_sgpr_private_segment_buffer 1
		.amdhsa_user_sgpr_dispatch_ptr 0
		.amdhsa_user_sgpr_queue_ptr 0
		.amdhsa_user_sgpr_kernarg_segment_ptr 1
		.amdhsa_user_sgpr_dispatch_id 0
		.amdhsa_user_sgpr_flat_scratch_init 0
		.amdhsa_user_sgpr_private_segment_size 0
		.amdhsa_uses_dynamic_stack 0
		.amdhsa_system_sgpr_private_segment_wavefront_offset 0
		.amdhsa_system_sgpr_workgroup_id_x 1
		.amdhsa_system_sgpr_workgroup_id_y 0
		.amdhsa_system_sgpr_workgroup_id_z 0
		.amdhsa_system_sgpr_workgroup_info 0
		.amdhsa_system_vgpr_workitem_id 0
		.amdhsa_next_free_vgpr 13
		.amdhsa_next_free_sgpr 26
		.amdhsa_reserve_vcc 1
		.amdhsa_reserve_flat_scratch 0
		.amdhsa_float_round_mode_32 0
		.amdhsa_float_round_mode_16_64 0
		.amdhsa_float_denorm_mode_32 3
		.amdhsa_float_denorm_mode_16_64 3
		.amdhsa_dx10_clamp 1
		.amdhsa_ieee_mode 1
		.amdhsa_fp16_overflow 0
		.amdhsa_exception_fp_ieee_invalid_op 0
		.amdhsa_exception_fp_denorm_src 0
		.amdhsa_exception_fp_ieee_div_zero 0
		.amdhsa_exception_fp_ieee_overflow 0
		.amdhsa_exception_fp_ieee_underflow 0
		.amdhsa_exception_fp_ieee_inexact 0
		.amdhsa_exception_int_div_zero 0
	.end_amdhsa_kernel
	.section	.text._ZN9rocsparseL20bsrxmvn_17_32_kernelILj20EfliDF16_DF16_fEEvT2_20rocsparse_direction_NS_24const_host_device_scalarIT0_EES1_PKS1_PKT1_SA_S7_PKT3_PKT4_S5_PT5_21rocsparse_index_base_b,"axG",@progbits,_ZN9rocsparseL20bsrxmvn_17_32_kernelILj20EfliDF16_DF16_fEEvT2_20rocsparse_direction_NS_24const_host_device_scalarIT0_EES1_PKS1_PKT1_SA_S7_PKT3_PKT4_S5_PT5_21rocsparse_index_base_b,comdat
.Lfunc_end307:
	.size	_ZN9rocsparseL20bsrxmvn_17_32_kernelILj20EfliDF16_DF16_fEEvT2_20rocsparse_direction_NS_24const_host_device_scalarIT0_EES1_PKS1_PKT1_SA_S7_PKT3_PKT4_S5_PT5_21rocsparse_index_base_b, .Lfunc_end307-_ZN9rocsparseL20bsrxmvn_17_32_kernelILj20EfliDF16_DF16_fEEvT2_20rocsparse_direction_NS_24const_host_device_scalarIT0_EES1_PKS1_PKT1_SA_S7_PKT3_PKT4_S5_PT5_21rocsparse_index_base_b
                                        ; -- End function
	.set _ZN9rocsparseL20bsrxmvn_17_32_kernelILj20EfliDF16_DF16_fEEvT2_20rocsparse_direction_NS_24const_host_device_scalarIT0_EES1_PKS1_PKT1_SA_S7_PKT3_PKT4_S5_PT5_21rocsparse_index_base_b.num_vgpr, 13
	.set _ZN9rocsparseL20bsrxmvn_17_32_kernelILj20EfliDF16_DF16_fEEvT2_20rocsparse_direction_NS_24const_host_device_scalarIT0_EES1_PKS1_PKT1_SA_S7_PKT3_PKT4_S5_PT5_21rocsparse_index_base_b.num_agpr, 0
	.set _ZN9rocsparseL20bsrxmvn_17_32_kernelILj20EfliDF16_DF16_fEEvT2_20rocsparse_direction_NS_24const_host_device_scalarIT0_EES1_PKS1_PKT1_SA_S7_PKT3_PKT4_S5_PT5_21rocsparse_index_base_b.numbered_sgpr, 26
	.set _ZN9rocsparseL20bsrxmvn_17_32_kernelILj20EfliDF16_DF16_fEEvT2_20rocsparse_direction_NS_24const_host_device_scalarIT0_EES1_PKS1_PKT1_SA_S7_PKT3_PKT4_S5_PT5_21rocsparse_index_base_b.num_named_barrier, 0
	.set _ZN9rocsparseL20bsrxmvn_17_32_kernelILj20EfliDF16_DF16_fEEvT2_20rocsparse_direction_NS_24const_host_device_scalarIT0_EES1_PKS1_PKT1_SA_S7_PKT3_PKT4_S5_PT5_21rocsparse_index_base_b.private_seg_size, 0
	.set _ZN9rocsparseL20bsrxmvn_17_32_kernelILj20EfliDF16_DF16_fEEvT2_20rocsparse_direction_NS_24const_host_device_scalarIT0_EES1_PKS1_PKT1_SA_S7_PKT3_PKT4_S5_PT5_21rocsparse_index_base_b.uses_vcc, 1
	.set _ZN9rocsparseL20bsrxmvn_17_32_kernelILj20EfliDF16_DF16_fEEvT2_20rocsparse_direction_NS_24const_host_device_scalarIT0_EES1_PKS1_PKT1_SA_S7_PKT3_PKT4_S5_PT5_21rocsparse_index_base_b.uses_flat_scratch, 0
	.set _ZN9rocsparseL20bsrxmvn_17_32_kernelILj20EfliDF16_DF16_fEEvT2_20rocsparse_direction_NS_24const_host_device_scalarIT0_EES1_PKS1_PKT1_SA_S7_PKT3_PKT4_S5_PT5_21rocsparse_index_base_b.has_dyn_sized_stack, 0
	.set _ZN9rocsparseL20bsrxmvn_17_32_kernelILj20EfliDF16_DF16_fEEvT2_20rocsparse_direction_NS_24const_host_device_scalarIT0_EES1_PKS1_PKT1_SA_S7_PKT3_PKT4_S5_PT5_21rocsparse_index_base_b.has_recursion, 0
	.set _ZN9rocsparseL20bsrxmvn_17_32_kernelILj20EfliDF16_DF16_fEEvT2_20rocsparse_direction_NS_24const_host_device_scalarIT0_EES1_PKS1_PKT1_SA_S7_PKT3_PKT4_S5_PT5_21rocsparse_index_base_b.has_indirect_call, 0
	.section	.AMDGPU.csdata,"",@progbits
; Kernel info:
; codeLenInByte = 1312
; TotalNumSgprs: 30
; NumVgprs: 13
; ScratchSize: 0
; MemoryBound: 0
; FloatMode: 240
; IeeeMode: 1
; LDSByteSize: 1600 bytes/workgroup (compile time only)
; SGPRBlocks: 3
; VGPRBlocks: 3
; NumSGPRsForWavesPerEU: 30
; NumVGPRsForWavesPerEU: 13
; Occupancy: 10
; WaveLimiterHint : 1
; COMPUTE_PGM_RSRC2:SCRATCH_EN: 0
; COMPUTE_PGM_RSRC2:USER_SGPR: 6
; COMPUTE_PGM_RSRC2:TRAP_HANDLER: 0
; COMPUTE_PGM_RSRC2:TGID_X_EN: 1
; COMPUTE_PGM_RSRC2:TGID_Y_EN: 0
; COMPUTE_PGM_RSRC2:TGID_Z_EN: 0
; COMPUTE_PGM_RSRC2:TIDIG_COMP_CNT: 0
	.section	.text._ZN9rocsparseL20bsrxmvn_17_32_kernelILj21EfliDF16_DF16_fEEvT2_20rocsparse_direction_NS_24const_host_device_scalarIT0_EES1_PKS1_PKT1_SA_S7_PKT3_PKT4_S5_PT5_21rocsparse_index_base_b,"axG",@progbits,_ZN9rocsparseL20bsrxmvn_17_32_kernelILj21EfliDF16_DF16_fEEvT2_20rocsparse_direction_NS_24const_host_device_scalarIT0_EES1_PKS1_PKT1_SA_S7_PKT3_PKT4_S5_PT5_21rocsparse_index_base_b,comdat
	.globl	_ZN9rocsparseL20bsrxmvn_17_32_kernelILj21EfliDF16_DF16_fEEvT2_20rocsparse_direction_NS_24const_host_device_scalarIT0_EES1_PKS1_PKT1_SA_S7_PKT3_PKT4_S5_PT5_21rocsparse_index_base_b ; -- Begin function _ZN9rocsparseL20bsrxmvn_17_32_kernelILj21EfliDF16_DF16_fEEvT2_20rocsparse_direction_NS_24const_host_device_scalarIT0_EES1_PKS1_PKT1_SA_S7_PKT3_PKT4_S5_PT5_21rocsparse_index_base_b
	.p2align	8
	.type	_ZN9rocsparseL20bsrxmvn_17_32_kernelILj21EfliDF16_DF16_fEEvT2_20rocsparse_direction_NS_24const_host_device_scalarIT0_EES1_PKS1_PKT1_SA_S7_PKT3_PKT4_S5_PT5_21rocsparse_index_base_b,@function
_ZN9rocsparseL20bsrxmvn_17_32_kernelILj21EfliDF16_DF16_fEEvT2_20rocsparse_direction_NS_24const_host_device_scalarIT0_EES1_PKS1_PKT1_SA_S7_PKT3_PKT4_S5_PT5_21rocsparse_index_base_b: ; @_ZN9rocsparseL20bsrxmvn_17_32_kernelILj21EfliDF16_DF16_fEEvT2_20rocsparse_direction_NS_24const_host_device_scalarIT0_EES1_PKS1_PKT1_SA_S7_PKT3_PKT4_S5_PT5_21rocsparse_index_base_b
; %bb.0:
	s_load_dwordx2 s[18:19], s[4:5], 0x58
	s_load_dwordx2 s[14:15], s[4:5], 0x8
	;; [unrolled: 1-line block ×3, first 2 shown]
	s_waitcnt lgkmcnt(0)
	s_bitcmp1_b32 s19, 0
	s_cselect_b64 s[2:3], -1, 0
	s_xor_b64 s[0:1], s[2:3], -1
	s_and_b64 vcc, exec, s[2:3]
	s_cbranch_vccnz .LBB308_2
; %bb.1:
	s_load_dword s14, s[14:15], 0x0
.LBB308_2:
	s_andn2_b64 vcc, exec, s[0:1]
	s_cbranch_vccnz .LBB308_4
; %bb.3:
	s_load_dword s12, s[12:13], 0x0
.LBB308_4:
	s_waitcnt lgkmcnt(0)
	v_cmp_neq_f32_e64 s[0:1], s14, 0
	v_cmp_neq_f32_e64 s[2:3], s12, 1.0
	s_or_b64 s[0:1], s[0:1], s[2:3]
	s_andn2_b64 vcc, exec, s[0:1]
	s_cbranch_vccnz .LBB308_40
; %bb.5:
	s_load_dwordx4 s[0:3], s[4:5], 0x18
	s_load_dwordx2 s[8:9], s[4:5], 0x28
	s_waitcnt lgkmcnt(0)
	s_cmp_eq_u64 s[0:1], 0
	s_cbranch_scc1 .LBB308_7
; %bb.6:
	s_ashr_i32 s7, s6, 31
	s_lshl_b64 s[6:7], s[6:7], 2
	s_add_u32 s0, s0, s6
	s_addc_u32 s1, s1, s7
	s_load_dword s0, s[0:1], 0x0
	s_waitcnt lgkmcnt(0)
	s_sub_i32 s6, s0, s18
.LBB308_7:
	s_load_dword s7, s[4:5], 0x4
	s_load_dwordx2 s[16:17], s[4:5], 0x50
	v_mul_u32_u24_e32 v1, 0xc31, v0
	v_mov_b32_e32 v2, 21
	v_mul_lo_u16_sdwa v2, v1, v2 dst_sel:DWORD dst_unused:UNUSED_PAD src0_sel:WORD_1 src1_sel:DWORD
	s_waitcnt lgkmcnt(0)
	s_cmp_eq_u32 s7, 1
	s_cselect_b64 s[0:1], -1, 0
	s_cmp_lg_u32 s7, 1
	s_cselect_b64 s[20:21], -1, 0
	s_ashr_i32 s7, s6, 31
	s_lshl_b64 s[10:11], s[6:7], 3
	s_add_u32 s2, s2, s10
	s_addc_u32 s3, s3, s11
	s_add_u32 s7, s2, 8
	s_addc_u32 s13, s3, 0
	;; [unrolled: 2-line block ×3, first 2 shown]
	s_cmp_eq_u64 s[8:9], 0
	s_cselect_b32 s9, s13, s11
	s_cselect_b32 s8, s7, s10
	s_load_dwordx2 s[22:23], s[8:9], 0x0
	s_load_dwordx2 s[24:25], s[2:3], 0x0
	v_sub_u16_e32 v7, v0, v2
	v_mov_b32_e32 v6, 0
	s_waitcnt lgkmcnt(0)
	v_mov_b32_e32 v2, s22
	v_mov_b32_e32 v3, s23
	v_cmp_ge_i64_e32 vcc, s[24:25], v[2:3]
	s_cbranch_vccnz .LBB308_12
; %bb.8:
	v_mov_b32_e32 v2, 25
	v_mul_lo_u16_sdwa v2, v1, v2 dst_sel:DWORD dst_unused:UNUSED_PAD src0_sel:WORD_1 src1_sel:DWORD
	s_load_dwordx4 s[8:11], s[4:5], 0x30
	s_load_dwordx2 s[2:3], s[4:5], 0x40
	s_sub_u32 s4, s22, s18
	v_lshrrev_b16_e32 v2, 9, v2
	s_subb_u32 s5, s23, 0
	v_mul_lo_u16_e32 v2, 21, v2
	v_sub_u16_sdwa v1, v1, v2 dst_sel:DWORD dst_unused:UNUSED_PAD src0_sel:WORD_1 src1_sel:DWORD
	s_sub_u32 s22, s24, s18
	v_and_b32_e32 v1, 0xff, v1
	s_subb_u32 s23, s25, 0
	v_cndmask_b32_e64 v1, v7, v1, s[0:1]
	s_mul_i32 s0, s23, 0x372
	s_mul_hi_u32 s1, s22, 0x372
	s_add_i32 s1, s1, s0
	s_mul_i32 s0, s22, 0x372
	s_waitcnt lgkmcnt(0)
	s_add_u32 s0, s10, s0
	v_lshlrev_b32_e32 v2, 1, v0
	s_addc_u32 s1, s11, s1
	v_add_co_u32_e32 v2, vcc, s0, v2
	s_movk_i32 s0, 0x253
	v_mov_b32_e32 v3, s1
	v_mul_u32_u24_sdwa v4, v0, s0 dst_sel:DWORD dst_unused:UNUSED_PAD src0_sel:WORD_0 src1_sel:DWORD
	v_addc_co_u32_e32 v3, vcc, 0, v3, vcc
	v_lshrrev_b32_e32 v8, 18, v4
	v_mov_b32_e32 v4, s25
	v_add_co_u32_e32 v5, vcc, s24, v8
	v_addc_co_u32_e32 v9, vcc, 0, v4, vcc
	v_subrev_co_u32_e32 v4, vcc, s18, v5
	v_subbrev_co_u32_e32 v5, vcc, 0, v9, vcc
	v_lshlrev_b64 v[4:5], 2, v[4:5]
	v_mov_b32_e32 v9, s9
	v_add_co_u32_e32 v4, vcc, s8, v4
	v_mov_b32_e32 v6, 0
	v_addc_co_u32_e32 v5, vcc, v9, v5, vcc
	s_branch .LBB308_10
.LBB308_9:                              ;   in Loop: Header=BB308_10 Depth=1
	s_or_b64 exec, exec, s[0:1]
	s_add_u32 s22, s22, 1
	v_mov_b32_e32 v10, s5
	s_addc_u32 s23, s23, 0
	v_mov_b32_e32 v9, s4
	v_cmp_lt_i64_e32 vcc, s[22:23], v[9:10]
	v_add_co_u32_e64 v4, s[0:1], 4, v4
	v_addc_co_u32_e64 v5, s[0:1], 0, v5, s[0:1]
	s_cbranch_vccz .LBB308_12
.LBB308_10:                             ; =>This Inner Loop Header: Depth=1
	v_mov_b32_e32 v10, s23
	v_add_co_u32_e32 v9, vcc, s22, v8
	v_addc_co_u32_e32 v10, vcc, 0, v10, vcc
	v_cmp_gt_i64_e32 vcc, s[4:5], v[9:10]
	s_and_saveexec_b64 s[0:1], vcc
	s_cbranch_execz .LBB308_9
; %bb.11:                               ;   in Loop: Header=BB308_10 Depth=1
	global_load_dword v9, v[4:5], off
	v_mov_b32_e32 v12, s3
	global_load_ushort v11, v[2:3], off
	s_waitcnt vmcnt(1)
	v_subrev_u32_e32 v9, s18, v9
	v_mad_u64_u32 v[9:10], s[8:9], v9, 21, v[1:2]
	v_ashrrev_i32_e32 v10, 31, v9
	v_lshlrev_b64 v[9:10], 1, v[9:10]
	v_add_co_u32_e32 v9, vcc, s2, v9
	v_addc_co_u32_e32 v10, vcc, v12, v10, vcc
	global_load_ushort v9, v[9:10], off
	v_add_co_u32_e32 v2, vcc, 0x372, v2
	v_addc_co_u32_e32 v3, vcc, 0, v3, vcc
	s_waitcnt vmcnt(0)
	v_fma_mix_f32 v6, v11, v9, v6 op_sel_hi:[1,1,0]
	s_branch .LBB308_9
.LBB308_12:
	v_lshlrev_b32_e32 v1, 2, v0
	s_and_b64 vcc, exec, s[20:21]
	ds_write_b32 v1, v6
	s_waitcnt lgkmcnt(0)
	s_barrier
	s_cbranch_vccz .LBB308_24
; %bb.13:
	v_cmp_gt_u16_e32 vcc, 5, v7
	s_and_saveexec_b64 s[0:1], vcc
	s_cbranch_execz .LBB308_15
; %bb.14:
	ds_read2_b32 v[2:3], v1 offset1:16
	s_waitcnt lgkmcnt(0)
	v_add_f32_e32 v2, v3, v2
	ds_write_b32 v1, v2
.LBB308_15:
	s_or_b64 exec, exec, s[0:1]
	v_cmp_gt_u16_e32 vcc, 8, v7
	s_waitcnt lgkmcnt(0)
	s_barrier
	s_and_saveexec_b64 s[0:1], vcc
	s_cbranch_execz .LBB308_17
; %bb.16:
	ds_read2_b32 v[2:3], v1 offset1:8
	s_waitcnt lgkmcnt(0)
	v_add_f32_e32 v2, v3, v2
	ds_write_b32 v1, v2
.LBB308_17:
	s_or_b64 exec, exec, s[0:1]
	v_cmp_gt_u16_e32 vcc, 4, v7
	s_waitcnt lgkmcnt(0)
	s_barrier
	;; [unrolled: 12-line block ×3, first 2 shown]
	s_and_saveexec_b64 s[0:1], vcc
	s_cbranch_execz .LBB308_21
; %bb.20:
	ds_read2_b32 v[2:3], v1 offset1:2
	s_waitcnt lgkmcnt(0)
	v_add_f32_e32 v2, v3, v2
	ds_write_b32 v1, v2
.LBB308_21:
	s_or_b64 exec, exec, s[0:1]
	v_cmp_gt_u32_e32 vcc, 21, v0
	v_mov_b32_e32 v2, v6
	s_waitcnt lgkmcnt(0)
	s_barrier
	s_and_saveexec_b64 s[0:1], vcc
	s_cbranch_execz .LBB308_23
; %bb.22:
	s_movk_i32 s2, 0x50
	v_mad_u32_u24 v2, v0, s2, v1
	ds_read2_b32 v[2:3], v2 offset1:1
	s_waitcnt lgkmcnt(0)
	v_add_f32_e32 v2, v2, v3
.LBB308_23:
	s_or_b64 exec, exec, s[0:1]
	s_branch .LBB308_36
.LBB308_24:
                                        ; implicit-def: $vgpr2
	s_cbranch_execz .LBB308_36
; %bb.25:
	s_movk_i32 s0, 0x69
	v_cmp_gt_u32_e32 vcc, s0, v0
	s_and_saveexec_b64 s[0:1], vcc
	s_cbranch_execz .LBB308_27
; %bb.26:
	ds_read_b32 v2, v1 offset:1344
	ds_read_b32 v3, v1
	s_waitcnt lgkmcnt(0)
	v_add_f32_e32 v2, v2, v3
	ds_write_b32 v1, v2
.LBB308_27:
	s_or_b64 exec, exec, s[0:1]
	s_movk_i32 s0, 0xa8
	v_cmp_gt_u32_e32 vcc, s0, v0
	s_waitcnt lgkmcnt(0)
	s_barrier
	s_and_saveexec_b64 s[0:1], vcc
	s_cbranch_execz .LBB308_29
; %bb.28:
	ds_read2_b32 v[2:3], v1 offset1:168
	s_waitcnt lgkmcnt(0)
	v_add_f32_e32 v2, v3, v2
	ds_write_b32 v1, v2
.LBB308_29:
	s_or_b64 exec, exec, s[0:1]
	s_movk_i32 s0, 0x54
	v_cmp_gt_u32_e32 vcc, s0, v0
	s_waitcnt lgkmcnt(0)
	s_barrier
	s_and_saveexec_b64 s[0:1], vcc
	s_cbranch_execz .LBB308_31
; %bb.30:
	ds_read2_b32 v[2:3], v1 offset1:84
	s_waitcnt lgkmcnt(0)
	v_add_f32_e32 v2, v3, v2
	ds_write_b32 v1, v2
.LBB308_31:
	s_or_b64 exec, exec, s[0:1]
	v_cmp_gt_u32_e32 vcc, 42, v0
	s_waitcnt lgkmcnt(0)
	s_barrier
	s_and_saveexec_b64 s[0:1], vcc
	s_cbranch_execz .LBB308_33
; %bb.32:
	ds_read2_b32 v[2:3], v1 offset1:42
	s_waitcnt lgkmcnt(0)
	v_add_f32_e32 v2, v3, v2
	ds_write_b32 v1, v2
.LBB308_33:
	s_or_b64 exec, exec, s[0:1]
	v_cmp_gt_u32_e32 vcc, 21, v0
	s_waitcnt lgkmcnt(0)
	s_and_saveexec_b64 s[0:1], vcc
	s_cbranch_execz .LBB308_35
; %bb.34:
	ds_read2_b32 v[1:2], v1 offset1:21
	s_waitcnt lgkmcnt(0)
	v_add_f32_e32 v6, v1, v2
.LBB308_35:
	s_or_b64 exec, exec, s[0:1]
	v_mov_b32_e32 v2, v6
.LBB308_36:
	v_cmp_gt_u32_e32 vcc, 21, v0
	s_and_saveexec_b64 s[0:1], vcc
	s_cbranch_execz .LBB308_40
; %bb.37:
	v_cmp_eq_f32_e64 s[0:1], s12, 0
	s_and_b64 vcc, exec, s[0:1]
	v_mul_f32_e32 v1, s14, v2
	s_cbranch_vccz .LBB308_41
; %bb.38:
	v_mad_u64_u32 v[2:3], s[0:1], s6, 21, v[0:1]
	v_mov_b32_e32 v3, 0
	v_mov_b32_e32 v4, s17
	v_lshlrev_b64 v[2:3], 2, v[2:3]
	v_add_co_u32_e32 v2, vcc, s16, v2
	v_addc_co_u32_e32 v3, vcc, v4, v3, vcc
	global_store_dword v[2:3], v1, off
	s_cbranch_execnz .LBB308_40
.LBB308_39:
	v_mad_u64_u32 v[2:3], s[0:1], s6, 21, v[0:1]
	v_mov_b32_e32 v3, 0
	v_mov_b32_e32 v0, s17
	v_lshlrev_b64 v[2:3], 2, v[2:3]
	v_add_co_u32_e32 v2, vcc, s16, v2
	v_addc_co_u32_e32 v3, vcc, v0, v3, vcc
	global_load_dword v0, v[2:3], off
	s_waitcnt vmcnt(0)
	v_fmac_f32_e32 v1, s12, v0
	global_store_dword v[2:3], v1, off
.LBB308_40:
	s_endpgm
.LBB308_41:
	s_branch .LBB308_39
	.section	.rodata,"a",@progbits
	.p2align	6, 0x0
	.amdhsa_kernel _ZN9rocsparseL20bsrxmvn_17_32_kernelILj21EfliDF16_DF16_fEEvT2_20rocsparse_direction_NS_24const_host_device_scalarIT0_EES1_PKS1_PKT1_SA_S7_PKT3_PKT4_S5_PT5_21rocsparse_index_base_b
		.amdhsa_group_segment_fixed_size 1764
		.amdhsa_private_segment_fixed_size 0
		.amdhsa_kernarg_size 96
		.amdhsa_user_sgpr_count 6
		.amdhsa_user_sgpr_private_segment_buffer 1
		.amdhsa_user_sgpr_dispatch_ptr 0
		.amdhsa_user_sgpr_queue_ptr 0
		.amdhsa_user_sgpr_kernarg_segment_ptr 1
		.amdhsa_user_sgpr_dispatch_id 0
		.amdhsa_user_sgpr_flat_scratch_init 0
		.amdhsa_user_sgpr_private_segment_size 0
		.amdhsa_uses_dynamic_stack 0
		.amdhsa_system_sgpr_private_segment_wavefront_offset 0
		.amdhsa_system_sgpr_workgroup_id_x 1
		.amdhsa_system_sgpr_workgroup_id_y 0
		.amdhsa_system_sgpr_workgroup_id_z 0
		.amdhsa_system_sgpr_workgroup_info 0
		.amdhsa_system_vgpr_workitem_id 0
		.amdhsa_next_free_vgpr 13
		.amdhsa_next_free_sgpr 26
		.amdhsa_reserve_vcc 1
		.amdhsa_reserve_flat_scratch 0
		.amdhsa_float_round_mode_32 0
		.amdhsa_float_round_mode_16_64 0
		.amdhsa_float_denorm_mode_32 3
		.amdhsa_float_denorm_mode_16_64 3
		.amdhsa_dx10_clamp 1
		.amdhsa_ieee_mode 1
		.amdhsa_fp16_overflow 0
		.amdhsa_exception_fp_ieee_invalid_op 0
		.amdhsa_exception_fp_denorm_src 0
		.amdhsa_exception_fp_ieee_div_zero 0
		.amdhsa_exception_fp_ieee_overflow 0
		.amdhsa_exception_fp_ieee_underflow 0
		.amdhsa_exception_fp_ieee_inexact 0
		.amdhsa_exception_int_div_zero 0
	.end_amdhsa_kernel
	.section	.text._ZN9rocsparseL20bsrxmvn_17_32_kernelILj21EfliDF16_DF16_fEEvT2_20rocsparse_direction_NS_24const_host_device_scalarIT0_EES1_PKS1_PKT1_SA_S7_PKT3_PKT4_S5_PT5_21rocsparse_index_base_b,"axG",@progbits,_ZN9rocsparseL20bsrxmvn_17_32_kernelILj21EfliDF16_DF16_fEEvT2_20rocsparse_direction_NS_24const_host_device_scalarIT0_EES1_PKS1_PKT1_SA_S7_PKT3_PKT4_S5_PT5_21rocsparse_index_base_b,comdat
.Lfunc_end308:
	.size	_ZN9rocsparseL20bsrxmvn_17_32_kernelILj21EfliDF16_DF16_fEEvT2_20rocsparse_direction_NS_24const_host_device_scalarIT0_EES1_PKS1_PKT1_SA_S7_PKT3_PKT4_S5_PT5_21rocsparse_index_base_b, .Lfunc_end308-_ZN9rocsparseL20bsrxmvn_17_32_kernelILj21EfliDF16_DF16_fEEvT2_20rocsparse_direction_NS_24const_host_device_scalarIT0_EES1_PKS1_PKT1_SA_S7_PKT3_PKT4_S5_PT5_21rocsparse_index_base_b
                                        ; -- End function
	.set _ZN9rocsparseL20bsrxmvn_17_32_kernelILj21EfliDF16_DF16_fEEvT2_20rocsparse_direction_NS_24const_host_device_scalarIT0_EES1_PKS1_PKT1_SA_S7_PKT3_PKT4_S5_PT5_21rocsparse_index_base_b.num_vgpr, 13
	.set _ZN9rocsparseL20bsrxmvn_17_32_kernelILj21EfliDF16_DF16_fEEvT2_20rocsparse_direction_NS_24const_host_device_scalarIT0_EES1_PKS1_PKT1_SA_S7_PKT3_PKT4_S5_PT5_21rocsparse_index_base_b.num_agpr, 0
	.set _ZN9rocsparseL20bsrxmvn_17_32_kernelILj21EfliDF16_DF16_fEEvT2_20rocsparse_direction_NS_24const_host_device_scalarIT0_EES1_PKS1_PKT1_SA_S7_PKT3_PKT4_S5_PT5_21rocsparse_index_base_b.numbered_sgpr, 26
	.set _ZN9rocsparseL20bsrxmvn_17_32_kernelILj21EfliDF16_DF16_fEEvT2_20rocsparse_direction_NS_24const_host_device_scalarIT0_EES1_PKS1_PKT1_SA_S7_PKT3_PKT4_S5_PT5_21rocsparse_index_base_b.num_named_barrier, 0
	.set _ZN9rocsparseL20bsrxmvn_17_32_kernelILj21EfliDF16_DF16_fEEvT2_20rocsparse_direction_NS_24const_host_device_scalarIT0_EES1_PKS1_PKT1_SA_S7_PKT3_PKT4_S5_PT5_21rocsparse_index_base_b.private_seg_size, 0
	.set _ZN9rocsparseL20bsrxmvn_17_32_kernelILj21EfliDF16_DF16_fEEvT2_20rocsparse_direction_NS_24const_host_device_scalarIT0_EES1_PKS1_PKT1_SA_S7_PKT3_PKT4_S5_PT5_21rocsparse_index_base_b.uses_vcc, 1
	.set _ZN9rocsparseL20bsrxmvn_17_32_kernelILj21EfliDF16_DF16_fEEvT2_20rocsparse_direction_NS_24const_host_device_scalarIT0_EES1_PKS1_PKT1_SA_S7_PKT3_PKT4_S5_PT5_21rocsparse_index_base_b.uses_flat_scratch, 0
	.set _ZN9rocsparseL20bsrxmvn_17_32_kernelILj21EfliDF16_DF16_fEEvT2_20rocsparse_direction_NS_24const_host_device_scalarIT0_EES1_PKS1_PKT1_SA_S7_PKT3_PKT4_S5_PT5_21rocsparse_index_base_b.has_dyn_sized_stack, 0
	.set _ZN9rocsparseL20bsrxmvn_17_32_kernelILj21EfliDF16_DF16_fEEvT2_20rocsparse_direction_NS_24const_host_device_scalarIT0_EES1_PKS1_PKT1_SA_S7_PKT3_PKT4_S5_PT5_21rocsparse_index_base_b.has_recursion, 0
	.set _ZN9rocsparseL20bsrxmvn_17_32_kernelILj21EfliDF16_DF16_fEEvT2_20rocsparse_direction_NS_24const_host_device_scalarIT0_EES1_PKS1_PKT1_SA_S7_PKT3_PKT4_S5_PT5_21rocsparse_index_base_b.has_indirect_call, 0
	.section	.AMDGPU.csdata,"",@progbits
; Kernel info:
; codeLenInByte = 1324
; TotalNumSgprs: 30
; NumVgprs: 13
; ScratchSize: 0
; MemoryBound: 0
; FloatMode: 240
; IeeeMode: 1
; LDSByteSize: 1764 bytes/workgroup (compile time only)
; SGPRBlocks: 3
; VGPRBlocks: 3
; NumSGPRsForWavesPerEU: 30
; NumVGPRsForWavesPerEU: 13
; Occupancy: 10
; WaveLimiterHint : 1
; COMPUTE_PGM_RSRC2:SCRATCH_EN: 0
; COMPUTE_PGM_RSRC2:USER_SGPR: 6
; COMPUTE_PGM_RSRC2:TRAP_HANDLER: 0
; COMPUTE_PGM_RSRC2:TGID_X_EN: 1
; COMPUTE_PGM_RSRC2:TGID_Y_EN: 0
; COMPUTE_PGM_RSRC2:TGID_Z_EN: 0
; COMPUTE_PGM_RSRC2:TIDIG_COMP_CNT: 0
	.section	.text._ZN9rocsparseL20bsrxmvn_17_32_kernelILj22EfliDF16_DF16_fEEvT2_20rocsparse_direction_NS_24const_host_device_scalarIT0_EES1_PKS1_PKT1_SA_S7_PKT3_PKT4_S5_PT5_21rocsparse_index_base_b,"axG",@progbits,_ZN9rocsparseL20bsrxmvn_17_32_kernelILj22EfliDF16_DF16_fEEvT2_20rocsparse_direction_NS_24const_host_device_scalarIT0_EES1_PKS1_PKT1_SA_S7_PKT3_PKT4_S5_PT5_21rocsparse_index_base_b,comdat
	.globl	_ZN9rocsparseL20bsrxmvn_17_32_kernelILj22EfliDF16_DF16_fEEvT2_20rocsparse_direction_NS_24const_host_device_scalarIT0_EES1_PKS1_PKT1_SA_S7_PKT3_PKT4_S5_PT5_21rocsparse_index_base_b ; -- Begin function _ZN9rocsparseL20bsrxmvn_17_32_kernelILj22EfliDF16_DF16_fEEvT2_20rocsparse_direction_NS_24const_host_device_scalarIT0_EES1_PKS1_PKT1_SA_S7_PKT3_PKT4_S5_PT5_21rocsparse_index_base_b
	.p2align	8
	.type	_ZN9rocsparseL20bsrxmvn_17_32_kernelILj22EfliDF16_DF16_fEEvT2_20rocsparse_direction_NS_24const_host_device_scalarIT0_EES1_PKS1_PKT1_SA_S7_PKT3_PKT4_S5_PT5_21rocsparse_index_base_b,@function
_ZN9rocsparseL20bsrxmvn_17_32_kernelILj22EfliDF16_DF16_fEEvT2_20rocsparse_direction_NS_24const_host_device_scalarIT0_EES1_PKS1_PKT1_SA_S7_PKT3_PKT4_S5_PT5_21rocsparse_index_base_b: ; @_ZN9rocsparseL20bsrxmvn_17_32_kernelILj22EfliDF16_DF16_fEEvT2_20rocsparse_direction_NS_24const_host_device_scalarIT0_EES1_PKS1_PKT1_SA_S7_PKT3_PKT4_S5_PT5_21rocsparse_index_base_b
; %bb.0:
	s_load_dwordx2 s[18:19], s[4:5], 0x58
	s_load_dwordx2 s[14:15], s[4:5], 0x8
	;; [unrolled: 1-line block ×3, first 2 shown]
	s_waitcnt lgkmcnt(0)
	s_bitcmp1_b32 s19, 0
	s_cselect_b64 s[2:3], -1, 0
	s_xor_b64 s[0:1], s[2:3], -1
	s_and_b64 vcc, exec, s[2:3]
	s_cbranch_vccnz .LBB309_2
; %bb.1:
	s_load_dword s14, s[14:15], 0x0
.LBB309_2:
	s_andn2_b64 vcc, exec, s[0:1]
	s_cbranch_vccnz .LBB309_4
; %bb.3:
	s_load_dword s12, s[12:13], 0x0
.LBB309_4:
	s_waitcnt lgkmcnt(0)
	v_cmp_neq_f32_e64 s[0:1], s14, 0
	v_cmp_neq_f32_e64 s[2:3], s12, 1.0
	s_or_b64 s[0:1], s[0:1], s[2:3]
	s_andn2_b64 vcc, exec, s[0:1]
	s_cbranch_vccnz .LBB309_40
; %bb.5:
	s_load_dwordx4 s[0:3], s[4:5], 0x18
	s_load_dwordx2 s[8:9], s[4:5], 0x28
	s_waitcnt lgkmcnt(0)
	s_cmp_eq_u64 s[0:1], 0
	s_cbranch_scc1 .LBB309_7
; %bb.6:
	s_ashr_i32 s7, s6, 31
	s_lshl_b64 s[6:7], s[6:7], 2
	s_add_u32 s0, s0, s6
	s_addc_u32 s1, s1, s7
	s_load_dword s0, s[0:1], 0x0
	s_waitcnt lgkmcnt(0)
	s_sub_i32 s6, s0, s18
.LBB309_7:
	s_load_dword s7, s[4:5], 0x4
	s_load_dwordx2 s[16:17], s[4:5], 0x50
	v_mul_u32_u24_e32 v1, 0xba3, v0
	v_mov_b32_e32 v2, 22
	v_mul_lo_u16_sdwa v3, v1, v2 dst_sel:DWORD dst_unused:UNUSED_PAD src0_sel:WORD_1 src1_sel:DWORD
	s_waitcnt lgkmcnt(0)
	s_cmp_eq_u32 s7, 1
	s_cselect_b64 s[0:1], -1, 0
	s_cmp_lg_u32 s7, 1
	s_cselect_b64 s[20:21], -1, 0
	s_ashr_i32 s7, s6, 31
	s_lshl_b64 s[10:11], s[6:7], 3
	s_add_u32 s2, s2, s10
	s_addc_u32 s3, s3, s11
	s_add_u32 s7, s2, 8
	s_addc_u32 s13, s3, 0
	;; [unrolled: 2-line block ×3, first 2 shown]
	s_cmp_eq_u64 s[8:9], 0
	s_cselect_b32 s9, s13, s11
	s_cselect_b32 s8, s7, s10
	s_load_dwordx2 s[22:23], s[8:9], 0x0
	s_load_dwordx2 s[24:25], s[2:3], 0x0
	v_sub_u16_e32 v7, v0, v3
	v_mov_b32_e32 v6, 0
	s_waitcnt lgkmcnt(0)
	v_mov_b32_e32 v3, s22
	v_mov_b32_e32 v4, s23
	v_cmp_ge_i64_e32 vcc, s[24:25], v[3:4]
	s_cbranch_vccnz .LBB309_12
; %bb.8:
	v_mov_b32_e32 v3, 12
	s_load_dwordx4 s[8:11], s[4:5], 0x30
	s_load_dwordx2 s[2:3], s[4:5], 0x40
	s_sub_u32 s4, s22, s18
	v_mul_lo_u16_sdwa v3, v1, v3 dst_sel:DWORD dst_unused:UNUSED_PAD src0_sel:WORD_1 src1_sel:DWORD
	s_subb_u32 s5, s23, 0
	v_mul_lo_u16_sdwa v2, v3, v2 dst_sel:DWORD dst_unused:UNUSED_PAD src0_sel:BYTE_1 src1_sel:DWORD
	v_sub_u16_sdwa v1, v1, v2 dst_sel:DWORD dst_unused:UNUSED_PAD src0_sel:WORD_1 src1_sel:DWORD
	s_sub_u32 s22, s24, s18
	v_and_b32_e32 v1, 0xff, v1
	s_subb_u32 s23, s25, 0
	v_cndmask_b32_e64 v1, v7, v1, s[0:1]
	s_mul_i32 s0, s23, 0x3c8
	s_mul_hi_u32 s1, s22, 0x3c8
	s_add_i32 s1, s1, s0
	s_mul_i32 s0, s22, 0x3c8
	s_waitcnt lgkmcnt(0)
	s_add_u32 s0, s10, s0
	v_lshlrev_b32_e32 v2, 1, v0
	s_addc_u32 s1, s11, s1
	v_add_co_u32_e32 v2, vcc, s0, v2
	s_movk_i32 s0, 0x10f
	v_mov_b32_e32 v3, s1
	v_mul_u32_u24_sdwa v4, v0, s0 dst_sel:DWORD dst_unused:UNUSED_PAD src0_sel:WORD_0 src1_sel:DWORD
	v_addc_co_u32_e32 v3, vcc, 0, v3, vcc
	v_lshrrev_b32_e32 v8, 17, v4
	v_mov_b32_e32 v4, s25
	v_add_co_u32_e32 v5, vcc, s24, v8
	v_addc_co_u32_e32 v9, vcc, 0, v4, vcc
	v_subrev_co_u32_e32 v4, vcc, s18, v5
	v_subbrev_co_u32_e32 v5, vcc, 0, v9, vcc
	v_lshlrev_b64 v[4:5], 2, v[4:5]
	v_mov_b32_e32 v9, s9
	v_add_co_u32_e32 v4, vcc, s8, v4
	v_mov_b32_e32 v6, 0
	v_addc_co_u32_e32 v5, vcc, v9, v5, vcc
	s_branch .LBB309_10
.LBB309_9:                              ;   in Loop: Header=BB309_10 Depth=1
	s_or_b64 exec, exec, s[0:1]
	s_add_u32 s22, s22, 1
	v_mov_b32_e32 v10, s5
	s_addc_u32 s23, s23, 0
	v_mov_b32_e32 v9, s4
	v_cmp_lt_i64_e32 vcc, s[22:23], v[9:10]
	v_add_co_u32_e64 v4, s[0:1], 4, v4
	v_addc_co_u32_e64 v5, s[0:1], 0, v5, s[0:1]
	s_cbranch_vccz .LBB309_12
.LBB309_10:                             ; =>This Inner Loop Header: Depth=1
	v_mov_b32_e32 v10, s23
	v_add_co_u32_e32 v9, vcc, s22, v8
	v_addc_co_u32_e32 v10, vcc, 0, v10, vcc
	v_cmp_gt_i64_e32 vcc, s[4:5], v[9:10]
	s_and_saveexec_b64 s[0:1], vcc
	s_cbranch_execz .LBB309_9
; %bb.11:                               ;   in Loop: Header=BB309_10 Depth=1
	global_load_dword v9, v[4:5], off
	v_mov_b32_e32 v12, s3
	global_load_ushort v11, v[2:3], off
	s_waitcnt vmcnt(1)
	v_subrev_u32_e32 v9, s18, v9
	v_mad_u64_u32 v[9:10], s[8:9], v9, 22, v[1:2]
	v_ashrrev_i32_e32 v10, 31, v9
	v_lshlrev_b64 v[9:10], 1, v[9:10]
	v_add_co_u32_e32 v9, vcc, s2, v9
	v_addc_co_u32_e32 v10, vcc, v12, v10, vcc
	global_load_ushort v9, v[9:10], off
	v_add_co_u32_e32 v2, vcc, 0x3c8, v2
	v_addc_co_u32_e32 v3, vcc, 0, v3, vcc
	s_waitcnt vmcnt(0)
	v_fma_mix_f32 v6, v11, v9, v6 op_sel_hi:[1,1,0]
	s_branch .LBB309_9
.LBB309_12:
	v_lshlrev_b32_e32 v1, 2, v0
	s_and_b64 vcc, exec, s[20:21]
	ds_write_b32 v1, v6
	s_waitcnt lgkmcnt(0)
	s_barrier
	s_cbranch_vccz .LBB309_24
; %bb.13:
	v_cmp_gt_u16_e32 vcc, 6, v7
	s_and_saveexec_b64 s[0:1], vcc
	s_cbranch_execz .LBB309_15
; %bb.14:
	ds_read2_b32 v[2:3], v1 offset1:16
	s_waitcnt lgkmcnt(0)
	v_add_f32_e32 v2, v3, v2
	ds_write_b32 v1, v2
.LBB309_15:
	s_or_b64 exec, exec, s[0:1]
	v_cmp_gt_u16_e32 vcc, 8, v7
	s_waitcnt lgkmcnt(0)
	s_barrier
	s_and_saveexec_b64 s[0:1], vcc
	s_cbranch_execz .LBB309_17
; %bb.16:
	ds_read2_b32 v[2:3], v1 offset1:8
	s_waitcnt lgkmcnt(0)
	v_add_f32_e32 v2, v3, v2
	ds_write_b32 v1, v2
.LBB309_17:
	s_or_b64 exec, exec, s[0:1]
	v_cmp_gt_u16_e32 vcc, 4, v7
	s_waitcnt lgkmcnt(0)
	s_barrier
	;; [unrolled: 12-line block ×3, first 2 shown]
	s_and_saveexec_b64 s[0:1], vcc
	s_cbranch_execz .LBB309_21
; %bb.20:
	ds_read2_b32 v[2:3], v1 offset1:2
	s_waitcnt lgkmcnt(0)
	v_add_f32_e32 v2, v3, v2
	ds_write_b32 v1, v2
.LBB309_21:
	s_or_b64 exec, exec, s[0:1]
	v_cmp_gt_u32_e32 vcc, 22, v0
	v_mov_b32_e32 v2, v6
	s_waitcnt lgkmcnt(0)
	s_barrier
	s_and_saveexec_b64 s[0:1], vcc
	s_cbranch_execz .LBB309_23
; %bb.22:
	s_movk_i32 s2, 0x54
	v_mad_u32_u24 v2, v0, s2, v1
	ds_read_b64 v[2:3], v2
	s_waitcnt lgkmcnt(0)
	v_add_f32_e32 v2, v2, v3
.LBB309_23:
	s_or_b64 exec, exec, s[0:1]
	s_branch .LBB309_36
.LBB309_24:
                                        ; implicit-def: $vgpr2
	s_cbranch_execz .LBB309_36
; %bb.25:
	s_movk_i32 s0, 0x84
	v_cmp_gt_u32_e32 vcc, s0, v0
	s_and_saveexec_b64 s[0:1], vcc
	s_cbranch_execz .LBB309_27
; %bb.26:
	ds_read_b32 v2, v1 offset:1408
	ds_read_b32 v3, v1
	s_waitcnt lgkmcnt(0)
	v_add_f32_e32 v2, v2, v3
	ds_write_b32 v1, v2
.LBB309_27:
	s_or_b64 exec, exec, s[0:1]
	s_movk_i32 s0, 0xb0
	v_cmp_gt_u32_e32 vcc, s0, v0
	s_waitcnt lgkmcnt(0)
	s_barrier
	s_and_saveexec_b64 s[0:1], vcc
	s_cbranch_execz .LBB309_29
; %bb.28:
	ds_read2_b32 v[2:3], v1 offset1:176
	s_waitcnt lgkmcnt(0)
	v_add_f32_e32 v2, v3, v2
	ds_write_b32 v1, v2
.LBB309_29:
	s_or_b64 exec, exec, s[0:1]
	s_movk_i32 s0, 0x58
	v_cmp_gt_u32_e32 vcc, s0, v0
	s_waitcnt lgkmcnt(0)
	s_barrier
	s_and_saveexec_b64 s[0:1], vcc
	s_cbranch_execz .LBB309_31
; %bb.30:
	ds_read2_b32 v[2:3], v1 offset1:88
	s_waitcnt lgkmcnt(0)
	v_add_f32_e32 v2, v3, v2
	ds_write_b32 v1, v2
.LBB309_31:
	s_or_b64 exec, exec, s[0:1]
	v_cmp_gt_u32_e32 vcc, 44, v0
	s_waitcnt lgkmcnt(0)
	s_barrier
	s_and_saveexec_b64 s[0:1], vcc
	s_cbranch_execz .LBB309_33
; %bb.32:
	ds_read2_b32 v[2:3], v1 offset1:44
	s_waitcnt lgkmcnt(0)
	v_add_f32_e32 v2, v3, v2
	ds_write_b32 v1, v2
.LBB309_33:
	s_or_b64 exec, exec, s[0:1]
	v_cmp_gt_u32_e32 vcc, 22, v0
	s_waitcnt lgkmcnt(0)
	s_and_saveexec_b64 s[0:1], vcc
	s_cbranch_execz .LBB309_35
; %bb.34:
	ds_read2_b32 v[1:2], v1 offset1:22
	s_waitcnt lgkmcnt(0)
	v_add_f32_e32 v6, v1, v2
.LBB309_35:
	s_or_b64 exec, exec, s[0:1]
	v_mov_b32_e32 v2, v6
.LBB309_36:
	v_cmp_gt_u32_e32 vcc, 22, v0
	s_and_saveexec_b64 s[0:1], vcc
	s_cbranch_execz .LBB309_40
; %bb.37:
	v_cmp_eq_f32_e64 s[0:1], s12, 0
	s_and_b64 vcc, exec, s[0:1]
	v_mul_f32_e32 v1, s14, v2
	s_cbranch_vccz .LBB309_41
; %bb.38:
	v_mad_u64_u32 v[2:3], s[0:1], s6, 22, v[0:1]
	v_mov_b32_e32 v3, 0
	v_mov_b32_e32 v4, s17
	v_lshlrev_b64 v[2:3], 2, v[2:3]
	v_add_co_u32_e32 v2, vcc, s16, v2
	v_addc_co_u32_e32 v3, vcc, v4, v3, vcc
	global_store_dword v[2:3], v1, off
	s_cbranch_execnz .LBB309_40
.LBB309_39:
	v_mad_u64_u32 v[2:3], s[0:1], s6, 22, v[0:1]
	v_mov_b32_e32 v3, 0
	v_mov_b32_e32 v0, s17
	v_lshlrev_b64 v[2:3], 2, v[2:3]
	v_add_co_u32_e32 v2, vcc, s16, v2
	v_addc_co_u32_e32 v3, vcc, v0, v3, vcc
	global_load_dword v0, v[2:3], off
	s_waitcnt vmcnt(0)
	v_fmac_f32_e32 v1, s12, v0
	global_store_dword v[2:3], v1, off
.LBB309_40:
	s_endpgm
.LBB309_41:
	s_branch .LBB309_39
	.section	.rodata,"a",@progbits
	.p2align	6, 0x0
	.amdhsa_kernel _ZN9rocsparseL20bsrxmvn_17_32_kernelILj22EfliDF16_DF16_fEEvT2_20rocsparse_direction_NS_24const_host_device_scalarIT0_EES1_PKS1_PKT1_SA_S7_PKT3_PKT4_S5_PT5_21rocsparse_index_base_b
		.amdhsa_group_segment_fixed_size 1936
		.amdhsa_private_segment_fixed_size 0
		.amdhsa_kernarg_size 96
		.amdhsa_user_sgpr_count 6
		.amdhsa_user_sgpr_private_segment_buffer 1
		.amdhsa_user_sgpr_dispatch_ptr 0
		.amdhsa_user_sgpr_queue_ptr 0
		.amdhsa_user_sgpr_kernarg_segment_ptr 1
		.amdhsa_user_sgpr_dispatch_id 0
		.amdhsa_user_sgpr_flat_scratch_init 0
		.amdhsa_user_sgpr_private_segment_size 0
		.amdhsa_uses_dynamic_stack 0
		.amdhsa_system_sgpr_private_segment_wavefront_offset 0
		.amdhsa_system_sgpr_workgroup_id_x 1
		.amdhsa_system_sgpr_workgroup_id_y 0
		.amdhsa_system_sgpr_workgroup_id_z 0
		.amdhsa_system_sgpr_workgroup_info 0
		.amdhsa_system_vgpr_workitem_id 0
		.amdhsa_next_free_vgpr 13
		.amdhsa_next_free_sgpr 26
		.amdhsa_reserve_vcc 1
		.amdhsa_reserve_flat_scratch 0
		.amdhsa_float_round_mode_32 0
		.amdhsa_float_round_mode_16_64 0
		.amdhsa_float_denorm_mode_32 3
		.amdhsa_float_denorm_mode_16_64 3
		.amdhsa_dx10_clamp 1
		.amdhsa_ieee_mode 1
		.amdhsa_fp16_overflow 0
		.amdhsa_exception_fp_ieee_invalid_op 0
		.amdhsa_exception_fp_denorm_src 0
		.amdhsa_exception_fp_ieee_div_zero 0
		.amdhsa_exception_fp_ieee_overflow 0
		.amdhsa_exception_fp_ieee_underflow 0
		.amdhsa_exception_fp_ieee_inexact 0
		.amdhsa_exception_int_div_zero 0
	.end_amdhsa_kernel
	.section	.text._ZN9rocsparseL20bsrxmvn_17_32_kernelILj22EfliDF16_DF16_fEEvT2_20rocsparse_direction_NS_24const_host_device_scalarIT0_EES1_PKS1_PKT1_SA_S7_PKT3_PKT4_S5_PT5_21rocsparse_index_base_b,"axG",@progbits,_ZN9rocsparseL20bsrxmvn_17_32_kernelILj22EfliDF16_DF16_fEEvT2_20rocsparse_direction_NS_24const_host_device_scalarIT0_EES1_PKS1_PKT1_SA_S7_PKT3_PKT4_S5_PT5_21rocsparse_index_base_b,comdat
.Lfunc_end309:
	.size	_ZN9rocsparseL20bsrxmvn_17_32_kernelILj22EfliDF16_DF16_fEEvT2_20rocsparse_direction_NS_24const_host_device_scalarIT0_EES1_PKS1_PKT1_SA_S7_PKT3_PKT4_S5_PT5_21rocsparse_index_base_b, .Lfunc_end309-_ZN9rocsparseL20bsrxmvn_17_32_kernelILj22EfliDF16_DF16_fEEvT2_20rocsparse_direction_NS_24const_host_device_scalarIT0_EES1_PKS1_PKT1_SA_S7_PKT3_PKT4_S5_PT5_21rocsparse_index_base_b
                                        ; -- End function
	.set _ZN9rocsparseL20bsrxmvn_17_32_kernelILj22EfliDF16_DF16_fEEvT2_20rocsparse_direction_NS_24const_host_device_scalarIT0_EES1_PKS1_PKT1_SA_S7_PKT3_PKT4_S5_PT5_21rocsparse_index_base_b.num_vgpr, 13
	.set _ZN9rocsparseL20bsrxmvn_17_32_kernelILj22EfliDF16_DF16_fEEvT2_20rocsparse_direction_NS_24const_host_device_scalarIT0_EES1_PKS1_PKT1_SA_S7_PKT3_PKT4_S5_PT5_21rocsparse_index_base_b.num_agpr, 0
	.set _ZN9rocsparseL20bsrxmvn_17_32_kernelILj22EfliDF16_DF16_fEEvT2_20rocsparse_direction_NS_24const_host_device_scalarIT0_EES1_PKS1_PKT1_SA_S7_PKT3_PKT4_S5_PT5_21rocsparse_index_base_b.numbered_sgpr, 26
	.set _ZN9rocsparseL20bsrxmvn_17_32_kernelILj22EfliDF16_DF16_fEEvT2_20rocsparse_direction_NS_24const_host_device_scalarIT0_EES1_PKS1_PKT1_SA_S7_PKT3_PKT4_S5_PT5_21rocsparse_index_base_b.num_named_barrier, 0
	.set _ZN9rocsparseL20bsrxmvn_17_32_kernelILj22EfliDF16_DF16_fEEvT2_20rocsparse_direction_NS_24const_host_device_scalarIT0_EES1_PKS1_PKT1_SA_S7_PKT3_PKT4_S5_PT5_21rocsparse_index_base_b.private_seg_size, 0
	.set _ZN9rocsparseL20bsrxmvn_17_32_kernelILj22EfliDF16_DF16_fEEvT2_20rocsparse_direction_NS_24const_host_device_scalarIT0_EES1_PKS1_PKT1_SA_S7_PKT3_PKT4_S5_PT5_21rocsparse_index_base_b.uses_vcc, 1
	.set _ZN9rocsparseL20bsrxmvn_17_32_kernelILj22EfliDF16_DF16_fEEvT2_20rocsparse_direction_NS_24const_host_device_scalarIT0_EES1_PKS1_PKT1_SA_S7_PKT3_PKT4_S5_PT5_21rocsparse_index_base_b.uses_flat_scratch, 0
	.set _ZN9rocsparseL20bsrxmvn_17_32_kernelILj22EfliDF16_DF16_fEEvT2_20rocsparse_direction_NS_24const_host_device_scalarIT0_EES1_PKS1_PKT1_SA_S7_PKT3_PKT4_S5_PT5_21rocsparse_index_base_b.has_dyn_sized_stack, 0
	.set _ZN9rocsparseL20bsrxmvn_17_32_kernelILj22EfliDF16_DF16_fEEvT2_20rocsparse_direction_NS_24const_host_device_scalarIT0_EES1_PKS1_PKT1_SA_S7_PKT3_PKT4_S5_PT5_21rocsparse_index_base_b.has_recursion, 0
	.set _ZN9rocsparseL20bsrxmvn_17_32_kernelILj22EfliDF16_DF16_fEEvT2_20rocsparse_direction_NS_24const_host_device_scalarIT0_EES1_PKS1_PKT1_SA_S7_PKT3_PKT4_S5_PT5_21rocsparse_index_base_b.has_indirect_call, 0
	.section	.AMDGPU.csdata,"",@progbits
; Kernel info:
; codeLenInByte = 1324
; TotalNumSgprs: 30
; NumVgprs: 13
; ScratchSize: 0
; MemoryBound: 0
; FloatMode: 240
; IeeeMode: 1
; LDSByteSize: 1936 bytes/workgroup (compile time only)
; SGPRBlocks: 3
; VGPRBlocks: 3
; NumSGPRsForWavesPerEU: 30
; NumVGPRsForWavesPerEU: 13
; Occupancy: 10
; WaveLimiterHint : 1
; COMPUTE_PGM_RSRC2:SCRATCH_EN: 0
; COMPUTE_PGM_RSRC2:USER_SGPR: 6
; COMPUTE_PGM_RSRC2:TRAP_HANDLER: 0
; COMPUTE_PGM_RSRC2:TGID_X_EN: 1
; COMPUTE_PGM_RSRC2:TGID_Y_EN: 0
; COMPUTE_PGM_RSRC2:TGID_Z_EN: 0
; COMPUTE_PGM_RSRC2:TIDIG_COMP_CNT: 0
	.section	.text._ZN9rocsparseL20bsrxmvn_17_32_kernelILj23EfliDF16_DF16_fEEvT2_20rocsparse_direction_NS_24const_host_device_scalarIT0_EES1_PKS1_PKT1_SA_S7_PKT3_PKT4_S5_PT5_21rocsparse_index_base_b,"axG",@progbits,_ZN9rocsparseL20bsrxmvn_17_32_kernelILj23EfliDF16_DF16_fEEvT2_20rocsparse_direction_NS_24const_host_device_scalarIT0_EES1_PKS1_PKT1_SA_S7_PKT3_PKT4_S5_PT5_21rocsparse_index_base_b,comdat
	.globl	_ZN9rocsparseL20bsrxmvn_17_32_kernelILj23EfliDF16_DF16_fEEvT2_20rocsparse_direction_NS_24const_host_device_scalarIT0_EES1_PKS1_PKT1_SA_S7_PKT3_PKT4_S5_PT5_21rocsparse_index_base_b ; -- Begin function _ZN9rocsparseL20bsrxmvn_17_32_kernelILj23EfliDF16_DF16_fEEvT2_20rocsparse_direction_NS_24const_host_device_scalarIT0_EES1_PKS1_PKT1_SA_S7_PKT3_PKT4_S5_PT5_21rocsparse_index_base_b
	.p2align	8
	.type	_ZN9rocsparseL20bsrxmvn_17_32_kernelILj23EfliDF16_DF16_fEEvT2_20rocsparse_direction_NS_24const_host_device_scalarIT0_EES1_PKS1_PKT1_SA_S7_PKT3_PKT4_S5_PT5_21rocsparse_index_base_b,@function
_ZN9rocsparseL20bsrxmvn_17_32_kernelILj23EfliDF16_DF16_fEEvT2_20rocsparse_direction_NS_24const_host_device_scalarIT0_EES1_PKS1_PKT1_SA_S7_PKT3_PKT4_S5_PT5_21rocsparse_index_base_b: ; @_ZN9rocsparseL20bsrxmvn_17_32_kernelILj23EfliDF16_DF16_fEEvT2_20rocsparse_direction_NS_24const_host_device_scalarIT0_EES1_PKS1_PKT1_SA_S7_PKT3_PKT4_S5_PT5_21rocsparse_index_base_b
; %bb.0:
	s_load_dwordx2 s[18:19], s[4:5], 0x58
	s_load_dwordx2 s[14:15], s[4:5], 0x8
	;; [unrolled: 1-line block ×3, first 2 shown]
	s_waitcnt lgkmcnt(0)
	s_bitcmp1_b32 s19, 0
	s_cselect_b64 s[2:3], -1, 0
	s_xor_b64 s[0:1], s[2:3], -1
	s_and_b64 vcc, exec, s[2:3]
	s_cbranch_vccnz .LBB310_2
; %bb.1:
	s_load_dword s14, s[14:15], 0x0
.LBB310_2:
	s_andn2_b64 vcc, exec, s[0:1]
	s_cbranch_vccnz .LBB310_4
; %bb.3:
	s_load_dword s12, s[12:13], 0x0
.LBB310_4:
	s_waitcnt lgkmcnt(0)
	v_cmp_neq_f32_e64 s[0:1], s14, 0
	v_cmp_neq_f32_e64 s[2:3], s12, 1.0
	s_or_b64 s[0:1], s[0:1], s[2:3]
	s_andn2_b64 vcc, exec, s[0:1]
	s_cbranch_vccnz .LBB310_40
; %bb.5:
	s_load_dwordx4 s[0:3], s[4:5], 0x18
	s_load_dwordx2 s[8:9], s[4:5], 0x28
	s_waitcnt lgkmcnt(0)
	s_cmp_eq_u64 s[0:1], 0
	s_cbranch_scc1 .LBB310_7
; %bb.6:
	s_ashr_i32 s7, s6, 31
	s_lshl_b64 s[6:7], s[6:7], 2
	s_add_u32 s0, s0, s6
	s_addc_u32 s1, s1, s7
	s_load_dword s0, s[0:1], 0x0
	s_waitcnt lgkmcnt(0)
	s_sub_i32 s6, s0, s18
.LBB310_7:
	s_load_dword s7, s[4:5], 0x4
	s_load_dwordx2 s[16:17], s[4:5], 0x50
	v_mul_u32_u24_e32 v1, 0xb22, v0
	v_mov_b32_e32 v2, 23
	v_mul_lo_u16_sdwa v2, v1, v2 dst_sel:DWORD dst_unused:UNUSED_PAD src0_sel:WORD_1 src1_sel:DWORD
	s_waitcnt lgkmcnt(0)
	s_cmp_eq_u32 s7, 1
	s_cselect_b64 s[0:1], -1, 0
	s_cmp_lg_u32 s7, 1
	s_cselect_b64 s[20:21], -1, 0
	s_ashr_i32 s7, s6, 31
	s_lshl_b64 s[10:11], s[6:7], 3
	s_add_u32 s2, s2, s10
	s_addc_u32 s3, s3, s11
	s_add_u32 s7, s2, 8
	s_addc_u32 s13, s3, 0
	;; [unrolled: 2-line block ×3, first 2 shown]
	s_cmp_eq_u64 s[8:9], 0
	s_cselect_b32 s9, s13, s11
	s_cselect_b32 s8, s7, s10
	s_load_dwordx2 s[22:23], s[8:9], 0x0
	s_load_dwordx2 s[24:25], s[2:3], 0x0
	v_sub_u16_e32 v7, v0, v2
	v_mov_b32_e32 v6, 0
	s_waitcnt lgkmcnt(0)
	v_mov_b32_e32 v2, s22
	v_mov_b32_e32 v3, s23
	v_cmp_ge_i64_e32 vcc, s[24:25], v[2:3]
	s_cbranch_vccnz .LBB310_12
; %bb.8:
	s_load_dwordx4 s[8:11], s[4:5], 0x30
	s_load_dwordx2 s[2:3], s[4:5], 0x40
	s_sub_u32 s4, s22, s18
	s_mov_b32 s7, 0xffff
	s_subb_u32 s5, s23, 0
	s_movk_i32 s13, 0x211
	v_and_b32_sdwa v1, s7, v1 dst_sel:DWORD dst_unused:UNUSED_PAD src0_sel:DWORD src1_sel:WORD_1
	v_subrev_u32_e32 v2, 23, v1
	v_cmp_gt_u32_e32 vcc, s13, v0
	s_sub_u32 s22, s24, s18
	v_cndmask_b32_e32 v1, v2, v1, vcc
	s_subb_u32 s23, s25, 0
	v_cndmask_b32_e64 v1, v7, v1, s[0:1]
	s_mul_i32 s0, s23, 0x422
	s_mul_hi_u32 s1, s22, 0x422
	s_add_i32 s1, s1, s0
	s_mul_i32 s0, s22, 0x422
	s_waitcnt lgkmcnt(0)
	s_add_u32 s0, s10, s0
	s_addc_u32 s1, s11, s1
	v_lshlrev_b32_e32 v2, 1, v0
	v_mov_b32_e32 v3, s1
	v_add_co_u32_e32 v2, vcc, s0, v2
	v_addc_co_u32_e32 v3, vcc, 0, v3, vcc
	s_movk_i32 s0, 0x210
	v_cmp_lt_u32_e32 vcc, s0, v0
	v_cndmask_b32_e64 v8, 0, 1, vcc
	v_mov_b32_e32 v4, s25
	v_add_co_u32_e32 v5, vcc, s24, v8
	v_addc_co_u32_e32 v9, vcc, 0, v4, vcc
	v_subrev_co_u32_e32 v4, vcc, s18, v5
	v_subbrev_co_u32_e32 v5, vcc, 0, v9, vcc
	v_lshlrev_b64 v[4:5], 2, v[4:5]
	v_mov_b32_e32 v9, s9
	v_add_co_u32_e32 v4, vcc, s8, v4
	v_mov_b32_e32 v6, 0
	v_addc_co_u32_e32 v5, vcc, v9, v5, vcc
	s_branch .LBB310_10
.LBB310_9:                              ;   in Loop: Header=BB310_10 Depth=1
	s_or_b64 exec, exec, s[0:1]
	s_add_u32 s22, s22, 1
	v_mov_b32_e32 v10, s5
	s_addc_u32 s23, s23, 0
	v_mov_b32_e32 v9, s4
	v_cmp_lt_i64_e32 vcc, s[22:23], v[9:10]
	v_add_co_u32_e64 v4, s[0:1], 4, v4
	v_addc_co_u32_e64 v5, s[0:1], 0, v5, s[0:1]
	s_cbranch_vccz .LBB310_12
.LBB310_10:                             ; =>This Inner Loop Header: Depth=1
	v_mov_b32_e32 v10, s23
	v_add_co_u32_e32 v9, vcc, s22, v8
	v_addc_co_u32_e32 v10, vcc, 0, v10, vcc
	v_cmp_gt_i64_e32 vcc, s[4:5], v[9:10]
	s_and_saveexec_b64 s[0:1], vcc
	s_cbranch_execz .LBB310_9
; %bb.11:                               ;   in Loop: Header=BB310_10 Depth=1
	global_load_dword v9, v[4:5], off
	v_mov_b32_e32 v12, s3
	global_load_ushort v11, v[2:3], off
	s_waitcnt vmcnt(1)
	v_subrev_u32_e32 v9, s18, v9
	v_mad_u64_u32 v[9:10], s[8:9], v9, 23, v[1:2]
	v_ashrrev_i32_e32 v10, 31, v9
	v_lshlrev_b64 v[9:10], 1, v[9:10]
	v_add_co_u32_e32 v9, vcc, s2, v9
	v_addc_co_u32_e32 v10, vcc, v12, v10, vcc
	global_load_ushort v9, v[9:10], off
	v_add_co_u32_e32 v2, vcc, 0x422, v2
	v_addc_co_u32_e32 v3, vcc, 0, v3, vcc
	s_waitcnt vmcnt(0)
	v_fma_mix_f32 v6, v11, v9, v6 op_sel_hi:[1,1,0]
	s_branch .LBB310_9
.LBB310_12:
	v_lshlrev_b32_e32 v1, 2, v0
	s_and_b64 vcc, exec, s[20:21]
	ds_write_b32 v1, v6
	s_waitcnt lgkmcnt(0)
	s_barrier
	s_cbranch_vccz .LBB310_24
; %bb.13:
	v_cmp_gt_u16_e32 vcc, 7, v7
	s_and_saveexec_b64 s[0:1], vcc
	s_cbranch_execz .LBB310_15
; %bb.14:
	ds_read2_b32 v[2:3], v1 offset1:16
	s_waitcnt lgkmcnt(0)
	v_add_f32_e32 v2, v3, v2
	ds_write_b32 v1, v2
.LBB310_15:
	s_or_b64 exec, exec, s[0:1]
	v_cmp_gt_u16_e32 vcc, 8, v7
	s_waitcnt lgkmcnt(0)
	s_barrier
	s_and_saveexec_b64 s[0:1], vcc
	s_cbranch_execz .LBB310_17
; %bb.16:
	ds_read2_b32 v[2:3], v1 offset1:8
	s_waitcnt lgkmcnt(0)
	v_add_f32_e32 v2, v3, v2
	ds_write_b32 v1, v2
.LBB310_17:
	s_or_b64 exec, exec, s[0:1]
	v_cmp_gt_u16_e32 vcc, 4, v7
	s_waitcnt lgkmcnt(0)
	s_barrier
	s_and_saveexec_b64 s[0:1], vcc
	s_cbranch_execz .LBB310_19
; %bb.18:
	ds_read2_b32 v[2:3], v1 offset1:4
	s_waitcnt lgkmcnt(0)
	v_add_f32_e32 v2, v3, v2
	ds_write_b32 v1, v2
.LBB310_19:
	s_or_b64 exec, exec, s[0:1]
	v_cmp_gt_u16_e32 vcc, 2, v7
	s_waitcnt lgkmcnt(0)
	s_barrier
	s_and_saveexec_b64 s[0:1], vcc
	s_cbranch_execz .LBB310_21
; %bb.20:
	ds_read2_b32 v[2:3], v1 offset1:2
	s_waitcnt lgkmcnt(0)
	v_add_f32_e32 v2, v3, v2
	ds_write_b32 v1, v2
.LBB310_21:
	s_or_b64 exec, exec, s[0:1]
	v_cmp_gt_u32_e32 vcc, 23, v0
	v_mov_b32_e32 v2, v6
	s_waitcnt lgkmcnt(0)
	s_barrier
	s_and_saveexec_b64 s[0:1], vcc
	s_cbranch_execz .LBB310_23
; %bb.22:
	s_movk_i32 s2, 0x58
	v_mad_u32_u24 v2, v0, s2, v1
	ds_read2_b32 v[2:3], v2 offset1:1
	s_waitcnt lgkmcnt(0)
	v_add_f32_e32 v2, v2, v3
.LBB310_23:
	s_or_b64 exec, exec, s[0:1]
	s_branch .LBB310_36
.LBB310_24:
                                        ; implicit-def: $vgpr2
	s_cbranch_execz .LBB310_36
; %bb.25:
	s_movk_i32 s0, 0xa1
	v_cmp_gt_u32_e32 vcc, s0, v0
	s_and_saveexec_b64 s[0:1], vcc
	s_cbranch_execz .LBB310_27
; %bb.26:
	ds_read_b32 v2, v1 offset:1472
	ds_read_b32 v3, v1
	s_waitcnt lgkmcnt(0)
	v_add_f32_e32 v2, v2, v3
	ds_write_b32 v1, v2
.LBB310_27:
	s_or_b64 exec, exec, s[0:1]
	s_movk_i32 s0, 0xb8
	v_cmp_gt_u32_e32 vcc, s0, v0
	s_waitcnt lgkmcnt(0)
	s_barrier
	s_and_saveexec_b64 s[0:1], vcc
	s_cbranch_execz .LBB310_29
; %bb.28:
	ds_read2_b32 v[2:3], v1 offset1:184
	s_waitcnt lgkmcnt(0)
	v_add_f32_e32 v2, v3, v2
	ds_write_b32 v1, v2
.LBB310_29:
	s_or_b64 exec, exec, s[0:1]
	s_movk_i32 s0, 0x5c
	v_cmp_gt_u32_e32 vcc, s0, v0
	s_waitcnt lgkmcnt(0)
	s_barrier
	s_and_saveexec_b64 s[0:1], vcc
	s_cbranch_execz .LBB310_31
; %bb.30:
	ds_read2_b32 v[2:3], v1 offset1:92
	s_waitcnt lgkmcnt(0)
	v_add_f32_e32 v2, v3, v2
	ds_write_b32 v1, v2
.LBB310_31:
	s_or_b64 exec, exec, s[0:1]
	v_cmp_gt_u32_e32 vcc, 46, v0
	s_waitcnt lgkmcnt(0)
	s_barrier
	s_and_saveexec_b64 s[0:1], vcc
	s_cbranch_execz .LBB310_33
; %bb.32:
	ds_read2_b32 v[2:3], v1 offset1:46
	s_waitcnt lgkmcnt(0)
	v_add_f32_e32 v2, v3, v2
	ds_write_b32 v1, v2
.LBB310_33:
	s_or_b64 exec, exec, s[0:1]
	v_cmp_gt_u32_e32 vcc, 23, v0
	s_waitcnt lgkmcnt(0)
	s_and_saveexec_b64 s[0:1], vcc
	s_cbranch_execz .LBB310_35
; %bb.34:
	ds_read2_b32 v[1:2], v1 offset1:23
	s_waitcnt lgkmcnt(0)
	v_add_f32_e32 v6, v1, v2
.LBB310_35:
	s_or_b64 exec, exec, s[0:1]
	v_mov_b32_e32 v2, v6
.LBB310_36:
	v_cmp_gt_u32_e32 vcc, 23, v0
	s_and_saveexec_b64 s[0:1], vcc
	s_cbranch_execz .LBB310_40
; %bb.37:
	v_cmp_eq_f32_e64 s[0:1], s12, 0
	s_and_b64 vcc, exec, s[0:1]
	v_mul_f32_e32 v1, s14, v2
	s_cbranch_vccz .LBB310_41
; %bb.38:
	v_mad_u64_u32 v[2:3], s[0:1], s6, 23, v[0:1]
	v_mov_b32_e32 v3, 0
	v_mov_b32_e32 v4, s17
	v_lshlrev_b64 v[2:3], 2, v[2:3]
	v_add_co_u32_e32 v2, vcc, s16, v2
	v_addc_co_u32_e32 v3, vcc, v4, v3, vcc
	global_store_dword v[2:3], v1, off
	s_cbranch_execnz .LBB310_40
.LBB310_39:
	v_mad_u64_u32 v[2:3], s[0:1], s6, 23, v[0:1]
	v_mov_b32_e32 v3, 0
	v_mov_b32_e32 v0, s17
	v_lshlrev_b64 v[2:3], 2, v[2:3]
	v_add_co_u32_e32 v2, vcc, s16, v2
	v_addc_co_u32_e32 v3, vcc, v0, v3, vcc
	global_load_dword v0, v[2:3], off
	s_waitcnt vmcnt(0)
	v_fmac_f32_e32 v1, s12, v0
	global_store_dword v[2:3], v1, off
.LBB310_40:
	s_endpgm
.LBB310_41:
	s_branch .LBB310_39
	.section	.rodata,"a",@progbits
	.p2align	6, 0x0
	.amdhsa_kernel _ZN9rocsparseL20bsrxmvn_17_32_kernelILj23EfliDF16_DF16_fEEvT2_20rocsparse_direction_NS_24const_host_device_scalarIT0_EES1_PKS1_PKT1_SA_S7_PKT3_PKT4_S5_PT5_21rocsparse_index_base_b
		.amdhsa_group_segment_fixed_size 2116
		.amdhsa_private_segment_fixed_size 0
		.amdhsa_kernarg_size 96
		.amdhsa_user_sgpr_count 6
		.amdhsa_user_sgpr_private_segment_buffer 1
		.amdhsa_user_sgpr_dispatch_ptr 0
		.amdhsa_user_sgpr_queue_ptr 0
		.amdhsa_user_sgpr_kernarg_segment_ptr 1
		.amdhsa_user_sgpr_dispatch_id 0
		.amdhsa_user_sgpr_flat_scratch_init 0
		.amdhsa_user_sgpr_private_segment_size 0
		.amdhsa_uses_dynamic_stack 0
		.amdhsa_system_sgpr_private_segment_wavefront_offset 0
		.amdhsa_system_sgpr_workgroup_id_x 1
		.amdhsa_system_sgpr_workgroup_id_y 0
		.amdhsa_system_sgpr_workgroup_id_z 0
		.amdhsa_system_sgpr_workgroup_info 0
		.amdhsa_system_vgpr_workitem_id 0
		.amdhsa_next_free_vgpr 25
		.amdhsa_next_free_sgpr 61
		.amdhsa_reserve_vcc 1
		.amdhsa_reserve_flat_scratch 0
		.amdhsa_float_round_mode_32 0
		.amdhsa_float_round_mode_16_64 0
		.amdhsa_float_denorm_mode_32 3
		.amdhsa_float_denorm_mode_16_64 3
		.amdhsa_dx10_clamp 1
		.amdhsa_ieee_mode 1
		.amdhsa_fp16_overflow 0
		.amdhsa_exception_fp_ieee_invalid_op 0
		.amdhsa_exception_fp_denorm_src 0
		.amdhsa_exception_fp_ieee_div_zero 0
		.amdhsa_exception_fp_ieee_overflow 0
		.amdhsa_exception_fp_ieee_underflow 0
		.amdhsa_exception_fp_ieee_inexact 0
		.amdhsa_exception_int_div_zero 0
	.end_amdhsa_kernel
	.section	.text._ZN9rocsparseL20bsrxmvn_17_32_kernelILj23EfliDF16_DF16_fEEvT2_20rocsparse_direction_NS_24const_host_device_scalarIT0_EES1_PKS1_PKT1_SA_S7_PKT3_PKT4_S5_PT5_21rocsparse_index_base_b,"axG",@progbits,_ZN9rocsparseL20bsrxmvn_17_32_kernelILj23EfliDF16_DF16_fEEvT2_20rocsparse_direction_NS_24const_host_device_scalarIT0_EES1_PKS1_PKT1_SA_S7_PKT3_PKT4_S5_PT5_21rocsparse_index_base_b,comdat
.Lfunc_end310:
	.size	_ZN9rocsparseL20bsrxmvn_17_32_kernelILj23EfliDF16_DF16_fEEvT2_20rocsparse_direction_NS_24const_host_device_scalarIT0_EES1_PKS1_PKT1_SA_S7_PKT3_PKT4_S5_PT5_21rocsparse_index_base_b, .Lfunc_end310-_ZN9rocsparseL20bsrxmvn_17_32_kernelILj23EfliDF16_DF16_fEEvT2_20rocsparse_direction_NS_24const_host_device_scalarIT0_EES1_PKS1_PKT1_SA_S7_PKT3_PKT4_S5_PT5_21rocsparse_index_base_b
                                        ; -- End function
	.set _ZN9rocsparseL20bsrxmvn_17_32_kernelILj23EfliDF16_DF16_fEEvT2_20rocsparse_direction_NS_24const_host_device_scalarIT0_EES1_PKS1_PKT1_SA_S7_PKT3_PKT4_S5_PT5_21rocsparse_index_base_b.num_vgpr, 13
	.set _ZN9rocsparseL20bsrxmvn_17_32_kernelILj23EfliDF16_DF16_fEEvT2_20rocsparse_direction_NS_24const_host_device_scalarIT0_EES1_PKS1_PKT1_SA_S7_PKT3_PKT4_S5_PT5_21rocsparse_index_base_b.num_agpr, 0
	.set _ZN9rocsparseL20bsrxmvn_17_32_kernelILj23EfliDF16_DF16_fEEvT2_20rocsparse_direction_NS_24const_host_device_scalarIT0_EES1_PKS1_PKT1_SA_S7_PKT3_PKT4_S5_PT5_21rocsparse_index_base_b.numbered_sgpr, 26
	.set _ZN9rocsparseL20bsrxmvn_17_32_kernelILj23EfliDF16_DF16_fEEvT2_20rocsparse_direction_NS_24const_host_device_scalarIT0_EES1_PKS1_PKT1_SA_S7_PKT3_PKT4_S5_PT5_21rocsparse_index_base_b.num_named_barrier, 0
	.set _ZN9rocsparseL20bsrxmvn_17_32_kernelILj23EfliDF16_DF16_fEEvT2_20rocsparse_direction_NS_24const_host_device_scalarIT0_EES1_PKS1_PKT1_SA_S7_PKT3_PKT4_S5_PT5_21rocsparse_index_base_b.private_seg_size, 0
	.set _ZN9rocsparseL20bsrxmvn_17_32_kernelILj23EfliDF16_DF16_fEEvT2_20rocsparse_direction_NS_24const_host_device_scalarIT0_EES1_PKS1_PKT1_SA_S7_PKT3_PKT4_S5_PT5_21rocsparse_index_base_b.uses_vcc, 1
	.set _ZN9rocsparseL20bsrxmvn_17_32_kernelILj23EfliDF16_DF16_fEEvT2_20rocsparse_direction_NS_24const_host_device_scalarIT0_EES1_PKS1_PKT1_SA_S7_PKT3_PKT4_S5_PT5_21rocsparse_index_base_b.uses_flat_scratch, 0
	.set _ZN9rocsparseL20bsrxmvn_17_32_kernelILj23EfliDF16_DF16_fEEvT2_20rocsparse_direction_NS_24const_host_device_scalarIT0_EES1_PKS1_PKT1_SA_S7_PKT3_PKT4_S5_PT5_21rocsparse_index_base_b.has_dyn_sized_stack, 0
	.set _ZN9rocsparseL20bsrxmvn_17_32_kernelILj23EfliDF16_DF16_fEEvT2_20rocsparse_direction_NS_24const_host_device_scalarIT0_EES1_PKS1_PKT1_SA_S7_PKT3_PKT4_S5_PT5_21rocsparse_index_base_b.has_recursion, 0
	.set _ZN9rocsparseL20bsrxmvn_17_32_kernelILj23EfliDF16_DF16_fEEvT2_20rocsparse_direction_NS_24const_host_device_scalarIT0_EES1_PKS1_PKT1_SA_S7_PKT3_PKT4_S5_PT5_21rocsparse_index_base_b.has_indirect_call, 0
	.section	.AMDGPU.csdata,"",@progbits
; Kernel info:
; codeLenInByte = 1320
; TotalNumSgprs: 30
; NumVgprs: 13
; ScratchSize: 0
; MemoryBound: 0
; FloatMode: 240
; IeeeMode: 1
; LDSByteSize: 2116 bytes/workgroup (compile time only)
; SGPRBlocks: 8
; VGPRBlocks: 6
; NumSGPRsForWavesPerEU: 65
; NumVGPRsForWavesPerEU: 25
; Occupancy: 9
; WaveLimiterHint : 1
; COMPUTE_PGM_RSRC2:SCRATCH_EN: 0
; COMPUTE_PGM_RSRC2:USER_SGPR: 6
; COMPUTE_PGM_RSRC2:TRAP_HANDLER: 0
; COMPUTE_PGM_RSRC2:TGID_X_EN: 1
; COMPUTE_PGM_RSRC2:TGID_Y_EN: 0
; COMPUTE_PGM_RSRC2:TGID_Z_EN: 0
; COMPUTE_PGM_RSRC2:TIDIG_COMP_CNT: 0
	.section	.text._ZN9rocsparseL20bsrxmvn_17_32_kernelILj24EfliDF16_DF16_fEEvT2_20rocsparse_direction_NS_24const_host_device_scalarIT0_EES1_PKS1_PKT1_SA_S7_PKT3_PKT4_S5_PT5_21rocsparse_index_base_b,"axG",@progbits,_ZN9rocsparseL20bsrxmvn_17_32_kernelILj24EfliDF16_DF16_fEEvT2_20rocsparse_direction_NS_24const_host_device_scalarIT0_EES1_PKS1_PKT1_SA_S7_PKT3_PKT4_S5_PT5_21rocsparse_index_base_b,comdat
	.globl	_ZN9rocsparseL20bsrxmvn_17_32_kernelILj24EfliDF16_DF16_fEEvT2_20rocsparse_direction_NS_24const_host_device_scalarIT0_EES1_PKS1_PKT1_SA_S7_PKT3_PKT4_S5_PT5_21rocsparse_index_base_b ; -- Begin function _ZN9rocsparseL20bsrxmvn_17_32_kernelILj24EfliDF16_DF16_fEEvT2_20rocsparse_direction_NS_24const_host_device_scalarIT0_EES1_PKS1_PKT1_SA_S7_PKT3_PKT4_S5_PT5_21rocsparse_index_base_b
	.p2align	8
	.type	_ZN9rocsparseL20bsrxmvn_17_32_kernelILj24EfliDF16_DF16_fEEvT2_20rocsparse_direction_NS_24const_host_device_scalarIT0_EES1_PKS1_PKT1_SA_S7_PKT3_PKT4_S5_PT5_21rocsparse_index_base_b,@function
_ZN9rocsparseL20bsrxmvn_17_32_kernelILj24EfliDF16_DF16_fEEvT2_20rocsparse_direction_NS_24const_host_device_scalarIT0_EES1_PKS1_PKT1_SA_S7_PKT3_PKT4_S5_PT5_21rocsparse_index_base_b: ; @_ZN9rocsparseL20bsrxmvn_17_32_kernelILj24EfliDF16_DF16_fEEvT2_20rocsparse_direction_NS_24const_host_device_scalarIT0_EES1_PKS1_PKT1_SA_S7_PKT3_PKT4_S5_PT5_21rocsparse_index_base_b
; %bb.0:
	s_load_dwordx2 s[18:19], s[4:5], 0x58
	s_load_dwordx2 s[14:15], s[4:5], 0x8
	;; [unrolled: 1-line block ×3, first 2 shown]
	s_waitcnt lgkmcnt(0)
	s_bitcmp1_b32 s19, 0
	s_cselect_b64 s[2:3], -1, 0
	s_xor_b64 s[0:1], s[2:3], -1
	s_and_b64 vcc, exec, s[2:3]
	s_cbranch_vccnz .LBB311_2
; %bb.1:
	s_load_dword s14, s[14:15], 0x0
.LBB311_2:
	s_andn2_b64 vcc, exec, s[0:1]
	s_cbranch_vccnz .LBB311_4
; %bb.3:
	s_load_dword s12, s[12:13], 0x0
.LBB311_4:
	s_waitcnt lgkmcnt(0)
	v_cmp_neq_f32_e64 s[0:1], s14, 0
	v_cmp_neq_f32_e64 s[2:3], s12, 1.0
	s_or_b64 s[0:1], s[0:1], s[2:3]
	s_andn2_b64 vcc, exec, s[0:1]
	s_cbranch_vccnz .LBB311_40
; %bb.5:
	s_load_dwordx4 s[0:3], s[4:5], 0x18
	s_load_dwordx2 s[8:9], s[4:5], 0x28
	s_waitcnt lgkmcnt(0)
	s_cmp_eq_u64 s[0:1], 0
	s_cbranch_scc1 .LBB311_7
; %bb.6:
	s_ashr_i32 s7, s6, 31
	s_lshl_b64 s[6:7], s[6:7], 2
	s_add_u32 s0, s0, s6
	s_addc_u32 s1, s1, s7
	s_load_dword s0, s[0:1], 0x0
	s_waitcnt lgkmcnt(0)
	s_sub_i32 s6, s0, s18
.LBB311_7:
	s_load_dword s7, s[4:5], 0x4
	s_load_dwordx2 s[16:17], s[4:5], 0x50
	v_mul_u32_u24_e32 v1, 0xaab, v0
	v_mov_b32_e32 v2, 24
	v_mul_lo_u16_sdwa v2, v1, v2 dst_sel:DWORD dst_unused:UNUSED_PAD src0_sel:WORD_1 src1_sel:DWORD
	s_waitcnt lgkmcnt(0)
	s_cmp_eq_u32 s7, 1
	s_cselect_b64 s[0:1], -1, 0
	s_cmp_lg_u32 s7, 1
	s_cselect_b64 s[20:21], -1, 0
	s_ashr_i32 s7, s6, 31
	s_lshl_b64 s[10:11], s[6:7], 3
	s_add_u32 s2, s2, s10
	s_addc_u32 s3, s3, s11
	s_add_u32 s7, s2, 8
	s_addc_u32 s13, s3, 0
	;; [unrolled: 2-line block ×3, first 2 shown]
	s_cmp_eq_u64 s[8:9], 0
	s_cselect_b32 s9, s13, s11
	s_cselect_b32 s8, s7, s10
	s_load_dwordx2 s[22:23], s[8:9], 0x0
	s_load_dwordx2 s[24:25], s[2:3], 0x0
	v_sub_u16_e32 v7, v0, v2
	v_mov_b32_e32 v6, 0
	s_waitcnt lgkmcnt(0)
	v_mov_b32_e32 v2, s22
	v_mov_b32_e32 v3, s23
	v_cmp_ge_i64_e32 vcc, s[24:25], v[2:3]
	s_cbranch_vccnz .LBB311_12
; %bb.8:
	s_load_dwordx4 s[8:11], s[4:5], 0x30
	s_load_dwordx2 s[2:3], s[4:5], 0x40
	s_sub_u32 s4, s22, s18
	s_mov_b32 s7, 0xffff
	s_subb_u32 s5, s23, 0
	s_movk_i32 s13, 0x240
	v_and_b32_sdwa v1, s7, v1 dst_sel:DWORD dst_unused:UNUSED_PAD src0_sel:DWORD src1_sel:WORD_1
	v_subrev_u32_e32 v2, 24, v1
	v_cmp_gt_u32_e32 vcc, s13, v0
	s_sub_u32 s22, s24, s18
	v_cndmask_b32_e32 v1, v2, v1, vcc
	s_subb_u32 s23, s25, 0
	v_cndmask_b32_e64 v1, v7, v1, s[0:1]
	s_mul_i32 s0, s23, 0x480
	s_mul_hi_u32 s1, s22, 0x480
	s_add_i32 s1, s1, s0
	s_mul_i32 s0, s22, 0x480
	s_waitcnt lgkmcnt(0)
	s_add_u32 s0, s10, s0
	s_addc_u32 s1, s11, s1
	v_lshlrev_b32_e32 v2, 1, v0
	v_mov_b32_e32 v3, s1
	v_add_co_u32_e32 v2, vcc, s0, v2
	v_addc_co_u32_e32 v3, vcc, 0, v3, vcc
	s_movk_i32 s0, 0x23f
	v_cmp_lt_u32_e32 vcc, s0, v0
	v_cndmask_b32_e64 v8, 0, 1, vcc
	v_mov_b32_e32 v4, s25
	v_add_co_u32_e32 v5, vcc, s24, v8
	v_addc_co_u32_e32 v9, vcc, 0, v4, vcc
	v_subrev_co_u32_e32 v4, vcc, s18, v5
	v_subbrev_co_u32_e32 v5, vcc, 0, v9, vcc
	v_lshlrev_b64 v[4:5], 2, v[4:5]
	v_mov_b32_e32 v9, s9
	v_add_co_u32_e32 v4, vcc, s8, v4
	v_mov_b32_e32 v6, 0
	v_addc_co_u32_e32 v5, vcc, v9, v5, vcc
	s_branch .LBB311_10
.LBB311_9:                              ;   in Loop: Header=BB311_10 Depth=1
	s_or_b64 exec, exec, s[0:1]
	s_add_u32 s22, s22, 1
	v_mov_b32_e32 v10, s5
	s_addc_u32 s23, s23, 0
	v_mov_b32_e32 v9, s4
	v_cmp_lt_i64_e32 vcc, s[22:23], v[9:10]
	v_add_co_u32_e64 v4, s[0:1], 4, v4
	v_addc_co_u32_e64 v5, s[0:1], 0, v5, s[0:1]
	s_cbranch_vccz .LBB311_12
.LBB311_10:                             ; =>This Inner Loop Header: Depth=1
	v_mov_b32_e32 v10, s23
	v_add_co_u32_e32 v9, vcc, s22, v8
	v_addc_co_u32_e32 v10, vcc, 0, v10, vcc
	v_cmp_gt_i64_e32 vcc, s[4:5], v[9:10]
	s_and_saveexec_b64 s[0:1], vcc
	s_cbranch_execz .LBB311_9
; %bb.11:                               ;   in Loop: Header=BB311_10 Depth=1
	global_load_dword v9, v[4:5], off
	v_mov_b32_e32 v12, s3
	global_load_ushort v11, v[2:3], off
	s_waitcnt vmcnt(1)
	v_subrev_u32_e32 v9, s18, v9
	v_mad_u64_u32 v[9:10], s[8:9], v9, 24, v[1:2]
	v_ashrrev_i32_e32 v10, 31, v9
	v_lshlrev_b64 v[9:10], 1, v[9:10]
	v_add_co_u32_e32 v9, vcc, s2, v9
	v_addc_co_u32_e32 v10, vcc, v12, v10, vcc
	global_load_ushort v9, v[9:10], off
	v_add_co_u32_e32 v2, vcc, 0x480, v2
	v_addc_co_u32_e32 v3, vcc, 0, v3, vcc
	s_waitcnt vmcnt(0)
	v_fma_mix_f32 v6, v11, v9, v6 op_sel_hi:[1,1,0]
	s_branch .LBB311_9
.LBB311_12:
	v_lshlrev_b32_e32 v1, 2, v0
	s_and_b64 vcc, exec, s[20:21]
	ds_write_b32 v1, v6
	s_waitcnt lgkmcnt(0)
	s_barrier
	s_cbranch_vccz .LBB311_24
; %bb.13:
	v_cmp_gt_u16_e32 vcc, 8, v7
	s_and_saveexec_b64 s[0:1], vcc
	s_cbranch_execz .LBB311_15
; %bb.14:
	ds_read2_b32 v[2:3], v1 offset1:16
	s_waitcnt lgkmcnt(0)
	v_add_f32_e32 v2, v3, v2
	ds_write_b32 v1, v2
.LBB311_15:
	s_or_b64 exec, exec, s[0:1]
	s_waitcnt lgkmcnt(0)
	s_barrier
	s_and_saveexec_b64 s[0:1], vcc
	s_cbranch_execz .LBB311_17
; %bb.16:
	ds_read2_b32 v[2:3], v1 offset1:8
	s_waitcnt lgkmcnt(0)
	v_add_f32_e32 v2, v3, v2
	ds_write_b32 v1, v2
.LBB311_17:
	s_or_b64 exec, exec, s[0:1]
	v_cmp_gt_u16_e32 vcc, 4, v7
	s_waitcnt lgkmcnt(0)
	s_barrier
	s_and_saveexec_b64 s[0:1], vcc
	s_cbranch_execz .LBB311_19
; %bb.18:
	ds_read2_b32 v[2:3], v1 offset1:4
	s_waitcnt lgkmcnt(0)
	v_add_f32_e32 v2, v3, v2
	ds_write_b32 v1, v2
.LBB311_19:
	s_or_b64 exec, exec, s[0:1]
	v_cmp_gt_u16_e32 vcc, 2, v7
	s_waitcnt lgkmcnt(0)
	s_barrier
	s_and_saveexec_b64 s[0:1], vcc
	s_cbranch_execz .LBB311_21
; %bb.20:
	ds_read2_b32 v[2:3], v1 offset1:2
	s_waitcnt lgkmcnt(0)
	v_add_f32_e32 v2, v3, v2
	ds_write_b32 v1, v2
.LBB311_21:
	s_or_b64 exec, exec, s[0:1]
	v_cmp_gt_u32_e32 vcc, 24, v0
	v_mov_b32_e32 v2, v6
	s_waitcnt lgkmcnt(0)
	s_barrier
	s_and_saveexec_b64 s[0:1], vcc
	s_cbranch_execz .LBB311_23
; %bb.22:
	s_movk_i32 s2, 0x5c
	v_mad_u32_u24 v2, v0, s2, v1
	ds_read_b64 v[2:3], v2
	s_waitcnt lgkmcnt(0)
	v_add_f32_e32 v2, v2, v3
.LBB311_23:
	s_or_b64 exec, exec, s[0:1]
	s_branch .LBB311_36
.LBB311_24:
                                        ; implicit-def: $vgpr2
	s_cbranch_execz .LBB311_36
; %bb.25:
	s_movk_i32 s0, 0xc0
	v_cmp_gt_u32_e32 vcc, s0, v0
	s_and_saveexec_b64 s[0:1], vcc
	s_cbranch_execz .LBB311_27
; %bb.26:
	ds_read2st64_b32 v[2:3], v1 offset1:6
	s_waitcnt lgkmcnt(0)
	v_add_f32_e32 v2, v3, v2
	ds_write_b32 v1, v2
.LBB311_27:
	s_or_b64 exec, exec, s[0:1]
	s_waitcnt lgkmcnt(0)
	s_barrier
	s_and_saveexec_b64 s[0:1], vcc
	s_cbranch_execz .LBB311_29
; %bb.28:
	ds_read2st64_b32 v[2:3], v1 offset1:3
	s_waitcnt lgkmcnt(0)
	v_add_f32_e32 v2, v3, v2
	ds_write_b32 v1, v2
.LBB311_29:
	s_or_b64 exec, exec, s[0:1]
	s_movk_i32 s0, 0x60
	v_cmp_gt_u32_e32 vcc, s0, v0
	s_waitcnt lgkmcnt(0)
	s_barrier
	s_and_saveexec_b64 s[0:1], vcc
	s_cbranch_execz .LBB311_31
; %bb.30:
	ds_read2_b32 v[2:3], v1 offset1:96
	s_waitcnt lgkmcnt(0)
	v_add_f32_e32 v2, v3, v2
	ds_write_b32 v1, v2
.LBB311_31:
	s_or_b64 exec, exec, s[0:1]
	v_cmp_gt_u32_e32 vcc, 48, v0
	s_waitcnt lgkmcnt(0)
	s_barrier
	s_and_saveexec_b64 s[0:1], vcc
	s_cbranch_execz .LBB311_33
; %bb.32:
	ds_read2_b32 v[2:3], v1 offset1:48
	s_waitcnt lgkmcnt(0)
	v_add_f32_e32 v2, v3, v2
	ds_write_b32 v1, v2
.LBB311_33:
	s_or_b64 exec, exec, s[0:1]
	v_cmp_gt_u32_e32 vcc, 24, v0
	s_waitcnt lgkmcnt(0)
	s_and_saveexec_b64 s[0:1], vcc
	s_cbranch_execz .LBB311_35
; %bb.34:
	ds_read2_b32 v[1:2], v1 offset1:24
	s_waitcnt lgkmcnt(0)
	v_add_f32_e32 v6, v1, v2
.LBB311_35:
	s_or_b64 exec, exec, s[0:1]
	v_mov_b32_e32 v2, v6
.LBB311_36:
	v_cmp_gt_u32_e32 vcc, 24, v0
	s_and_saveexec_b64 s[0:1], vcc
	s_cbranch_execz .LBB311_40
; %bb.37:
	v_cmp_eq_f32_e64 s[0:1], s12, 0
	s_and_b64 vcc, exec, s[0:1]
	v_mul_f32_e32 v1, s14, v2
	s_cbranch_vccz .LBB311_41
; %bb.38:
	v_mad_u64_u32 v[2:3], s[0:1], s6, 24, v[0:1]
	v_mov_b32_e32 v3, 0
	v_mov_b32_e32 v4, s17
	v_lshlrev_b64 v[2:3], 2, v[2:3]
	v_add_co_u32_e32 v2, vcc, s16, v2
	v_addc_co_u32_e32 v3, vcc, v4, v3, vcc
	global_store_dword v[2:3], v1, off
	s_cbranch_execnz .LBB311_40
.LBB311_39:
	v_mad_u64_u32 v[2:3], s[0:1], s6, 24, v[0:1]
	v_mov_b32_e32 v3, 0
	v_mov_b32_e32 v0, s17
	v_lshlrev_b64 v[2:3], 2, v[2:3]
	v_add_co_u32_e32 v2, vcc, s16, v2
	v_addc_co_u32_e32 v3, vcc, v0, v3, vcc
	global_load_dword v0, v[2:3], off
	s_waitcnt vmcnt(0)
	v_fmac_f32_e32 v1, s12, v0
	global_store_dword v[2:3], v1, off
.LBB311_40:
	s_endpgm
.LBB311_41:
	s_branch .LBB311_39
	.section	.rodata,"a",@progbits
	.p2align	6, 0x0
	.amdhsa_kernel _ZN9rocsparseL20bsrxmvn_17_32_kernelILj24EfliDF16_DF16_fEEvT2_20rocsparse_direction_NS_24const_host_device_scalarIT0_EES1_PKS1_PKT1_SA_S7_PKT3_PKT4_S5_PT5_21rocsparse_index_base_b
		.amdhsa_group_segment_fixed_size 2304
		.amdhsa_private_segment_fixed_size 0
		.amdhsa_kernarg_size 96
		.amdhsa_user_sgpr_count 6
		.amdhsa_user_sgpr_private_segment_buffer 1
		.amdhsa_user_sgpr_dispatch_ptr 0
		.amdhsa_user_sgpr_queue_ptr 0
		.amdhsa_user_sgpr_kernarg_segment_ptr 1
		.amdhsa_user_sgpr_dispatch_id 0
		.amdhsa_user_sgpr_flat_scratch_init 0
		.amdhsa_user_sgpr_private_segment_size 0
		.amdhsa_uses_dynamic_stack 0
		.amdhsa_system_sgpr_private_segment_wavefront_offset 0
		.amdhsa_system_sgpr_workgroup_id_x 1
		.amdhsa_system_sgpr_workgroup_id_y 0
		.amdhsa_system_sgpr_workgroup_id_z 0
		.amdhsa_system_sgpr_workgroup_info 0
		.amdhsa_system_vgpr_workitem_id 0
		.amdhsa_next_free_vgpr 25
		.amdhsa_next_free_sgpr 61
		.amdhsa_reserve_vcc 1
		.amdhsa_reserve_flat_scratch 0
		.amdhsa_float_round_mode_32 0
		.amdhsa_float_round_mode_16_64 0
		.amdhsa_float_denorm_mode_32 3
		.amdhsa_float_denorm_mode_16_64 3
		.amdhsa_dx10_clamp 1
		.amdhsa_ieee_mode 1
		.amdhsa_fp16_overflow 0
		.amdhsa_exception_fp_ieee_invalid_op 0
		.amdhsa_exception_fp_denorm_src 0
		.amdhsa_exception_fp_ieee_div_zero 0
		.amdhsa_exception_fp_ieee_overflow 0
		.amdhsa_exception_fp_ieee_underflow 0
		.amdhsa_exception_fp_ieee_inexact 0
		.amdhsa_exception_int_div_zero 0
	.end_amdhsa_kernel
	.section	.text._ZN9rocsparseL20bsrxmvn_17_32_kernelILj24EfliDF16_DF16_fEEvT2_20rocsparse_direction_NS_24const_host_device_scalarIT0_EES1_PKS1_PKT1_SA_S7_PKT3_PKT4_S5_PT5_21rocsparse_index_base_b,"axG",@progbits,_ZN9rocsparseL20bsrxmvn_17_32_kernelILj24EfliDF16_DF16_fEEvT2_20rocsparse_direction_NS_24const_host_device_scalarIT0_EES1_PKS1_PKT1_SA_S7_PKT3_PKT4_S5_PT5_21rocsparse_index_base_b,comdat
.Lfunc_end311:
	.size	_ZN9rocsparseL20bsrxmvn_17_32_kernelILj24EfliDF16_DF16_fEEvT2_20rocsparse_direction_NS_24const_host_device_scalarIT0_EES1_PKS1_PKT1_SA_S7_PKT3_PKT4_S5_PT5_21rocsparse_index_base_b, .Lfunc_end311-_ZN9rocsparseL20bsrxmvn_17_32_kernelILj24EfliDF16_DF16_fEEvT2_20rocsparse_direction_NS_24const_host_device_scalarIT0_EES1_PKS1_PKT1_SA_S7_PKT3_PKT4_S5_PT5_21rocsparse_index_base_b
                                        ; -- End function
	.set _ZN9rocsparseL20bsrxmvn_17_32_kernelILj24EfliDF16_DF16_fEEvT2_20rocsparse_direction_NS_24const_host_device_scalarIT0_EES1_PKS1_PKT1_SA_S7_PKT3_PKT4_S5_PT5_21rocsparse_index_base_b.num_vgpr, 13
	.set _ZN9rocsparseL20bsrxmvn_17_32_kernelILj24EfliDF16_DF16_fEEvT2_20rocsparse_direction_NS_24const_host_device_scalarIT0_EES1_PKS1_PKT1_SA_S7_PKT3_PKT4_S5_PT5_21rocsparse_index_base_b.num_agpr, 0
	.set _ZN9rocsparseL20bsrxmvn_17_32_kernelILj24EfliDF16_DF16_fEEvT2_20rocsparse_direction_NS_24const_host_device_scalarIT0_EES1_PKS1_PKT1_SA_S7_PKT3_PKT4_S5_PT5_21rocsparse_index_base_b.numbered_sgpr, 26
	.set _ZN9rocsparseL20bsrxmvn_17_32_kernelILj24EfliDF16_DF16_fEEvT2_20rocsparse_direction_NS_24const_host_device_scalarIT0_EES1_PKS1_PKT1_SA_S7_PKT3_PKT4_S5_PT5_21rocsparse_index_base_b.num_named_barrier, 0
	.set _ZN9rocsparseL20bsrxmvn_17_32_kernelILj24EfliDF16_DF16_fEEvT2_20rocsparse_direction_NS_24const_host_device_scalarIT0_EES1_PKS1_PKT1_SA_S7_PKT3_PKT4_S5_PT5_21rocsparse_index_base_b.private_seg_size, 0
	.set _ZN9rocsparseL20bsrxmvn_17_32_kernelILj24EfliDF16_DF16_fEEvT2_20rocsparse_direction_NS_24const_host_device_scalarIT0_EES1_PKS1_PKT1_SA_S7_PKT3_PKT4_S5_PT5_21rocsparse_index_base_b.uses_vcc, 1
	.set _ZN9rocsparseL20bsrxmvn_17_32_kernelILj24EfliDF16_DF16_fEEvT2_20rocsparse_direction_NS_24const_host_device_scalarIT0_EES1_PKS1_PKT1_SA_S7_PKT3_PKT4_S5_PT5_21rocsparse_index_base_b.uses_flat_scratch, 0
	.set _ZN9rocsparseL20bsrxmvn_17_32_kernelILj24EfliDF16_DF16_fEEvT2_20rocsparse_direction_NS_24const_host_device_scalarIT0_EES1_PKS1_PKT1_SA_S7_PKT3_PKT4_S5_PT5_21rocsparse_index_base_b.has_dyn_sized_stack, 0
	.set _ZN9rocsparseL20bsrxmvn_17_32_kernelILj24EfliDF16_DF16_fEEvT2_20rocsparse_direction_NS_24const_host_device_scalarIT0_EES1_PKS1_PKT1_SA_S7_PKT3_PKT4_S5_PT5_21rocsparse_index_base_b.has_recursion, 0
	.set _ZN9rocsparseL20bsrxmvn_17_32_kernelILj24EfliDF16_DF16_fEEvT2_20rocsparse_direction_NS_24const_host_device_scalarIT0_EES1_PKS1_PKT1_SA_S7_PKT3_PKT4_S5_PT5_21rocsparse_index_base_b.has_indirect_call, 0
	.section	.AMDGPU.csdata,"",@progbits
; Kernel info:
; codeLenInByte = 1300
; TotalNumSgprs: 30
; NumVgprs: 13
; ScratchSize: 0
; MemoryBound: 0
; FloatMode: 240
; IeeeMode: 1
; LDSByteSize: 2304 bytes/workgroup (compile time only)
; SGPRBlocks: 8
; VGPRBlocks: 6
; NumSGPRsForWavesPerEU: 65
; NumVGPRsForWavesPerEU: 25
; Occupancy: 9
; WaveLimiterHint : 1
; COMPUTE_PGM_RSRC2:SCRATCH_EN: 0
; COMPUTE_PGM_RSRC2:USER_SGPR: 6
; COMPUTE_PGM_RSRC2:TRAP_HANDLER: 0
; COMPUTE_PGM_RSRC2:TGID_X_EN: 1
; COMPUTE_PGM_RSRC2:TGID_Y_EN: 0
; COMPUTE_PGM_RSRC2:TGID_Z_EN: 0
; COMPUTE_PGM_RSRC2:TIDIG_COMP_CNT: 0
	.section	.text._ZN9rocsparseL20bsrxmvn_17_32_kernelILj25EfliDF16_DF16_fEEvT2_20rocsparse_direction_NS_24const_host_device_scalarIT0_EES1_PKS1_PKT1_SA_S7_PKT3_PKT4_S5_PT5_21rocsparse_index_base_b,"axG",@progbits,_ZN9rocsparseL20bsrxmvn_17_32_kernelILj25EfliDF16_DF16_fEEvT2_20rocsparse_direction_NS_24const_host_device_scalarIT0_EES1_PKS1_PKT1_SA_S7_PKT3_PKT4_S5_PT5_21rocsparse_index_base_b,comdat
	.globl	_ZN9rocsparseL20bsrxmvn_17_32_kernelILj25EfliDF16_DF16_fEEvT2_20rocsparse_direction_NS_24const_host_device_scalarIT0_EES1_PKS1_PKT1_SA_S7_PKT3_PKT4_S5_PT5_21rocsparse_index_base_b ; -- Begin function _ZN9rocsparseL20bsrxmvn_17_32_kernelILj25EfliDF16_DF16_fEEvT2_20rocsparse_direction_NS_24const_host_device_scalarIT0_EES1_PKS1_PKT1_SA_S7_PKT3_PKT4_S5_PT5_21rocsparse_index_base_b
	.p2align	8
	.type	_ZN9rocsparseL20bsrxmvn_17_32_kernelILj25EfliDF16_DF16_fEEvT2_20rocsparse_direction_NS_24const_host_device_scalarIT0_EES1_PKS1_PKT1_SA_S7_PKT3_PKT4_S5_PT5_21rocsparse_index_base_b,@function
_ZN9rocsparseL20bsrxmvn_17_32_kernelILj25EfliDF16_DF16_fEEvT2_20rocsparse_direction_NS_24const_host_device_scalarIT0_EES1_PKS1_PKT1_SA_S7_PKT3_PKT4_S5_PT5_21rocsparse_index_base_b: ; @_ZN9rocsparseL20bsrxmvn_17_32_kernelILj25EfliDF16_DF16_fEEvT2_20rocsparse_direction_NS_24const_host_device_scalarIT0_EES1_PKS1_PKT1_SA_S7_PKT3_PKT4_S5_PT5_21rocsparse_index_base_b
; %bb.0:
	s_load_dwordx2 s[18:19], s[4:5], 0x58
	s_load_dwordx2 s[14:15], s[4:5], 0x8
	;; [unrolled: 1-line block ×3, first 2 shown]
	s_waitcnt lgkmcnt(0)
	s_bitcmp1_b32 s19, 0
	s_cselect_b64 s[2:3], -1, 0
	s_xor_b64 s[0:1], s[2:3], -1
	s_and_b64 vcc, exec, s[2:3]
	s_cbranch_vccnz .LBB312_2
; %bb.1:
	s_load_dword s14, s[14:15], 0x0
.LBB312_2:
	s_andn2_b64 vcc, exec, s[0:1]
	s_cbranch_vccnz .LBB312_4
; %bb.3:
	s_load_dword s12, s[12:13], 0x0
.LBB312_4:
	s_waitcnt lgkmcnt(0)
	v_cmp_neq_f32_e64 s[0:1], s14, 0
	v_cmp_neq_f32_e64 s[2:3], s12, 1.0
	s_or_b64 s[0:1], s[0:1], s[2:3]
	s_andn2_b64 vcc, exec, s[0:1]
	s_cbranch_vccnz .LBB312_40
; %bb.5:
	s_load_dwordx4 s[0:3], s[4:5], 0x18
	s_load_dwordx2 s[8:9], s[4:5], 0x28
	s_waitcnt lgkmcnt(0)
	s_cmp_eq_u64 s[0:1], 0
	s_cbranch_scc1 .LBB312_7
; %bb.6:
	s_ashr_i32 s7, s6, 31
	s_lshl_b64 s[6:7], s[6:7], 2
	s_add_u32 s0, s0, s6
	s_addc_u32 s1, s1, s7
	s_load_dword s0, s[0:1], 0x0
	s_waitcnt lgkmcnt(0)
	s_sub_i32 s6, s0, s18
.LBB312_7:
	s_load_dword s7, s[4:5], 0x4
	s_load_dwordx2 s[16:17], s[4:5], 0x50
	v_mul_u32_u24_e32 v1, 0xa3e, v0
	v_mov_b32_e32 v2, 25
	v_mul_lo_u16_sdwa v2, v1, v2 dst_sel:DWORD dst_unused:UNUSED_PAD src0_sel:WORD_1 src1_sel:DWORD
	s_waitcnt lgkmcnt(0)
	s_cmp_eq_u32 s7, 1
	s_cselect_b64 s[0:1], -1, 0
	s_cmp_lg_u32 s7, 1
	s_cselect_b64 s[20:21], -1, 0
	s_ashr_i32 s7, s6, 31
	s_lshl_b64 s[10:11], s[6:7], 3
	s_add_u32 s2, s2, s10
	s_addc_u32 s3, s3, s11
	s_add_u32 s7, s2, 8
	s_addc_u32 s13, s3, 0
	s_add_u32 s10, s8, s10
	s_addc_u32 s11, s9, s11
	s_cmp_eq_u64 s[8:9], 0
	s_cselect_b32 s9, s13, s11
	s_cselect_b32 s8, s7, s10
	s_load_dwordx2 s[22:23], s[8:9], 0x0
	s_load_dwordx2 s[24:25], s[2:3], 0x0
	v_sub_u16_e32 v9, v0, v2
	v_mov_b32_e32 v8, 0
	s_waitcnt lgkmcnt(0)
	v_mov_b32_e32 v2, s22
	v_mov_b32_e32 v3, s23
	v_cmp_ge_i64_e32 vcc, s[24:25], v[2:3]
	s_cbranch_vccnz .LBB312_12
; %bb.8:
	s_load_dwordx4 s[8:11], s[4:5], 0x30
	s_load_dwordx2 s[2:3], s[4:5], 0x40
	s_sub_u32 s4, s22, s18
	s_mov_b32 s7, 0xffff
	s_subb_u32 s5, s23, 0
	s_movk_i32 s13, 0x271
	v_and_b32_sdwa v1, s7, v1 dst_sel:DWORD dst_unused:UNUSED_PAD src0_sel:DWORD src1_sel:WORD_1
	v_subrev_u32_e32 v2, 25, v1
	v_cmp_gt_u32_e32 vcc, s13, v0
	s_sub_u32 s22, s24, s18
	v_cndmask_b32_e32 v1, v2, v1, vcc
	s_subb_u32 s23, s25, 0
	v_cndmask_b32_e64 v1, v9, v1, s[0:1]
	s_mul_i32 s0, s23, 0x4e2
	s_mul_hi_u32 s1, s22, 0x4e2
	s_add_i32 s1, s1, s0
	s_mul_i32 s0, s22, 0x4e2
	s_waitcnt lgkmcnt(0)
	s_add_u32 s0, s10, s0
	s_addc_u32 s1, s11, s1
	v_lshlrev_b32_e32 v2, 1, v0
	v_mov_b32_e32 v3, s1
	v_add_co_u32_e32 v2, vcc, s0, v2
	v_addc_co_u32_e32 v3, vcc, 0, v3, vcc
	s_movk_i32 s0, 0x270
	v_cmp_lt_u32_e32 vcc, s0, v0
	v_cndmask_b32_e64 v10, 0, 1, vcc
	v_mov_b32_e32 v4, s25
	v_add_co_u32_e32 v5, vcc, s24, v10
	v_addc_co_u32_e32 v6, vcc, 0, v4, vcc
	v_subrev_co_u32_e32 v4, vcc, s18, v5
	v_subbrev_co_u32_e32 v5, vcc, 0, v6, vcc
	v_lshlrev_b64 v[4:5], 2, v[4:5]
	v_mov_b32_e32 v6, s9
	v_add_co_u32_e32 v4, vcc, s8, v4
	v_addc_co_u32_e32 v5, vcc, v6, v5, vcc
	v_mov_b32_e32 v7, s5
	v_mov_b32_e32 v8, 0
	;; [unrolled: 1-line block ×3, first 2 shown]
	s_branch .LBB312_10
.LBB312_9:                              ;   in Loop: Header=BB312_10 Depth=1
	s_or_b64 exec, exec, s[0:1]
	s_add_u32 s22, s22, 1
	s_addc_u32 s23, s23, 0
	v_cmp_lt_i64_e32 vcc, s[22:23], v[6:7]
	v_add_co_u32_e64 v4, s[0:1], 4, v4
	v_addc_co_u32_e64 v5, s[0:1], 0, v5, s[0:1]
	s_cbranch_vccz .LBB312_12
.LBB312_10:                             ; =>This Inner Loop Header: Depth=1
	v_mov_b32_e32 v12, s23
	v_add_co_u32_e32 v11, vcc, s22, v10
	v_addc_co_u32_e32 v12, vcc, 0, v12, vcc
	v_cmp_gt_i64_e32 vcc, s[4:5], v[11:12]
	s_and_saveexec_b64 s[0:1], vcc
	s_cbranch_execz .LBB312_9
; %bb.11:                               ;   in Loop: Header=BB312_10 Depth=1
	global_load_dword v11, v[4:5], off
	v_mov_b32_e32 v14, s3
	global_load_ushort v13, v[2:3], off
	s_waitcnt vmcnt(1)
	v_subrev_u32_e32 v11, s18, v11
	v_mad_u64_u32 v[11:12], s[8:9], v11, 25, v[1:2]
	v_ashrrev_i32_e32 v12, 31, v11
	v_lshlrev_b64 v[11:12], 1, v[11:12]
	v_add_co_u32_e32 v11, vcc, s2, v11
	v_addc_co_u32_e32 v12, vcc, v14, v12, vcc
	global_load_ushort v11, v[11:12], off
	v_add_co_u32_e32 v2, vcc, 0x4e2, v2
	v_addc_co_u32_e32 v3, vcc, 0, v3, vcc
	s_waitcnt vmcnt(0)
	v_fma_mix_f32 v8, v13, v11, v8 op_sel_hi:[1,1,0]
	s_branch .LBB312_9
.LBB312_12:
	v_lshlrev_b32_e32 v1, 2, v0
	s_and_b64 vcc, exec, s[20:21]
	ds_write_b32 v1, v8
	s_waitcnt lgkmcnt(0)
	s_barrier
	s_cbranch_vccz .LBB312_24
; %bb.13:
	v_cmp_gt_u16_e32 vcc, 9, v9
	s_and_saveexec_b64 s[0:1], vcc
	s_cbranch_execz .LBB312_15
; %bb.14:
	ds_read2_b32 v[2:3], v1 offset1:16
	s_waitcnt lgkmcnt(0)
	v_add_f32_e32 v2, v3, v2
	ds_write_b32 v1, v2
.LBB312_15:
	s_or_b64 exec, exec, s[0:1]
	v_cmp_gt_u16_e32 vcc, 8, v9
	s_waitcnt lgkmcnt(0)
	s_barrier
	s_and_saveexec_b64 s[0:1], vcc
	s_cbranch_execz .LBB312_17
; %bb.16:
	ds_read2_b32 v[2:3], v1 offset1:8
	s_waitcnt lgkmcnt(0)
	v_add_f32_e32 v2, v3, v2
	ds_write_b32 v1, v2
.LBB312_17:
	s_or_b64 exec, exec, s[0:1]
	v_cmp_gt_u16_e32 vcc, 4, v9
	s_waitcnt lgkmcnt(0)
	s_barrier
	;; [unrolled: 12-line block ×3, first 2 shown]
	s_and_saveexec_b64 s[0:1], vcc
	s_cbranch_execz .LBB312_21
; %bb.20:
	ds_read2_b32 v[2:3], v1 offset1:2
	s_waitcnt lgkmcnt(0)
	v_add_f32_e32 v2, v3, v2
	ds_write_b32 v1, v2
.LBB312_21:
	s_or_b64 exec, exec, s[0:1]
	v_cmp_gt_u32_e32 vcc, 25, v0
	v_mov_b32_e32 v2, v8
	s_waitcnt lgkmcnt(0)
	s_barrier
	s_and_saveexec_b64 s[0:1], vcc
	s_cbranch_execz .LBB312_23
; %bb.22:
	s_movk_i32 s2, 0x60
	v_mad_u32_u24 v2, v0, s2, v1
	ds_read2_b32 v[2:3], v2 offset1:1
	s_waitcnt lgkmcnt(0)
	v_add_f32_e32 v2, v2, v3
.LBB312_23:
	s_or_b64 exec, exec, s[0:1]
	s_branch .LBB312_36
.LBB312_24:
                                        ; implicit-def: $vgpr2
	s_cbranch_execz .LBB312_36
; %bb.25:
	s_movk_i32 s0, 0xe1
	v_cmp_gt_u32_e32 vcc, s0, v0
	s_and_saveexec_b64 s[0:1], vcc
	s_cbranch_execz .LBB312_27
; %bb.26:
	ds_read_b32 v2, v1 offset:1600
	ds_read_b32 v3, v1
	s_waitcnt lgkmcnt(0)
	v_add_f32_e32 v2, v2, v3
	ds_write_b32 v1, v2
.LBB312_27:
	s_or_b64 exec, exec, s[0:1]
	s_movk_i32 s0, 0xc8
	v_cmp_gt_u32_e32 vcc, s0, v0
	s_waitcnt lgkmcnt(0)
	s_barrier
	s_and_saveexec_b64 s[0:1], vcc
	s_cbranch_execz .LBB312_29
; %bb.28:
	ds_read2_b32 v[2:3], v1 offset1:200
	s_waitcnt lgkmcnt(0)
	v_add_f32_e32 v2, v3, v2
	ds_write_b32 v1, v2
.LBB312_29:
	s_or_b64 exec, exec, s[0:1]
	s_movk_i32 s0, 0x64
	v_cmp_gt_u32_e32 vcc, s0, v0
	s_waitcnt lgkmcnt(0)
	s_barrier
	s_and_saveexec_b64 s[0:1], vcc
	s_cbranch_execz .LBB312_31
; %bb.30:
	ds_read2_b32 v[2:3], v1 offset1:100
	s_waitcnt lgkmcnt(0)
	v_add_f32_e32 v2, v3, v2
	ds_write_b32 v1, v2
.LBB312_31:
	s_or_b64 exec, exec, s[0:1]
	v_cmp_gt_u32_e32 vcc, 50, v0
	s_waitcnt lgkmcnt(0)
	s_barrier
	s_and_saveexec_b64 s[0:1], vcc
	s_cbranch_execz .LBB312_33
; %bb.32:
	ds_read2_b32 v[2:3], v1 offset1:50
	s_waitcnt lgkmcnt(0)
	v_add_f32_e32 v2, v3, v2
	ds_write_b32 v1, v2
.LBB312_33:
	s_or_b64 exec, exec, s[0:1]
	v_cmp_gt_u32_e32 vcc, 25, v0
	s_waitcnt lgkmcnt(0)
	s_and_saveexec_b64 s[0:1], vcc
	s_cbranch_execz .LBB312_35
; %bb.34:
	ds_read2_b32 v[1:2], v1 offset1:25
	s_waitcnt lgkmcnt(0)
	v_add_f32_e32 v8, v1, v2
.LBB312_35:
	s_or_b64 exec, exec, s[0:1]
	v_mov_b32_e32 v2, v8
.LBB312_36:
	v_cmp_gt_u32_e32 vcc, 25, v0
	s_and_saveexec_b64 s[0:1], vcc
	s_cbranch_execz .LBB312_40
; %bb.37:
	v_cmp_eq_f32_e64 s[0:1], s12, 0
	s_and_b64 vcc, exec, s[0:1]
	v_mul_f32_e32 v1, s14, v2
	s_cbranch_vccz .LBB312_41
; %bb.38:
	v_mad_u64_u32 v[2:3], s[0:1], s6, 25, v[0:1]
	v_mov_b32_e32 v3, 0
	v_mov_b32_e32 v4, s17
	v_lshlrev_b64 v[2:3], 2, v[2:3]
	v_add_co_u32_e32 v2, vcc, s16, v2
	v_addc_co_u32_e32 v3, vcc, v4, v3, vcc
	global_store_dword v[2:3], v1, off
	s_cbranch_execnz .LBB312_40
.LBB312_39:
	v_mad_u64_u32 v[2:3], s[0:1], s6, 25, v[0:1]
	v_mov_b32_e32 v3, 0
	v_mov_b32_e32 v0, s17
	v_lshlrev_b64 v[2:3], 2, v[2:3]
	v_add_co_u32_e32 v2, vcc, s16, v2
	v_addc_co_u32_e32 v3, vcc, v0, v3, vcc
	global_load_dword v0, v[2:3], off
	s_waitcnt vmcnt(0)
	v_fmac_f32_e32 v1, s12, v0
	global_store_dword v[2:3], v1, off
.LBB312_40:
	s_endpgm
.LBB312_41:
	s_branch .LBB312_39
	.section	.rodata,"a",@progbits
	.p2align	6, 0x0
	.amdhsa_kernel _ZN9rocsparseL20bsrxmvn_17_32_kernelILj25EfliDF16_DF16_fEEvT2_20rocsparse_direction_NS_24const_host_device_scalarIT0_EES1_PKS1_PKT1_SA_S7_PKT3_PKT4_S5_PT5_21rocsparse_index_base_b
		.amdhsa_group_segment_fixed_size 2500
		.amdhsa_private_segment_fixed_size 0
		.amdhsa_kernarg_size 96
		.amdhsa_user_sgpr_count 6
		.amdhsa_user_sgpr_private_segment_buffer 1
		.amdhsa_user_sgpr_dispatch_ptr 0
		.amdhsa_user_sgpr_queue_ptr 0
		.amdhsa_user_sgpr_kernarg_segment_ptr 1
		.amdhsa_user_sgpr_dispatch_id 0
		.amdhsa_user_sgpr_flat_scratch_init 0
		.amdhsa_user_sgpr_private_segment_size 0
		.amdhsa_uses_dynamic_stack 0
		.amdhsa_system_sgpr_private_segment_wavefront_offset 0
		.amdhsa_system_sgpr_workgroup_id_x 1
		.amdhsa_system_sgpr_workgroup_id_y 0
		.amdhsa_system_sgpr_workgroup_id_z 0
		.amdhsa_system_sgpr_workgroup_info 0
		.amdhsa_system_vgpr_workitem_id 0
		.amdhsa_next_free_vgpr 15
		.amdhsa_next_free_sgpr 26
		.amdhsa_reserve_vcc 1
		.amdhsa_reserve_flat_scratch 0
		.amdhsa_float_round_mode_32 0
		.amdhsa_float_round_mode_16_64 0
		.amdhsa_float_denorm_mode_32 3
		.amdhsa_float_denorm_mode_16_64 3
		.amdhsa_dx10_clamp 1
		.amdhsa_ieee_mode 1
		.amdhsa_fp16_overflow 0
		.amdhsa_exception_fp_ieee_invalid_op 0
		.amdhsa_exception_fp_denorm_src 0
		.amdhsa_exception_fp_ieee_div_zero 0
		.amdhsa_exception_fp_ieee_overflow 0
		.amdhsa_exception_fp_ieee_underflow 0
		.amdhsa_exception_fp_ieee_inexact 0
		.amdhsa_exception_int_div_zero 0
	.end_amdhsa_kernel
	.section	.text._ZN9rocsparseL20bsrxmvn_17_32_kernelILj25EfliDF16_DF16_fEEvT2_20rocsparse_direction_NS_24const_host_device_scalarIT0_EES1_PKS1_PKT1_SA_S7_PKT3_PKT4_S5_PT5_21rocsparse_index_base_b,"axG",@progbits,_ZN9rocsparseL20bsrxmvn_17_32_kernelILj25EfliDF16_DF16_fEEvT2_20rocsparse_direction_NS_24const_host_device_scalarIT0_EES1_PKS1_PKT1_SA_S7_PKT3_PKT4_S5_PT5_21rocsparse_index_base_b,comdat
.Lfunc_end312:
	.size	_ZN9rocsparseL20bsrxmvn_17_32_kernelILj25EfliDF16_DF16_fEEvT2_20rocsparse_direction_NS_24const_host_device_scalarIT0_EES1_PKS1_PKT1_SA_S7_PKT3_PKT4_S5_PT5_21rocsparse_index_base_b, .Lfunc_end312-_ZN9rocsparseL20bsrxmvn_17_32_kernelILj25EfliDF16_DF16_fEEvT2_20rocsparse_direction_NS_24const_host_device_scalarIT0_EES1_PKS1_PKT1_SA_S7_PKT3_PKT4_S5_PT5_21rocsparse_index_base_b
                                        ; -- End function
	.set _ZN9rocsparseL20bsrxmvn_17_32_kernelILj25EfliDF16_DF16_fEEvT2_20rocsparse_direction_NS_24const_host_device_scalarIT0_EES1_PKS1_PKT1_SA_S7_PKT3_PKT4_S5_PT5_21rocsparse_index_base_b.num_vgpr, 15
	.set _ZN9rocsparseL20bsrxmvn_17_32_kernelILj25EfliDF16_DF16_fEEvT2_20rocsparse_direction_NS_24const_host_device_scalarIT0_EES1_PKS1_PKT1_SA_S7_PKT3_PKT4_S5_PT5_21rocsparse_index_base_b.num_agpr, 0
	.set _ZN9rocsparseL20bsrxmvn_17_32_kernelILj25EfliDF16_DF16_fEEvT2_20rocsparse_direction_NS_24const_host_device_scalarIT0_EES1_PKS1_PKT1_SA_S7_PKT3_PKT4_S5_PT5_21rocsparse_index_base_b.numbered_sgpr, 26
	.set _ZN9rocsparseL20bsrxmvn_17_32_kernelILj25EfliDF16_DF16_fEEvT2_20rocsparse_direction_NS_24const_host_device_scalarIT0_EES1_PKS1_PKT1_SA_S7_PKT3_PKT4_S5_PT5_21rocsparse_index_base_b.num_named_barrier, 0
	.set _ZN9rocsparseL20bsrxmvn_17_32_kernelILj25EfliDF16_DF16_fEEvT2_20rocsparse_direction_NS_24const_host_device_scalarIT0_EES1_PKS1_PKT1_SA_S7_PKT3_PKT4_S5_PT5_21rocsparse_index_base_b.private_seg_size, 0
	.set _ZN9rocsparseL20bsrxmvn_17_32_kernelILj25EfliDF16_DF16_fEEvT2_20rocsparse_direction_NS_24const_host_device_scalarIT0_EES1_PKS1_PKT1_SA_S7_PKT3_PKT4_S5_PT5_21rocsparse_index_base_b.uses_vcc, 1
	.set _ZN9rocsparseL20bsrxmvn_17_32_kernelILj25EfliDF16_DF16_fEEvT2_20rocsparse_direction_NS_24const_host_device_scalarIT0_EES1_PKS1_PKT1_SA_S7_PKT3_PKT4_S5_PT5_21rocsparse_index_base_b.uses_flat_scratch, 0
	.set _ZN9rocsparseL20bsrxmvn_17_32_kernelILj25EfliDF16_DF16_fEEvT2_20rocsparse_direction_NS_24const_host_device_scalarIT0_EES1_PKS1_PKT1_SA_S7_PKT3_PKT4_S5_PT5_21rocsparse_index_base_b.has_dyn_sized_stack, 0
	.set _ZN9rocsparseL20bsrxmvn_17_32_kernelILj25EfliDF16_DF16_fEEvT2_20rocsparse_direction_NS_24const_host_device_scalarIT0_EES1_PKS1_PKT1_SA_S7_PKT3_PKT4_S5_PT5_21rocsparse_index_base_b.has_recursion, 0
	.set _ZN9rocsparseL20bsrxmvn_17_32_kernelILj25EfliDF16_DF16_fEEvT2_20rocsparse_direction_NS_24const_host_device_scalarIT0_EES1_PKS1_PKT1_SA_S7_PKT3_PKT4_S5_PT5_21rocsparse_index_base_b.has_indirect_call, 0
	.section	.AMDGPU.csdata,"",@progbits
; Kernel info:
; codeLenInByte = 1320
; TotalNumSgprs: 30
; NumVgprs: 15
; ScratchSize: 0
; MemoryBound: 0
; FloatMode: 240
; IeeeMode: 1
; LDSByteSize: 2500 bytes/workgroup (compile time only)
; SGPRBlocks: 3
; VGPRBlocks: 3
; NumSGPRsForWavesPerEU: 30
; NumVGPRsForWavesPerEU: 15
; Occupancy: 10
; WaveLimiterHint : 1
; COMPUTE_PGM_RSRC2:SCRATCH_EN: 0
; COMPUTE_PGM_RSRC2:USER_SGPR: 6
; COMPUTE_PGM_RSRC2:TRAP_HANDLER: 0
; COMPUTE_PGM_RSRC2:TGID_X_EN: 1
; COMPUTE_PGM_RSRC2:TGID_Y_EN: 0
; COMPUTE_PGM_RSRC2:TGID_Z_EN: 0
; COMPUTE_PGM_RSRC2:TIDIG_COMP_CNT: 0
	.section	.text._ZN9rocsparseL20bsrxmvn_17_32_kernelILj26EfliDF16_DF16_fEEvT2_20rocsparse_direction_NS_24const_host_device_scalarIT0_EES1_PKS1_PKT1_SA_S7_PKT3_PKT4_S5_PT5_21rocsparse_index_base_b,"axG",@progbits,_ZN9rocsparseL20bsrxmvn_17_32_kernelILj26EfliDF16_DF16_fEEvT2_20rocsparse_direction_NS_24const_host_device_scalarIT0_EES1_PKS1_PKT1_SA_S7_PKT3_PKT4_S5_PT5_21rocsparse_index_base_b,comdat
	.globl	_ZN9rocsparseL20bsrxmvn_17_32_kernelILj26EfliDF16_DF16_fEEvT2_20rocsparse_direction_NS_24const_host_device_scalarIT0_EES1_PKS1_PKT1_SA_S7_PKT3_PKT4_S5_PT5_21rocsparse_index_base_b ; -- Begin function _ZN9rocsparseL20bsrxmvn_17_32_kernelILj26EfliDF16_DF16_fEEvT2_20rocsparse_direction_NS_24const_host_device_scalarIT0_EES1_PKS1_PKT1_SA_S7_PKT3_PKT4_S5_PT5_21rocsparse_index_base_b
	.p2align	8
	.type	_ZN9rocsparseL20bsrxmvn_17_32_kernelILj26EfliDF16_DF16_fEEvT2_20rocsparse_direction_NS_24const_host_device_scalarIT0_EES1_PKS1_PKT1_SA_S7_PKT3_PKT4_S5_PT5_21rocsparse_index_base_b,@function
_ZN9rocsparseL20bsrxmvn_17_32_kernelILj26EfliDF16_DF16_fEEvT2_20rocsparse_direction_NS_24const_host_device_scalarIT0_EES1_PKS1_PKT1_SA_S7_PKT3_PKT4_S5_PT5_21rocsparse_index_base_b: ; @_ZN9rocsparseL20bsrxmvn_17_32_kernelILj26EfliDF16_DF16_fEEvT2_20rocsparse_direction_NS_24const_host_device_scalarIT0_EES1_PKS1_PKT1_SA_S7_PKT3_PKT4_S5_PT5_21rocsparse_index_base_b
; %bb.0:
	s_load_dwordx2 s[18:19], s[4:5], 0x58
	s_load_dwordx2 s[14:15], s[4:5], 0x8
	;; [unrolled: 1-line block ×3, first 2 shown]
	s_waitcnt lgkmcnt(0)
	s_bitcmp1_b32 s19, 0
	s_cselect_b64 s[2:3], -1, 0
	s_xor_b64 s[0:1], s[2:3], -1
	s_and_b64 vcc, exec, s[2:3]
	s_cbranch_vccnz .LBB313_2
; %bb.1:
	s_load_dword s14, s[14:15], 0x0
.LBB313_2:
	s_andn2_b64 vcc, exec, s[0:1]
	s_cbranch_vccnz .LBB313_4
; %bb.3:
	s_load_dword s12, s[12:13], 0x0
.LBB313_4:
	s_waitcnt lgkmcnt(0)
	v_cmp_neq_f32_e64 s[0:1], s14, 0
	v_cmp_neq_f32_e64 s[2:3], s12, 1.0
	s_or_b64 s[0:1], s[0:1], s[2:3]
	s_andn2_b64 vcc, exec, s[0:1]
	s_cbranch_vccnz .LBB313_40
; %bb.5:
	s_load_dwordx4 s[0:3], s[4:5], 0x18
	s_load_dwordx2 s[8:9], s[4:5], 0x28
	s_waitcnt lgkmcnt(0)
	s_cmp_eq_u64 s[0:1], 0
	s_cbranch_scc1 .LBB313_7
; %bb.6:
	s_ashr_i32 s7, s6, 31
	s_lshl_b64 s[6:7], s[6:7], 2
	s_add_u32 s0, s0, s6
	s_addc_u32 s1, s1, s7
	s_load_dword s0, s[0:1], 0x0
	s_waitcnt lgkmcnt(0)
	s_sub_i32 s6, s0, s18
.LBB313_7:
	s_load_dword s7, s[4:5], 0x4
	s_load_dwordx2 s[16:17], s[4:5], 0x50
	v_mul_u32_u24_e32 v1, 0x9d9, v0
	v_mov_b32_e32 v2, 26
	v_mul_lo_u16_sdwa v2, v1, v2 dst_sel:DWORD dst_unused:UNUSED_PAD src0_sel:WORD_1 src1_sel:DWORD
	s_waitcnt lgkmcnt(0)
	s_cmp_eq_u32 s7, 1
	s_cselect_b64 s[0:1], -1, 0
	s_cmp_lg_u32 s7, 1
	s_cselect_b64 s[20:21], -1, 0
	s_ashr_i32 s7, s6, 31
	s_lshl_b64 s[10:11], s[6:7], 3
	s_add_u32 s2, s2, s10
	s_addc_u32 s3, s3, s11
	s_add_u32 s7, s2, 8
	s_addc_u32 s13, s3, 0
	;; [unrolled: 2-line block ×3, first 2 shown]
	s_cmp_eq_u64 s[8:9], 0
	s_cselect_b32 s9, s13, s11
	s_cselect_b32 s8, s7, s10
	s_load_dwordx2 s[22:23], s[8:9], 0x0
	s_load_dwordx2 s[24:25], s[2:3], 0x0
	v_sub_u16_e32 v9, v0, v2
	v_mov_b32_e32 v8, 0
	s_waitcnt lgkmcnt(0)
	v_mov_b32_e32 v2, s22
	v_mov_b32_e32 v3, s23
	v_cmp_ge_i64_e32 vcc, s[24:25], v[2:3]
	s_cbranch_vccnz .LBB313_12
; %bb.8:
	s_load_dwordx4 s[8:11], s[4:5], 0x30
	s_load_dwordx2 s[2:3], s[4:5], 0x40
	s_sub_u32 s4, s22, s18
	s_mov_b32 s7, 0xffff
	s_subb_u32 s5, s23, 0
	s_movk_i32 s13, 0x2a4
	v_and_b32_sdwa v1, s7, v1 dst_sel:DWORD dst_unused:UNUSED_PAD src0_sel:DWORD src1_sel:WORD_1
	v_subrev_u32_e32 v2, 26, v1
	v_cmp_gt_u32_e32 vcc, s13, v0
	s_sub_u32 s22, s24, s18
	v_cndmask_b32_e32 v1, v2, v1, vcc
	s_subb_u32 s23, s25, 0
	v_cndmask_b32_e64 v1, v9, v1, s[0:1]
	s_mul_i32 s0, s23, 0x548
	s_mul_hi_u32 s1, s22, 0x548
	s_add_i32 s1, s1, s0
	s_mul_i32 s0, s22, 0x548
	s_waitcnt lgkmcnt(0)
	s_add_u32 s0, s10, s0
	s_addc_u32 s1, s11, s1
	v_lshlrev_b32_e32 v2, 1, v0
	v_mov_b32_e32 v3, s1
	v_add_co_u32_e32 v2, vcc, s0, v2
	v_addc_co_u32_e32 v3, vcc, 0, v3, vcc
	s_movk_i32 s0, 0x2a3
	v_cmp_lt_u32_e32 vcc, s0, v0
	v_cndmask_b32_e64 v10, 0, 1, vcc
	v_mov_b32_e32 v4, s25
	v_add_co_u32_e32 v5, vcc, s24, v10
	v_addc_co_u32_e32 v6, vcc, 0, v4, vcc
	v_subrev_co_u32_e32 v4, vcc, s18, v5
	v_subbrev_co_u32_e32 v5, vcc, 0, v6, vcc
	v_lshlrev_b64 v[4:5], 2, v[4:5]
	v_mov_b32_e32 v6, s9
	v_add_co_u32_e32 v4, vcc, s8, v4
	v_addc_co_u32_e32 v5, vcc, v6, v5, vcc
	v_mov_b32_e32 v7, s5
	v_mov_b32_e32 v8, 0
	;; [unrolled: 1-line block ×3, first 2 shown]
	s_branch .LBB313_10
.LBB313_9:                              ;   in Loop: Header=BB313_10 Depth=1
	s_or_b64 exec, exec, s[0:1]
	s_add_u32 s22, s22, 1
	s_addc_u32 s23, s23, 0
	v_cmp_lt_i64_e32 vcc, s[22:23], v[6:7]
	v_add_co_u32_e64 v4, s[0:1], 4, v4
	v_addc_co_u32_e64 v5, s[0:1], 0, v5, s[0:1]
	s_cbranch_vccz .LBB313_12
.LBB313_10:                             ; =>This Inner Loop Header: Depth=1
	v_mov_b32_e32 v12, s23
	v_add_co_u32_e32 v11, vcc, s22, v10
	v_addc_co_u32_e32 v12, vcc, 0, v12, vcc
	v_cmp_gt_i64_e32 vcc, s[4:5], v[11:12]
	s_and_saveexec_b64 s[0:1], vcc
	s_cbranch_execz .LBB313_9
; %bb.11:                               ;   in Loop: Header=BB313_10 Depth=1
	global_load_dword v11, v[4:5], off
	v_mov_b32_e32 v14, s3
	global_load_ushort v13, v[2:3], off
	s_waitcnt vmcnt(1)
	v_subrev_u32_e32 v11, s18, v11
	v_mad_u64_u32 v[11:12], s[8:9], v11, 26, v[1:2]
	v_ashrrev_i32_e32 v12, 31, v11
	v_lshlrev_b64 v[11:12], 1, v[11:12]
	v_add_co_u32_e32 v11, vcc, s2, v11
	v_addc_co_u32_e32 v12, vcc, v14, v12, vcc
	global_load_ushort v11, v[11:12], off
	v_add_co_u32_e32 v2, vcc, 0x548, v2
	v_addc_co_u32_e32 v3, vcc, 0, v3, vcc
	s_waitcnt vmcnt(0)
	v_fma_mix_f32 v8, v13, v11, v8 op_sel_hi:[1,1,0]
	s_branch .LBB313_9
.LBB313_12:
	v_lshlrev_b32_e32 v1, 2, v0
	s_and_b64 vcc, exec, s[20:21]
	ds_write_b32 v1, v8
	s_waitcnt lgkmcnt(0)
	s_barrier
	s_cbranch_vccz .LBB313_24
; %bb.13:
	v_cmp_gt_u16_e32 vcc, 10, v9
	s_and_saveexec_b64 s[0:1], vcc
	s_cbranch_execz .LBB313_15
; %bb.14:
	ds_read2_b32 v[2:3], v1 offset1:16
	s_waitcnt lgkmcnt(0)
	v_add_f32_e32 v2, v3, v2
	ds_write_b32 v1, v2
.LBB313_15:
	s_or_b64 exec, exec, s[0:1]
	v_cmp_gt_u16_e32 vcc, 8, v9
	s_waitcnt lgkmcnt(0)
	s_barrier
	s_and_saveexec_b64 s[0:1], vcc
	s_cbranch_execz .LBB313_17
; %bb.16:
	ds_read2_b32 v[2:3], v1 offset1:8
	s_waitcnt lgkmcnt(0)
	v_add_f32_e32 v2, v3, v2
	ds_write_b32 v1, v2
.LBB313_17:
	s_or_b64 exec, exec, s[0:1]
	v_cmp_gt_u16_e32 vcc, 4, v9
	s_waitcnt lgkmcnt(0)
	s_barrier
	;; [unrolled: 12-line block ×3, first 2 shown]
	s_and_saveexec_b64 s[0:1], vcc
	s_cbranch_execz .LBB313_21
; %bb.20:
	ds_read2_b32 v[2:3], v1 offset1:2
	s_waitcnt lgkmcnt(0)
	v_add_f32_e32 v2, v3, v2
	ds_write_b32 v1, v2
.LBB313_21:
	s_or_b64 exec, exec, s[0:1]
	v_cmp_gt_u32_e32 vcc, 26, v0
	v_mov_b32_e32 v2, v8
	s_waitcnt lgkmcnt(0)
	s_barrier
	s_and_saveexec_b64 s[0:1], vcc
	s_cbranch_execz .LBB313_23
; %bb.22:
	s_movk_i32 s2, 0x64
	v_mad_u32_u24 v2, v0, s2, v1
	ds_read_b64 v[2:3], v2
	s_waitcnt lgkmcnt(0)
	v_add_f32_e32 v2, v2, v3
.LBB313_23:
	s_or_b64 exec, exec, s[0:1]
	s_branch .LBB313_36
.LBB313_24:
                                        ; implicit-def: $vgpr2
	s_cbranch_execz .LBB313_36
; %bb.25:
	s_movk_i32 s0, 0x104
	v_cmp_gt_u32_e32 vcc, s0, v0
	s_and_saveexec_b64 s[0:1], vcc
	s_cbranch_execz .LBB313_27
; %bb.26:
	ds_read_b32 v2, v1 offset:1664
	ds_read_b32 v3, v1
	s_waitcnt lgkmcnt(0)
	v_add_f32_e32 v2, v2, v3
	ds_write_b32 v1, v2
.LBB313_27:
	s_or_b64 exec, exec, s[0:1]
	s_movk_i32 s0, 0xd0
	v_cmp_gt_u32_e32 vcc, s0, v0
	s_waitcnt lgkmcnt(0)
	s_barrier
	s_and_saveexec_b64 s[0:1], vcc
	s_cbranch_execz .LBB313_29
; %bb.28:
	ds_read2_b32 v[2:3], v1 offset1:208
	s_waitcnt lgkmcnt(0)
	v_add_f32_e32 v2, v3, v2
	ds_write_b32 v1, v2
.LBB313_29:
	s_or_b64 exec, exec, s[0:1]
	s_movk_i32 s0, 0x68
	v_cmp_gt_u32_e32 vcc, s0, v0
	s_waitcnt lgkmcnt(0)
	s_barrier
	s_and_saveexec_b64 s[0:1], vcc
	s_cbranch_execz .LBB313_31
; %bb.30:
	ds_read2_b32 v[2:3], v1 offset1:104
	s_waitcnt lgkmcnt(0)
	v_add_f32_e32 v2, v3, v2
	ds_write_b32 v1, v2
.LBB313_31:
	s_or_b64 exec, exec, s[0:1]
	v_cmp_gt_u32_e32 vcc, 52, v0
	s_waitcnt lgkmcnt(0)
	s_barrier
	s_and_saveexec_b64 s[0:1], vcc
	s_cbranch_execz .LBB313_33
; %bb.32:
	ds_read2_b32 v[2:3], v1 offset1:52
	s_waitcnt lgkmcnt(0)
	v_add_f32_e32 v2, v3, v2
	ds_write_b32 v1, v2
.LBB313_33:
	s_or_b64 exec, exec, s[0:1]
	v_cmp_gt_u32_e32 vcc, 26, v0
	s_waitcnt lgkmcnt(0)
	s_and_saveexec_b64 s[0:1], vcc
	s_cbranch_execz .LBB313_35
; %bb.34:
	ds_read2_b32 v[1:2], v1 offset1:26
	s_waitcnt lgkmcnt(0)
	v_add_f32_e32 v8, v1, v2
.LBB313_35:
	s_or_b64 exec, exec, s[0:1]
	v_mov_b32_e32 v2, v8
.LBB313_36:
	v_cmp_gt_u32_e32 vcc, 26, v0
	s_and_saveexec_b64 s[0:1], vcc
	s_cbranch_execz .LBB313_40
; %bb.37:
	v_cmp_eq_f32_e64 s[0:1], s12, 0
	s_and_b64 vcc, exec, s[0:1]
	v_mul_f32_e32 v1, s14, v2
	s_cbranch_vccz .LBB313_41
; %bb.38:
	v_mad_u64_u32 v[2:3], s[0:1], s6, 26, v[0:1]
	v_mov_b32_e32 v3, 0
	v_mov_b32_e32 v4, s17
	v_lshlrev_b64 v[2:3], 2, v[2:3]
	v_add_co_u32_e32 v2, vcc, s16, v2
	v_addc_co_u32_e32 v3, vcc, v4, v3, vcc
	global_store_dword v[2:3], v1, off
	s_cbranch_execnz .LBB313_40
.LBB313_39:
	v_mad_u64_u32 v[2:3], s[0:1], s6, 26, v[0:1]
	v_mov_b32_e32 v3, 0
	v_mov_b32_e32 v0, s17
	v_lshlrev_b64 v[2:3], 2, v[2:3]
	v_add_co_u32_e32 v2, vcc, s16, v2
	v_addc_co_u32_e32 v3, vcc, v0, v3, vcc
	global_load_dword v0, v[2:3], off
	s_waitcnt vmcnt(0)
	v_fmac_f32_e32 v1, s12, v0
	global_store_dword v[2:3], v1, off
.LBB313_40:
	s_endpgm
.LBB313_41:
	s_branch .LBB313_39
	.section	.rodata,"a",@progbits
	.p2align	6, 0x0
	.amdhsa_kernel _ZN9rocsparseL20bsrxmvn_17_32_kernelILj26EfliDF16_DF16_fEEvT2_20rocsparse_direction_NS_24const_host_device_scalarIT0_EES1_PKS1_PKT1_SA_S7_PKT3_PKT4_S5_PT5_21rocsparse_index_base_b
		.amdhsa_group_segment_fixed_size 2704
		.amdhsa_private_segment_fixed_size 0
		.amdhsa_kernarg_size 96
		.amdhsa_user_sgpr_count 6
		.amdhsa_user_sgpr_private_segment_buffer 1
		.amdhsa_user_sgpr_dispatch_ptr 0
		.amdhsa_user_sgpr_queue_ptr 0
		.amdhsa_user_sgpr_kernarg_segment_ptr 1
		.amdhsa_user_sgpr_dispatch_id 0
		.amdhsa_user_sgpr_flat_scratch_init 0
		.amdhsa_user_sgpr_private_segment_size 0
		.amdhsa_uses_dynamic_stack 0
		.amdhsa_system_sgpr_private_segment_wavefront_offset 0
		.amdhsa_system_sgpr_workgroup_id_x 1
		.amdhsa_system_sgpr_workgroup_id_y 0
		.amdhsa_system_sgpr_workgroup_id_z 0
		.amdhsa_system_sgpr_workgroup_info 0
		.amdhsa_system_vgpr_workitem_id 0
		.amdhsa_next_free_vgpr 25
		.amdhsa_next_free_sgpr 61
		.amdhsa_reserve_vcc 1
		.amdhsa_reserve_flat_scratch 0
		.amdhsa_float_round_mode_32 0
		.amdhsa_float_round_mode_16_64 0
		.amdhsa_float_denorm_mode_32 3
		.amdhsa_float_denorm_mode_16_64 3
		.amdhsa_dx10_clamp 1
		.amdhsa_ieee_mode 1
		.amdhsa_fp16_overflow 0
		.amdhsa_exception_fp_ieee_invalid_op 0
		.amdhsa_exception_fp_denorm_src 0
		.amdhsa_exception_fp_ieee_div_zero 0
		.amdhsa_exception_fp_ieee_overflow 0
		.amdhsa_exception_fp_ieee_underflow 0
		.amdhsa_exception_fp_ieee_inexact 0
		.amdhsa_exception_int_div_zero 0
	.end_amdhsa_kernel
	.section	.text._ZN9rocsparseL20bsrxmvn_17_32_kernelILj26EfliDF16_DF16_fEEvT2_20rocsparse_direction_NS_24const_host_device_scalarIT0_EES1_PKS1_PKT1_SA_S7_PKT3_PKT4_S5_PT5_21rocsparse_index_base_b,"axG",@progbits,_ZN9rocsparseL20bsrxmvn_17_32_kernelILj26EfliDF16_DF16_fEEvT2_20rocsparse_direction_NS_24const_host_device_scalarIT0_EES1_PKS1_PKT1_SA_S7_PKT3_PKT4_S5_PT5_21rocsparse_index_base_b,comdat
.Lfunc_end313:
	.size	_ZN9rocsparseL20bsrxmvn_17_32_kernelILj26EfliDF16_DF16_fEEvT2_20rocsparse_direction_NS_24const_host_device_scalarIT0_EES1_PKS1_PKT1_SA_S7_PKT3_PKT4_S5_PT5_21rocsparse_index_base_b, .Lfunc_end313-_ZN9rocsparseL20bsrxmvn_17_32_kernelILj26EfliDF16_DF16_fEEvT2_20rocsparse_direction_NS_24const_host_device_scalarIT0_EES1_PKS1_PKT1_SA_S7_PKT3_PKT4_S5_PT5_21rocsparse_index_base_b
                                        ; -- End function
	.set _ZN9rocsparseL20bsrxmvn_17_32_kernelILj26EfliDF16_DF16_fEEvT2_20rocsparse_direction_NS_24const_host_device_scalarIT0_EES1_PKS1_PKT1_SA_S7_PKT3_PKT4_S5_PT5_21rocsparse_index_base_b.num_vgpr, 15
	.set _ZN9rocsparseL20bsrxmvn_17_32_kernelILj26EfliDF16_DF16_fEEvT2_20rocsparse_direction_NS_24const_host_device_scalarIT0_EES1_PKS1_PKT1_SA_S7_PKT3_PKT4_S5_PT5_21rocsparse_index_base_b.num_agpr, 0
	.set _ZN9rocsparseL20bsrxmvn_17_32_kernelILj26EfliDF16_DF16_fEEvT2_20rocsparse_direction_NS_24const_host_device_scalarIT0_EES1_PKS1_PKT1_SA_S7_PKT3_PKT4_S5_PT5_21rocsparse_index_base_b.numbered_sgpr, 26
	.set _ZN9rocsparseL20bsrxmvn_17_32_kernelILj26EfliDF16_DF16_fEEvT2_20rocsparse_direction_NS_24const_host_device_scalarIT0_EES1_PKS1_PKT1_SA_S7_PKT3_PKT4_S5_PT5_21rocsparse_index_base_b.num_named_barrier, 0
	.set _ZN9rocsparseL20bsrxmvn_17_32_kernelILj26EfliDF16_DF16_fEEvT2_20rocsparse_direction_NS_24const_host_device_scalarIT0_EES1_PKS1_PKT1_SA_S7_PKT3_PKT4_S5_PT5_21rocsparse_index_base_b.private_seg_size, 0
	.set _ZN9rocsparseL20bsrxmvn_17_32_kernelILj26EfliDF16_DF16_fEEvT2_20rocsparse_direction_NS_24const_host_device_scalarIT0_EES1_PKS1_PKT1_SA_S7_PKT3_PKT4_S5_PT5_21rocsparse_index_base_b.uses_vcc, 1
	.set _ZN9rocsparseL20bsrxmvn_17_32_kernelILj26EfliDF16_DF16_fEEvT2_20rocsparse_direction_NS_24const_host_device_scalarIT0_EES1_PKS1_PKT1_SA_S7_PKT3_PKT4_S5_PT5_21rocsparse_index_base_b.uses_flat_scratch, 0
	.set _ZN9rocsparseL20bsrxmvn_17_32_kernelILj26EfliDF16_DF16_fEEvT2_20rocsparse_direction_NS_24const_host_device_scalarIT0_EES1_PKS1_PKT1_SA_S7_PKT3_PKT4_S5_PT5_21rocsparse_index_base_b.has_dyn_sized_stack, 0
	.set _ZN9rocsparseL20bsrxmvn_17_32_kernelILj26EfliDF16_DF16_fEEvT2_20rocsparse_direction_NS_24const_host_device_scalarIT0_EES1_PKS1_PKT1_SA_S7_PKT3_PKT4_S5_PT5_21rocsparse_index_base_b.has_recursion, 0
	.set _ZN9rocsparseL20bsrxmvn_17_32_kernelILj26EfliDF16_DF16_fEEvT2_20rocsparse_direction_NS_24const_host_device_scalarIT0_EES1_PKS1_PKT1_SA_S7_PKT3_PKT4_S5_PT5_21rocsparse_index_base_b.has_indirect_call, 0
	.section	.AMDGPU.csdata,"",@progbits
; Kernel info:
; codeLenInByte = 1320
; TotalNumSgprs: 30
; NumVgprs: 15
; ScratchSize: 0
; MemoryBound: 0
; FloatMode: 240
; IeeeMode: 1
; LDSByteSize: 2704 bytes/workgroup (compile time only)
; SGPRBlocks: 8
; VGPRBlocks: 6
; NumSGPRsForWavesPerEU: 65
; NumVGPRsForWavesPerEU: 25
; Occupancy: 9
; WaveLimiterHint : 1
; COMPUTE_PGM_RSRC2:SCRATCH_EN: 0
; COMPUTE_PGM_RSRC2:USER_SGPR: 6
; COMPUTE_PGM_RSRC2:TRAP_HANDLER: 0
; COMPUTE_PGM_RSRC2:TGID_X_EN: 1
; COMPUTE_PGM_RSRC2:TGID_Y_EN: 0
; COMPUTE_PGM_RSRC2:TGID_Z_EN: 0
; COMPUTE_PGM_RSRC2:TIDIG_COMP_CNT: 0
	.section	.text._ZN9rocsparseL20bsrxmvn_17_32_kernelILj27EfliDF16_DF16_fEEvT2_20rocsparse_direction_NS_24const_host_device_scalarIT0_EES1_PKS1_PKT1_SA_S7_PKT3_PKT4_S5_PT5_21rocsparse_index_base_b,"axG",@progbits,_ZN9rocsparseL20bsrxmvn_17_32_kernelILj27EfliDF16_DF16_fEEvT2_20rocsparse_direction_NS_24const_host_device_scalarIT0_EES1_PKS1_PKT1_SA_S7_PKT3_PKT4_S5_PT5_21rocsparse_index_base_b,comdat
	.globl	_ZN9rocsparseL20bsrxmvn_17_32_kernelILj27EfliDF16_DF16_fEEvT2_20rocsparse_direction_NS_24const_host_device_scalarIT0_EES1_PKS1_PKT1_SA_S7_PKT3_PKT4_S5_PT5_21rocsparse_index_base_b ; -- Begin function _ZN9rocsparseL20bsrxmvn_17_32_kernelILj27EfliDF16_DF16_fEEvT2_20rocsparse_direction_NS_24const_host_device_scalarIT0_EES1_PKS1_PKT1_SA_S7_PKT3_PKT4_S5_PT5_21rocsparse_index_base_b
	.p2align	8
	.type	_ZN9rocsparseL20bsrxmvn_17_32_kernelILj27EfliDF16_DF16_fEEvT2_20rocsparse_direction_NS_24const_host_device_scalarIT0_EES1_PKS1_PKT1_SA_S7_PKT3_PKT4_S5_PT5_21rocsparse_index_base_b,@function
_ZN9rocsparseL20bsrxmvn_17_32_kernelILj27EfliDF16_DF16_fEEvT2_20rocsparse_direction_NS_24const_host_device_scalarIT0_EES1_PKS1_PKT1_SA_S7_PKT3_PKT4_S5_PT5_21rocsparse_index_base_b: ; @_ZN9rocsparseL20bsrxmvn_17_32_kernelILj27EfliDF16_DF16_fEEvT2_20rocsparse_direction_NS_24const_host_device_scalarIT0_EES1_PKS1_PKT1_SA_S7_PKT3_PKT4_S5_PT5_21rocsparse_index_base_b
; %bb.0:
	s_load_dwordx2 s[18:19], s[4:5], 0x58
	s_load_dwordx2 s[14:15], s[4:5], 0x8
	;; [unrolled: 1-line block ×3, first 2 shown]
	s_waitcnt lgkmcnt(0)
	s_bitcmp1_b32 s19, 0
	s_cselect_b64 s[2:3], -1, 0
	s_xor_b64 s[0:1], s[2:3], -1
	s_and_b64 vcc, exec, s[2:3]
	s_cbranch_vccnz .LBB314_2
; %bb.1:
	s_load_dword s14, s[14:15], 0x0
.LBB314_2:
	s_andn2_b64 vcc, exec, s[0:1]
	s_cbranch_vccnz .LBB314_4
; %bb.3:
	s_load_dword s12, s[12:13], 0x0
.LBB314_4:
	s_waitcnt lgkmcnt(0)
	v_cmp_neq_f32_e64 s[0:1], s14, 0
	v_cmp_neq_f32_e64 s[2:3], s12, 1.0
	s_or_b64 s[0:1], s[0:1], s[2:3]
	s_andn2_b64 vcc, exec, s[0:1]
	s_cbranch_vccnz .LBB314_40
; %bb.5:
	s_load_dwordx4 s[0:3], s[4:5], 0x18
	s_load_dwordx2 s[8:9], s[4:5], 0x28
	s_waitcnt lgkmcnt(0)
	s_cmp_eq_u64 s[0:1], 0
	s_cbranch_scc1 .LBB314_7
; %bb.6:
	s_ashr_i32 s7, s6, 31
	s_lshl_b64 s[6:7], s[6:7], 2
	s_add_u32 s0, s0, s6
	s_addc_u32 s1, s1, s7
	s_load_dword s0, s[0:1], 0x0
	s_waitcnt lgkmcnt(0)
	s_sub_i32 s6, s0, s18
.LBB314_7:
	s_load_dword s7, s[4:5], 0x4
	s_load_dwordx2 s[16:17], s[4:5], 0x50
	v_mul_u32_u24_e32 v1, 0x97c, v0
	v_mov_b32_e32 v2, 27
	v_mul_lo_u16_sdwa v2, v1, v2 dst_sel:DWORD dst_unused:UNUSED_PAD src0_sel:WORD_1 src1_sel:DWORD
	s_waitcnt lgkmcnt(0)
	s_cmp_eq_u32 s7, 1
	s_cselect_b64 s[0:1], -1, 0
	s_cmp_lg_u32 s7, 1
	s_cselect_b64 s[20:21], -1, 0
	s_ashr_i32 s7, s6, 31
	s_lshl_b64 s[10:11], s[6:7], 3
	s_add_u32 s2, s2, s10
	s_addc_u32 s3, s3, s11
	s_add_u32 s7, s2, 8
	s_addc_u32 s13, s3, 0
	;; [unrolled: 2-line block ×3, first 2 shown]
	s_cmp_eq_u64 s[8:9], 0
	s_cselect_b32 s9, s13, s11
	s_cselect_b32 s8, s7, s10
	s_load_dwordx2 s[22:23], s[8:9], 0x0
	s_load_dwordx2 s[24:25], s[2:3], 0x0
	v_sub_u16_e32 v9, v0, v2
	v_mov_b32_e32 v8, 0
	s_waitcnt lgkmcnt(0)
	v_mov_b32_e32 v2, s22
	v_mov_b32_e32 v3, s23
	v_cmp_ge_i64_e32 vcc, s[24:25], v[2:3]
	s_cbranch_vccnz .LBB314_12
; %bb.8:
	s_load_dwordx4 s[8:11], s[4:5], 0x30
	s_load_dwordx2 s[2:3], s[4:5], 0x40
	s_sub_u32 s4, s22, s18
	s_mov_b32 s7, 0xffff
	s_subb_u32 s5, s23, 0
	s_movk_i32 s13, 0x2d9
	v_and_b32_sdwa v1, s7, v1 dst_sel:DWORD dst_unused:UNUSED_PAD src0_sel:DWORD src1_sel:WORD_1
	v_subrev_u32_e32 v2, 27, v1
	v_cmp_gt_u32_e32 vcc, s13, v0
	s_sub_u32 s22, s24, s18
	v_cndmask_b32_e32 v1, v2, v1, vcc
	s_subb_u32 s23, s25, 0
	v_cndmask_b32_e64 v1, v9, v1, s[0:1]
	s_mul_i32 s0, s23, 0x5b2
	s_mul_hi_u32 s1, s22, 0x5b2
	s_add_i32 s1, s1, s0
	s_mul_i32 s0, s22, 0x5b2
	s_waitcnt lgkmcnt(0)
	s_add_u32 s0, s10, s0
	s_addc_u32 s1, s11, s1
	v_lshlrev_b32_e32 v2, 1, v0
	v_mov_b32_e32 v3, s1
	v_add_co_u32_e32 v2, vcc, s0, v2
	v_addc_co_u32_e32 v3, vcc, 0, v3, vcc
	s_movk_i32 s0, 0x2d8
	v_cmp_lt_u32_e32 vcc, s0, v0
	v_cndmask_b32_e64 v10, 0, 1, vcc
	v_mov_b32_e32 v4, s25
	v_add_co_u32_e32 v5, vcc, s24, v10
	v_addc_co_u32_e32 v6, vcc, 0, v4, vcc
	v_subrev_co_u32_e32 v4, vcc, s18, v5
	v_subbrev_co_u32_e32 v5, vcc, 0, v6, vcc
	v_lshlrev_b64 v[4:5], 2, v[4:5]
	v_mov_b32_e32 v6, s9
	v_add_co_u32_e32 v4, vcc, s8, v4
	v_addc_co_u32_e32 v5, vcc, v6, v5, vcc
	v_mov_b32_e32 v7, s5
	v_mov_b32_e32 v8, 0
	;; [unrolled: 1-line block ×3, first 2 shown]
	s_branch .LBB314_10
.LBB314_9:                              ;   in Loop: Header=BB314_10 Depth=1
	s_or_b64 exec, exec, s[0:1]
	s_add_u32 s22, s22, 1
	s_addc_u32 s23, s23, 0
	v_cmp_lt_i64_e32 vcc, s[22:23], v[6:7]
	v_add_co_u32_e64 v4, s[0:1], 4, v4
	v_addc_co_u32_e64 v5, s[0:1], 0, v5, s[0:1]
	s_cbranch_vccz .LBB314_12
.LBB314_10:                             ; =>This Inner Loop Header: Depth=1
	v_mov_b32_e32 v12, s23
	v_add_co_u32_e32 v11, vcc, s22, v10
	v_addc_co_u32_e32 v12, vcc, 0, v12, vcc
	v_cmp_gt_i64_e32 vcc, s[4:5], v[11:12]
	s_and_saveexec_b64 s[0:1], vcc
	s_cbranch_execz .LBB314_9
; %bb.11:                               ;   in Loop: Header=BB314_10 Depth=1
	global_load_dword v11, v[4:5], off
	v_mov_b32_e32 v14, s3
	global_load_ushort v13, v[2:3], off
	s_waitcnt vmcnt(1)
	v_subrev_u32_e32 v11, s18, v11
	v_mad_u64_u32 v[11:12], s[8:9], v11, 27, v[1:2]
	v_ashrrev_i32_e32 v12, 31, v11
	v_lshlrev_b64 v[11:12], 1, v[11:12]
	v_add_co_u32_e32 v11, vcc, s2, v11
	v_addc_co_u32_e32 v12, vcc, v14, v12, vcc
	global_load_ushort v11, v[11:12], off
	v_add_co_u32_e32 v2, vcc, 0x5b2, v2
	v_addc_co_u32_e32 v3, vcc, 0, v3, vcc
	s_waitcnt vmcnt(0)
	v_fma_mix_f32 v8, v13, v11, v8 op_sel_hi:[1,1,0]
	s_branch .LBB314_9
.LBB314_12:
	v_lshlrev_b32_e32 v1, 2, v0
	s_and_b64 vcc, exec, s[20:21]
	ds_write_b32 v1, v8
	s_waitcnt lgkmcnt(0)
	s_barrier
	s_cbranch_vccz .LBB314_24
; %bb.13:
	v_cmp_gt_u16_e32 vcc, 11, v9
	s_and_saveexec_b64 s[0:1], vcc
	s_cbranch_execz .LBB314_15
; %bb.14:
	ds_read2_b32 v[2:3], v1 offset1:16
	s_waitcnt lgkmcnt(0)
	v_add_f32_e32 v2, v3, v2
	ds_write_b32 v1, v2
.LBB314_15:
	s_or_b64 exec, exec, s[0:1]
	v_cmp_gt_u16_e32 vcc, 8, v9
	s_waitcnt lgkmcnt(0)
	s_barrier
	s_and_saveexec_b64 s[0:1], vcc
	s_cbranch_execz .LBB314_17
; %bb.16:
	ds_read2_b32 v[2:3], v1 offset1:8
	s_waitcnt lgkmcnt(0)
	v_add_f32_e32 v2, v3, v2
	ds_write_b32 v1, v2
.LBB314_17:
	s_or_b64 exec, exec, s[0:1]
	v_cmp_gt_u16_e32 vcc, 4, v9
	s_waitcnt lgkmcnt(0)
	s_barrier
	;; [unrolled: 12-line block ×3, first 2 shown]
	s_and_saveexec_b64 s[0:1], vcc
	s_cbranch_execz .LBB314_21
; %bb.20:
	ds_read2_b32 v[2:3], v1 offset1:2
	s_waitcnt lgkmcnt(0)
	v_add_f32_e32 v2, v3, v2
	ds_write_b32 v1, v2
.LBB314_21:
	s_or_b64 exec, exec, s[0:1]
	v_cmp_gt_u32_e32 vcc, 27, v0
	v_mov_b32_e32 v2, v8
	s_waitcnt lgkmcnt(0)
	s_barrier
	s_and_saveexec_b64 s[0:1], vcc
	s_cbranch_execz .LBB314_23
; %bb.22:
	s_movk_i32 s2, 0x68
	v_mad_u32_u24 v2, v0, s2, v1
	ds_read2_b32 v[2:3], v2 offset1:1
	s_waitcnt lgkmcnt(0)
	v_add_f32_e32 v2, v2, v3
.LBB314_23:
	s_or_b64 exec, exec, s[0:1]
	s_branch .LBB314_36
.LBB314_24:
                                        ; implicit-def: $vgpr2
	s_cbranch_execz .LBB314_36
; %bb.25:
	s_movk_i32 s0, 0x129
	v_cmp_gt_u32_e32 vcc, s0, v0
	s_and_saveexec_b64 s[0:1], vcc
	s_cbranch_execz .LBB314_27
; %bb.26:
	ds_read_b32 v2, v1 offset:1728
	ds_read_b32 v3, v1
	s_waitcnt lgkmcnt(0)
	v_add_f32_e32 v2, v2, v3
	ds_write_b32 v1, v2
.LBB314_27:
	s_or_b64 exec, exec, s[0:1]
	s_movk_i32 s0, 0xd8
	v_cmp_gt_u32_e32 vcc, s0, v0
	s_waitcnt lgkmcnt(0)
	s_barrier
	s_and_saveexec_b64 s[0:1], vcc
	s_cbranch_execz .LBB314_29
; %bb.28:
	ds_read2_b32 v[2:3], v1 offset1:216
	s_waitcnt lgkmcnt(0)
	v_add_f32_e32 v2, v3, v2
	ds_write_b32 v1, v2
.LBB314_29:
	s_or_b64 exec, exec, s[0:1]
	s_movk_i32 s0, 0x6c
	v_cmp_gt_u32_e32 vcc, s0, v0
	s_waitcnt lgkmcnt(0)
	s_barrier
	s_and_saveexec_b64 s[0:1], vcc
	s_cbranch_execz .LBB314_31
; %bb.30:
	ds_read2_b32 v[2:3], v1 offset1:108
	s_waitcnt lgkmcnt(0)
	v_add_f32_e32 v2, v3, v2
	ds_write_b32 v1, v2
.LBB314_31:
	s_or_b64 exec, exec, s[0:1]
	v_cmp_gt_u32_e32 vcc, 54, v0
	s_waitcnt lgkmcnt(0)
	s_barrier
	s_and_saveexec_b64 s[0:1], vcc
	s_cbranch_execz .LBB314_33
; %bb.32:
	ds_read2_b32 v[2:3], v1 offset1:54
	s_waitcnt lgkmcnt(0)
	v_add_f32_e32 v2, v3, v2
	ds_write_b32 v1, v2
.LBB314_33:
	s_or_b64 exec, exec, s[0:1]
	v_cmp_gt_u32_e32 vcc, 27, v0
	s_waitcnt lgkmcnt(0)
	s_and_saveexec_b64 s[0:1], vcc
	s_cbranch_execz .LBB314_35
; %bb.34:
	ds_read2_b32 v[1:2], v1 offset1:27
	s_waitcnt lgkmcnt(0)
	v_add_f32_e32 v8, v1, v2
.LBB314_35:
	s_or_b64 exec, exec, s[0:1]
	v_mov_b32_e32 v2, v8
.LBB314_36:
	v_cmp_gt_u32_e32 vcc, 27, v0
	s_and_saveexec_b64 s[0:1], vcc
	s_cbranch_execz .LBB314_40
; %bb.37:
	v_cmp_eq_f32_e64 s[0:1], s12, 0
	s_and_b64 vcc, exec, s[0:1]
	v_mul_f32_e32 v1, s14, v2
	s_cbranch_vccz .LBB314_41
; %bb.38:
	v_mad_u64_u32 v[2:3], s[0:1], s6, 27, v[0:1]
	v_mov_b32_e32 v3, 0
	v_mov_b32_e32 v4, s17
	v_lshlrev_b64 v[2:3], 2, v[2:3]
	v_add_co_u32_e32 v2, vcc, s16, v2
	v_addc_co_u32_e32 v3, vcc, v4, v3, vcc
	global_store_dword v[2:3], v1, off
	s_cbranch_execnz .LBB314_40
.LBB314_39:
	v_mad_u64_u32 v[2:3], s[0:1], s6, 27, v[0:1]
	v_mov_b32_e32 v3, 0
	v_mov_b32_e32 v0, s17
	v_lshlrev_b64 v[2:3], 2, v[2:3]
	v_add_co_u32_e32 v2, vcc, s16, v2
	v_addc_co_u32_e32 v3, vcc, v0, v3, vcc
	global_load_dword v0, v[2:3], off
	s_waitcnt vmcnt(0)
	v_fmac_f32_e32 v1, s12, v0
	global_store_dword v[2:3], v1, off
.LBB314_40:
	s_endpgm
.LBB314_41:
	s_branch .LBB314_39
	.section	.rodata,"a",@progbits
	.p2align	6, 0x0
	.amdhsa_kernel _ZN9rocsparseL20bsrxmvn_17_32_kernelILj27EfliDF16_DF16_fEEvT2_20rocsparse_direction_NS_24const_host_device_scalarIT0_EES1_PKS1_PKT1_SA_S7_PKT3_PKT4_S5_PT5_21rocsparse_index_base_b
		.amdhsa_group_segment_fixed_size 2916
		.amdhsa_private_segment_fixed_size 0
		.amdhsa_kernarg_size 96
		.amdhsa_user_sgpr_count 6
		.amdhsa_user_sgpr_private_segment_buffer 1
		.amdhsa_user_sgpr_dispatch_ptr 0
		.amdhsa_user_sgpr_queue_ptr 0
		.amdhsa_user_sgpr_kernarg_segment_ptr 1
		.amdhsa_user_sgpr_dispatch_id 0
		.amdhsa_user_sgpr_flat_scratch_init 0
		.amdhsa_user_sgpr_private_segment_size 0
		.amdhsa_uses_dynamic_stack 0
		.amdhsa_system_sgpr_private_segment_wavefront_offset 0
		.amdhsa_system_sgpr_workgroup_id_x 1
		.amdhsa_system_sgpr_workgroup_id_y 0
		.amdhsa_system_sgpr_workgroup_id_z 0
		.amdhsa_system_sgpr_workgroup_info 0
		.amdhsa_system_vgpr_workitem_id 0
		.amdhsa_next_free_vgpr 25
		.amdhsa_next_free_sgpr 61
		.amdhsa_reserve_vcc 1
		.amdhsa_reserve_flat_scratch 0
		.amdhsa_float_round_mode_32 0
		.amdhsa_float_round_mode_16_64 0
		.amdhsa_float_denorm_mode_32 3
		.amdhsa_float_denorm_mode_16_64 3
		.amdhsa_dx10_clamp 1
		.amdhsa_ieee_mode 1
		.amdhsa_fp16_overflow 0
		.amdhsa_exception_fp_ieee_invalid_op 0
		.amdhsa_exception_fp_denorm_src 0
		.amdhsa_exception_fp_ieee_div_zero 0
		.amdhsa_exception_fp_ieee_overflow 0
		.amdhsa_exception_fp_ieee_underflow 0
		.amdhsa_exception_fp_ieee_inexact 0
		.amdhsa_exception_int_div_zero 0
	.end_amdhsa_kernel
	.section	.text._ZN9rocsparseL20bsrxmvn_17_32_kernelILj27EfliDF16_DF16_fEEvT2_20rocsparse_direction_NS_24const_host_device_scalarIT0_EES1_PKS1_PKT1_SA_S7_PKT3_PKT4_S5_PT5_21rocsparse_index_base_b,"axG",@progbits,_ZN9rocsparseL20bsrxmvn_17_32_kernelILj27EfliDF16_DF16_fEEvT2_20rocsparse_direction_NS_24const_host_device_scalarIT0_EES1_PKS1_PKT1_SA_S7_PKT3_PKT4_S5_PT5_21rocsparse_index_base_b,comdat
.Lfunc_end314:
	.size	_ZN9rocsparseL20bsrxmvn_17_32_kernelILj27EfliDF16_DF16_fEEvT2_20rocsparse_direction_NS_24const_host_device_scalarIT0_EES1_PKS1_PKT1_SA_S7_PKT3_PKT4_S5_PT5_21rocsparse_index_base_b, .Lfunc_end314-_ZN9rocsparseL20bsrxmvn_17_32_kernelILj27EfliDF16_DF16_fEEvT2_20rocsparse_direction_NS_24const_host_device_scalarIT0_EES1_PKS1_PKT1_SA_S7_PKT3_PKT4_S5_PT5_21rocsparse_index_base_b
                                        ; -- End function
	.set _ZN9rocsparseL20bsrxmvn_17_32_kernelILj27EfliDF16_DF16_fEEvT2_20rocsparse_direction_NS_24const_host_device_scalarIT0_EES1_PKS1_PKT1_SA_S7_PKT3_PKT4_S5_PT5_21rocsparse_index_base_b.num_vgpr, 15
	.set _ZN9rocsparseL20bsrxmvn_17_32_kernelILj27EfliDF16_DF16_fEEvT2_20rocsparse_direction_NS_24const_host_device_scalarIT0_EES1_PKS1_PKT1_SA_S7_PKT3_PKT4_S5_PT5_21rocsparse_index_base_b.num_agpr, 0
	.set _ZN9rocsparseL20bsrxmvn_17_32_kernelILj27EfliDF16_DF16_fEEvT2_20rocsparse_direction_NS_24const_host_device_scalarIT0_EES1_PKS1_PKT1_SA_S7_PKT3_PKT4_S5_PT5_21rocsparse_index_base_b.numbered_sgpr, 26
	.set _ZN9rocsparseL20bsrxmvn_17_32_kernelILj27EfliDF16_DF16_fEEvT2_20rocsparse_direction_NS_24const_host_device_scalarIT0_EES1_PKS1_PKT1_SA_S7_PKT3_PKT4_S5_PT5_21rocsparse_index_base_b.num_named_barrier, 0
	.set _ZN9rocsparseL20bsrxmvn_17_32_kernelILj27EfliDF16_DF16_fEEvT2_20rocsparse_direction_NS_24const_host_device_scalarIT0_EES1_PKS1_PKT1_SA_S7_PKT3_PKT4_S5_PT5_21rocsparse_index_base_b.private_seg_size, 0
	.set _ZN9rocsparseL20bsrxmvn_17_32_kernelILj27EfliDF16_DF16_fEEvT2_20rocsparse_direction_NS_24const_host_device_scalarIT0_EES1_PKS1_PKT1_SA_S7_PKT3_PKT4_S5_PT5_21rocsparse_index_base_b.uses_vcc, 1
	.set _ZN9rocsparseL20bsrxmvn_17_32_kernelILj27EfliDF16_DF16_fEEvT2_20rocsparse_direction_NS_24const_host_device_scalarIT0_EES1_PKS1_PKT1_SA_S7_PKT3_PKT4_S5_PT5_21rocsparse_index_base_b.uses_flat_scratch, 0
	.set _ZN9rocsparseL20bsrxmvn_17_32_kernelILj27EfliDF16_DF16_fEEvT2_20rocsparse_direction_NS_24const_host_device_scalarIT0_EES1_PKS1_PKT1_SA_S7_PKT3_PKT4_S5_PT5_21rocsparse_index_base_b.has_dyn_sized_stack, 0
	.set _ZN9rocsparseL20bsrxmvn_17_32_kernelILj27EfliDF16_DF16_fEEvT2_20rocsparse_direction_NS_24const_host_device_scalarIT0_EES1_PKS1_PKT1_SA_S7_PKT3_PKT4_S5_PT5_21rocsparse_index_base_b.has_recursion, 0
	.set _ZN9rocsparseL20bsrxmvn_17_32_kernelILj27EfliDF16_DF16_fEEvT2_20rocsparse_direction_NS_24const_host_device_scalarIT0_EES1_PKS1_PKT1_SA_S7_PKT3_PKT4_S5_PT5_21rocsparse_index_base_b.has_indirect_call, 0
	.section	.AMDGPU.csdata,"",@progbits
; Kernel info:
; codeLenInByte = 1320
; TotalNumSgprs: 30
; NumVgprs: 15
; ScratchSize: 0
; MemoryBound: 0
; FloatMode: 240
; IeeeMode: 1
; LDSByteSize: 2916 bytes/workgroup (compile time only)
; SGPRBlocks: 8
; VGPRBlocks: 6
; NumSGPRsForWavesPerEU: 65
; NumVGPRsForWavesPerEU: 25
; Occupancy: 9
; WaveLimiterHint : 1
; COMPUTE_PGM_RSRC2:SCRATCH_EN: 0
; COMPUTE_PGM_RSRC2:USER_SGPR: 6
; COMPUTE_PGM_RSRC2:TRAP_HANDLER: 0
; COMPUTE_PGM_RSRC2:TGID_X_EN: 1
; COMPUTE_PGM_RSRC2:TGID_Y_EN: 0
; COMPUTE_PGM_RSRC2:TGID_Z_EN: 0
; COMPUTE_PGM_RSRC2:TIDIG_COMP_CNT: 0
	.section	.text._ZN9rocsparseL20bsrxmvn_17_32_kernelILj28EfliDF16_DF16_fEEvT2_20rocsparse_direction_NS_24const_host_device_scalarIT0_EES1_PKS1_PKT1_SA_S7_PKT3_PKT4_S5_PT5_21rocsparse_index_base_b,"axG",@progbits,_ZN9rocsparseL20bsrxmvn_17_32_kernelILj28EfliDF16_DF16_fEEvT2_20rocsparse_direction_NS_24const_host_device_scalarIT0_EES1_PKS1_PKT1_SA_S7_PKT3_PKT4_S5_PT5_21rocsparse_index_base_b,comdat
	.globl	_ZN9rocsparseL20bsrxmvn_17_32_kernelILj28EfliDF16_DF16_fEEvT2_20rocsparse_direction_NS_24const_host_device_scalarIT0_EES1_PKS1_PKT1_SA_S7_PKT3_PKT4_S5_PT5_21rocsparse_index_base_b ; -- Begin function _ZN9rocsparseL20bsrxmvn_17_32_kernelILj28EfliDF16_DF16_fEEvT2_20rocsparse_direction_NS_24const_host_device_scalarIT0_EES1_PKS1_PKT1_SA_S7_PKT3_PKT4_S5_PT5_21rocsparse_index_base_b
	.p2align	8
	.type	_ZN9rocsparseL20bsrxmvn_17_32_kernelILj28EfliDF16_DF16_fEEvT2_20rocsparse_direction_NS_24const_host_device_scalarIT0_EES1_PKS1_PKT1_SA_S7_PKT3_PKT4_S5_PT5_21rocsparse_index_base_b,@function
_ZN9rocsparseL20bsrxmvn_17_32_kernelILj28EfliDF16_DF16_fEEvT2_20rocsparse_direction_NS_24const_host_device_scalarIT0_EES1_PKS1_PKT1_SA_S7_PKT3_PKT4_S5_PT5_21rocsparse_index_base_b: ; @_ZN9rocsparseL20bsrxmvn_17_32_kernelILj28EfliDF16_DF16_fEEvT2_20rocsparse_direction_NS_24const_host_device_scalarIT0_EES1_PKS1_PKT1_SA_S7_PKT3_PKT4_S5_PT5_21rocsparse_index_base_b
; %bb.0:
	s_load_dwordx2 s[18:19], s[4:5], 0x58
	s_load_dwordx2 s[14:15], s[4:5], 0x8
	;; [unrolled: 1-line block ×3, first 2 shown]
	s_waitcnt lgkmcnt(0)
	s_bitcmp1_b32 s19, 0
	s_cselect_b64 s[2:3], -1, 0
	s_xor_b64 s[0:1], s[2:3], -1
	s_and_b64 vcc, exec, s[2:3]
	s_cbranch_vccnz .LBB315_2
; %bb.1:
	s_load_dword s14, s[14:15], 0x0
.LBB315_2:
	s_andn2_b64 vcc, exec, s[0:1]
	s_cbranch_vccnz .LBB315_4
; %bb.3:
	s_load_dword s12, s[12:13], 0x0
.LBB315_4:
	s_waitcnt lgkmcnt(0)
	v_cmp_neq_f32_e64 s[0:1], s14, 0
	v_cmp_neq_f32_e64 s[2:3], s12, 1.0
	s_or_b64 s[0:1], s[0:1], s[2:3]
	s_andn2_b64 vcc, exec, s[0:1]
	s_cbranch_vccnz .LBB315_40
; %bb.5:
	s_load_dwordx4 s[0:3], s[4:5], 0x18
	s_load_dwordx2 s[8:9], s[4:5], 0x28
	s_waitcnt lgkmcnt(0)
	s_cmp_eq_u64 s[0:1], 0
	s_cbranch_scc1 .LBB315_7
; %bb.6:
	s_ashr_i32 s7, s6, 31
	s_lshl_b64 s[6:7], s[6:7], 2
	s_add_u32 s0, s0, s6
	s_addc_u32 s1, s1, s7
	s_load_dword s0, s[0:1], 0x0
	s_waitcnt lgkmcnt(0)
	s_sub_i32 s6, s0, s18
.LBB315_7:
	s_load_dword s7, s[4:5], 0x4
	s_load_dwordx2 s[16:17], s[4:5], 0x50
	v_mul_u32_u24_e32 v1, 0x925, v0
	v_mov_b32_e32 v2, 28
	v_mul_lo_u16_sdwa v2, v1, v2 dst_sel:DWORD dst_unused:UNUSED_PAD src0_sel:WORD_1 src1_sel:DWORD
	s_waitcnt lgkmcnt(0)
	s_cmp_eq_u32 s7, 1
	s_cselect_b64 s[0:1], -1, 0
	s_cmp_lg_u32 s7, 1
	s_cselect_b64 s[20:21], -1, 0
	s_ashr_i32 s7, s6, 31
	s_lshl_b64 s[10:11], s[6:7], 3
	s_add_u32 s2, s2, s10
	s_addc_u32 s3, s3, s11
	s_add_u32 s7, s2, 8
	s_addc_u32 s13, s3, 0
	;; [unrolled: 2-line block ×3, first 2 shown]
	s_cmp_eq_u64 s[8:9], 0
	s_cselect_b32 s9, s13, s11
	s_cselect_b32 s8, s7, s10
	s_load_dwordx2 s[22:23], s[8:9], 0x0
	s_load_dwordx2 s[24:25], s[2:3], 0x0
	v_sub_u16_e32 v9, v0, v2
	v_mov_b32_e32 v8, 0
	s_waitcnt lgkmcnt(0)
	v_mov_b32_e32 v2, s22
	v_mov_b32_e32 v3, s23
	v_cmp_ge_i64_e32 vcc, s[24:25], v[2:3]
	s_cbranch_vccnz .LBB315_12
; %bb.8:
	s_load_dwordx4 s[8:11], s[4:5], 0x30
	s_load_dwordx2 s[2:3], s[4:5], 0x40
	s_sub_u32 s4, s22, s18
	s_mov_b32 s7, 0xffff
	s_subb_u32 s5, s23, 0
	s_movk_i32 s13, 0x310
	v_and_b32_sdwa v1, s7, v1 dst_sel:DWORD dst_unused:UNUSED_PAD src0_sel:DWORD src1_sel:WORD_1
	v_subrev_u32_e32 v2, 28, v1
	v_cmp_gt_u32_e32 vcc, s13, v0
	s_sub_u32 s22, s24, s18
	v_cndmask_b32_e32 v1, v2, v1, vcc
	s_subb_u32 s23, s25, 0
	v_cndmask_b32_e64 v1, v9, v1, s[0:1]
	s_mul_i32 s0, s23, 0x620
	s_mul_hi_u32 s1, s22, 0x620
	s_add_i32 s1, s1, s0
	s_mul_i32 s0, s22, 0x620
	s_waitcnt lgkmcnt(0)
	s_add_u32 s0, s10, s0
	s_addc_u32 s1, s11, s1
	v_lshlrev_b32_e32 v2, 1, v0
	v_mov_b32_e32 v3, s1
	v_add_co_u32_e32 v2, vcc, s0, v2
	v_addc_co_u32_e32 v3, vcc, 0, v3, vcc
	s_movk_i32 s0, 0x30f
	v_cmp_lt_u32_e32 vcc, s0, v0
	v_cndmask_b32_e64 v10, 0, 1, vcc
	v_mov_b32_e32 v4, s25
	v_add_co_u32_e32 v5, vcc, s24, v10
	v_addc_co_u32_e32 v6, vcc, 0, v4, vcc
	v_subrev_co_u32_e32 v4, vcc, s18, v5
	v_subbrev_co_u32_e32 v5, vcc, 0, v6, vcc
	v_lshlrev_b64 v[4:5], 2, v[4:5]
	v_mov_b32_e32 v6, s9
	v_add_co_u32_e32 v4, vcc, s8, v4
	v_addc_co_u32_e32 v5, vcc, v6, v5, vcc
	v_mov_b32_e32 v7, s5
	v_mov_b32_e32 v8, 0
	v_mov_b32_e32 v6, s4
	s_branch .LBB315_10
.LBB315_9:                              ;   in Loop: Header=BB315_10 Depth=1
	s_or_b64 exec, exec, s[0:1]
	s_add_u32 s22, s22, 1
	s_addc_u32 s23, s23, 0
	v_cmp_lt_i64_e32 vcc, s[22:23], v[6:7]
	v_add_co_u32_e64 v4, s[0:1], 4, v4
	v_addc_co_u32_e64 v5, s[0:1], 0, v5, s[0:1]
	s_cbranch_vccz .LBB315_12
.LBB315_10:                             ; =>This Inner Loop Header: Depth=1
	v_mov_b32_e32 v12, s23
	v_add_co_u32_e32 v11, vcc, s22, v10
	v_addc_co_u32_e32 v12, vcc, 0, v12, vcc
	v_cmp_gt_i64_e32 vcc, s[4:5], v[11:12]
	s_and_saveexec_b64 s[0:1], vcc
	s_cbranch_execz .LBB315_9
; %bb.11:                               ;   in Loop: Header=BB315_10 Depth=1
	global_load_dword v11, v[4:5], off
	v_mov_b32_e32 v14, s3
	global_load_ushort v13, v[2:3], off
	s_waitcnt vmcnt(1)
	v_subrev_u32_e32 v11, s18, v11
	v_mad_u64_u32 v[11:12], s[8:9], v11, 28, v[1:2]
	v_ashrrev_i32_e32 v12, 31, v11
	v_lshlrev_b64 v[11:12], 1, v[11:12]
	v_add_co_u32_e32 v11, vcc, s2, v11
	v_addc_co_u32_e32 v12, vcc, v14, v12, vcc
	global_load_ushort v11, v[11:12], off
	v_add_co_u32_e32 v2, vcc, 0x620, v2
	v_addc_co_u32_e32 v3, vcc, 0, v3, vcc
	s_waitcnt vmcnt(0)
	v_fma_mix_f32 v8, v13, v11, v8 op_sel_hi:[1,1,0]
	s_branch .LBB315_9
.LBB315_12:
	v_lshlrev_b32_e32 v1, 2, v0
	s_and_b64 vcc, exec, s[20:21]
	ds_write_b32 v1, v8
	s_waitcnt lgkmcnt(0)
	s_barrier
	s_cbranch_vccz .LBB315_24
; %bb.13:
	v_cmp_gt_u16_e32 vcc, 12, v9
	s_and_saveexec_b64 s[0:1], vcc
	s_cbranch_execz .LBB315_15
; %bb.14:
	ds_read2_b32 v[2:3], v1 offset1:16
	s_waitcnt lgkmcnt(0)
	v_add_f32_e32 v2, v3, v2
	ds_write_b32 v1, v2
.LBB315_15:
	s_or_b64 exec, exec, s[0:1]
	v_cmp_gt_u16_e32 vcc, 8, v9
	s_waitcnt lgkmcnt(0)
	s_barrier
	s_and_saveexec_b64 s[0:1], vcc
	s_cbranch_execz .LBB315_17
; %bb.16:
	ds_read2_b32 v[2:3], v1 offset1:8
	s_waitcnt lgkmcnt(0)
	v_add_f32_e32 v2, v3, v2
	ds_write_b32 v1, v2
.LBB315_17:
	s_or_b64 exec, exec, s[0:1]
	v_cmp_gt_u16_e32 vcc, 4, v9
	s_waitcnt lgkmcnt(0)
	s_barrier
	;; [unrolled: 12-line block ×3, first 2 shown]
	s_and_saveexec_b64 s[0:1], vcc
	s_cbranch_execz .LBB315_21
; %bb.20:
	ds_read2_b32 v[2:3], v1 offset1:2
	s_waitcnt lgkmcnt(0)
	v_add_f32_e32 v2, v3, v2
	ds_write_b32 v1, v2
.LBB315_21:
	s_or_b64 exec, exec, s[0:1]
	v_cmp_gt_u32_e32 vcc, 28, v0
	v_mov_b32_e32 v2, v8
	s_waitcnt lgkmcnt(0)
	s_barrier
	s_and_saveexec_b64 s[0:1], vcc
	s_cbranch_execz .LBB315_23
; %bb.22:
	s_movk_i32 s2, 0x6c
	v_mad_u32_u24 v2, v0, s2, v1
	ds_read_b64 v[2:3], v2
	s_waitcnt lgkmcnt(0)
	v_add_f32_e32 v2, v2, v3
.LBB315_23:
	s_or_b64 exec, exec, s[0:1]
	s_branch .LBB315_36
.LBB315_24:
                                        ; implicit-def: $vgpr2
	s_cbranch_execz .LBB315_36
; %bb.25:
	s_movk_i32 s0, 0x150
	v_cmp_gt_u32_e32 vcc, s0, v0
	s_and_saveexec_b64 s[0:1], vcc
	s_cbranch_execz .LBB315_27
; %bb.26:
	ds_read2st64_b32 v[2:3], v1 offset1:7
	s_waitcnt lgkmcnt(0)
	v_add_f32_e32 v2, v3, v2
	ds_write_b32 v1, v2
.LBB315_27:
	s_or_b64 exec, exec, s[0:1]
	s_movk_i32 s0, 0xe0
	v_cmp_gt_u32_e32 vcc, s0, v0
	s_waitcnt lgkmcnt(0)
	s_barrier
	s_and_saveexec_b64 s[0:1], vcc
	s_cbranch_execz .LBB315_29
; %bb.28:
	ds_read2_b32 v[2:3], v1 offset1:224
	s_waitcnt lgkmcnt(0)
	v_add_f32_e32 v2, v3, v2
	ds_write_b32 v1, v2
.LBB315_29:
	s_or_b64 exec, exec, s[0:1]
	s_movk_i32 s0, 0x70
	v_cmp_gt_u32_e32 vcc, s0, v0
	s_waitcnt lgkmcnt(0)
	s_barrier
	s_and_saveexec_b64 s[0:1], vcc
	s_cbranch_execz .LBB315_31
; %bb.30:
	ds_read2_b32 v[2:3], v1 offset1:112
	s_waitcnt lgkmcnt(0)
	v_add_f32_e32 v2, v3, v2
	ds_write_b32 v1, v2
.LBB315_31:
	s_or_b64 exec, exec, s[0:1]
	v_cmp_gt_u32_e32 vcc, 56, v0
	s_waitcnt lgkmcnt(0)
	s_barrier
	s_and_saveexec_b64 s[0:1], vcc
	s_cbranch_execz .LBB315_33
; %bb.32:
	ds_read2_b32 v[2:3], v1 offset1:56
	s_waitcnt lgkmcnt(0)
	v_add_f32_e32 v2, v3, v2
	ds_write_b32 v1, v2
.LBB315_33:
	s_or_b64 exec, exec, s[0:1]
	v_cmp_gt_u32_e32 vcc, 28, v0
	s_waitcnt lgkmcnt(0)
	s_and_saveexec_b64 s[0:1], vcc
	s_cbranch_execz .LBB315_35
; %bb.34:
	ds_read2_b32 v[1:2], v1 offset1:28
	s_waitcnt lgkmcnt(0)
	v_add_f32_e32 v8, v1, v2
.LBB315_35:
	s_or_b64 exec, exec, s[0:1]
	v_mov_b32_e32 v2, v8
.LBB315_36:
	v_cmp_gt_u32_e32 vcc, 28, v0
	s_and_saveexec_b64 s[0:1], vcc
	s_cbranch_execz .LBB315_40
; %bb.37:
	v_cmp_eq_f32_e64 s[0:1], s12, 0
	s_and_b64 vcc, exec, s[0:1]
	v_mul_f32_e32 v1, s14, v2
	s_cbranch_vccz .LBB315_41
; %bb.38:
	v_mad_u64_u32 v[2:3], s[0:1], s6, 28, v[0:1]
	v_mov_b32_e32 v3, 0
	v_mov_b32_e32 v4, s17
	v_lshlrev_b64 v[2:3], 2, v[2:3]
	v_add_co_u32_e32 v2, vcc, s16, v2
	v_addc_co_u32_e32 v3, vcc, v4, v3, vcc
	global_store_dword v[2:3], v1, off
	s_cbranch_execnz .LBB315_40
.LBB315_39:
	v_mad_u64_u32 v[2:3], s[0:1], s6, 28, v[0:1]
	v_mov_b32_e32 v3, 0
	v_mov_b32_e32 v0, s17
	v_lshlrev_b64 v[2:3], 2, v[2:3]
	v_add_co_u32_e32 v2, vcc, s16, v2
	v_addc_co_u32_e32 v3, vcc, v0, v3, vcc
	global_load_dword v0, v[2:3], off
	s_waitcnt vmcnt(0)
	v_fmac_f32_e32 v1, s12, v0
	global_store_dword v[2:3], v1, off
.LBB315_40:
	s_endpgm
.LBB315_41:
	s_branch .LBB315_39
	.section	.rodata,"a",@progbits
	.p2align	6, 0x0
	.amdhsa_kernel _ZN9rocsparseL20bsrxmvn_17_32_kernelILj28EfliDF16_DF16_fEEvT2_20rocsparse_direction_NS_24const_host_device_scalarIT0_EES1_PKS1_PKT1_SA_S7_PKT3_PKT4_S5_PT5_21rocsparse_index_base_b
		.amdhsa_group_segment_fixed_size 3136
		.amdhsa_private_segment_fixed_size 0
		.amdhsa_kernarg_size 96
		.amdhsa_user_sgpr_count 6
		.amdhsa_user_sgpr_private_segment_buffer 1
		.amdhsa_user_sgpr_dispatch_ptr 0
		.amdhsa_user_sgpr_queue_ptr 0
		.amdhsa_user_sgpr_kernarg_segment_ptr 1
		.amdhsa_user_sgpr_dispatch_id 0
		.amdhsa_user_sgpr_flat_scratch_init 0
		.amdhsa_user_sgpr_private_segment_size 0
		.amdhsa_uses_dynamic_stack 0
		.amdhsa_system_sgpr_private_segment_wavefront_offset 0
		.amdhsa_system_sgpr_workgroup_id_x 1
		.amdhsa_system_sgpr_workgroup_id_y 0
		.amdhsa_system_sgpr_workgroup_id_z 0
		.amdhsa_system_sgpr_workgroup_info 0
		.amdhsa_system_vgpr_workitem_id 0
		.amdhsa_next_free_vgpr 15
		.amdhsa_next_free_sgpr 26
		.amdhsa_reserve_vcc 1
		.amdhsa_reserve_flat_scratch 0
		.amdhsa_float_round_mode_32 0
		.amdhsa_float_round_mode_16_64 0
		.amdhsa_float_denorm_mode_32 3
		.amdhsa_float_denorm_mode_16_64 3
		.amdhsa_dx10_clamp 1
		.amdhsa_ieee_mode 1
		.amdhsa_fp16_overflow 0
		.amdhsa_exception_fp_ieee_invalid_op 0
		.amdhsa_exception_fp_denorm_src 0
		.amdhsa_exception_fp_ieee_div_zero 0
		.amdhsa_exception_fp_ieee_overflow 0
		.amdhsa_exception_fp_ieee_underflow 0
		.amdhsa_exception_fp_ieee_inexact 0
		.amdhsa_exception_int_div_zero 0
	.end_amdhsa_kernel
	.section	.text._ZN9rocsparseL20bsrxmvn_17_32_kernelILj28EfliDF16_DF16_fEEvT2_20rocsparse_direction_NS_24const_host_device_scalarIT0_EES1_PKS1_PKT1_SA_S7_PKT3_PKT4_S5_PT5_21rocsparse_index_base_b,"axG",@progbits,_ZN9rocsparseL20bsrxmvn_17_32_kernelILj28EfliDF16_DF16_fEEvT2_20rocsparse_direction_NS_24const_host_device_scalarIT0_EES1_PKS1_PKT1_SA_S7_PKT3_PKT4_S5_PT5_21rocsparse_index_base_b,comdat
.Lfunc_end315:
	.size	_ZN9rocsparseL20bsrxmvn_17_32_kernelILj28EfliDF16_DF16_fEEvT2_20rocsparse_direction_NS_24const_host_device_scalarIT0_EES1_PKS1_PKT1_SA_S7_PKT3_PKT4_S5_PT5_21rocsparse_index_base_b, .Lfunc_end315-_ZN9rocsparseL20bsrxmvn_17_32_kernelILj28EfliDF16_DF16_fEEvT2_20rocsparse_direction_NS_24const_host_device_scalarIT0_EES1_PKS1_PKT1_SA_S7_PKT3_PKT4_S5_PT5_21rocsparse_index_base_b
                                        ; -- End function
	.set _ZN9rocsparseL20bsrxmvn_17_32_kernelILj28EfliDF16_DF16_fEEvT2_20rocsparse_direction_NS_24const_host_device_scalarIT0_EES1_PKS1_PKT1_SA_S7_PKT3_PKT4_S5_PT5_21rocsparse_index_base_b.num_vgpr, 15
	.set _ZN9rocsparseL20bsrxmvn_17_32_kernelILj28EfliDF16_DF16_fEEvT2_20rocsparse_direction_NS_24const_host_device_scalarIT0_EES1_PKS1_PKT1_SA_S7_PKT3_PKT4_S5_PT5_21rocsparse_index_base_b.num_agpr, 0
	.set _ZN9rocsparseL20bsrxmvn_17_32_kernelILj28EfliDF16_DF16_fEEvT2_20rocsparse_direction_NS_24const_host_device_scalarIT0_EES1_PKS1_PKT1_SA_S7_PKT3_PKT4_S5_PT5_21rocsparse_index_base_b.numbered_sgpr, 26
	.set _ZN9rocsparseL20bsrxmvn_17_32_kernelILj28EfliDF16_DF16_fEEvT2_20rocsparse_direction_NS_24const_host_device_scalarIT0_EES1_PKS1_PKT1_SA_S7_PKT3_PKT4_S5_PT5_21rocsparse_index_base_b.num_named_barrier, 0
	.set _ZN9rocsparseL20bsrxmvn_17_32_kernelILj28EfliDF16_DF16_fEEvT2_20rocsparse_direction_NS_24const_host_device_scalarIT0_EES1_PKS1_PKT1_SA_S7_PKT3_PKT4_S5_PT5_21rocsparse_index_base_b.private_seg_size, 0
	.set _ZN9rocsparseL20bsrxmvn_17_32_kernelILj28EfliDF16_DF16_fEEvT2_20rocsparse_direction_NS_24const_host_device_scalarIT0_EES1_PKS1_PKT1_SA_S7_PKT3_PKT4_S5_PT5_21rocsparse_index_base_b.uses_vcc, 1
	.set _ZN9rocsparseL20bsrxmvn_17_32_kernelILj28EfliDF16_DF16_fEEvT2_20rocsparse_direction_NS_24const_host_device_scalarIT0_EES1_PKS1_PKT1_SA_S7_PKT3_PKT4_S5_PT5_21rocsparse_index_base_b.uses_flat_scratch, 0
	.set _ZN9rocsparseL20bsrxmvn_17_32_kernelILj28EfliDF16_DF16_fEEvT2_20rocsparse_direction_NS_24const_host_device_scalarIT0_EES1_PKS1_PKT1_SA_S7_PKT3_PKT4_S5_PT5_21rocsparse_index_base_b.has_dyn_sized_stack, 0
	.set _ZN9rocsparseL20bsrxmvn_17_32_kernelILj28EfliDF16_DF16_fEEvT2_20rocsparse_direction_NS_24const_host_device_scalarIT0_EES1_PKS1_PKT1_SA_S7_PKT3_PKT4_S5_PT5_21rocsparse_index_base_b.has_recursion, 0
	.set _ZN9rocsparseL20bsrxmvn_17_32_kernelILj28EfliDF16_DF16_fEEvT2_20rocsparse_direction_NS_24const_host_device_scalarIT0_EES1_PKS1_PKT1_SA_S7_PKT3_PKT4_S5_PT5_21rocsparse_index_base_b.has_indirect_call, 0
	.section	.AMDGPU.csdata,"",@progbits
; Kernel info:
; codeLenInByte = 1312
; TotalNumSgprs: 30
; NumVgprs: 15
; ScratchSize: 0
; MemoryBound: 0
; FloatMode: 240
; IeeeMode: 1
; LDSByteSize: 3136 bytes/workgroup (compile time only)
; SGPRBlocks: 3
; VGPRBlocks: 3
; NumSGPRsForWavesPerEU: 30
; NumVGPRsForWavesPerEU: 15
; Occupancy: 10
; WaveLimiterHint : 1
; COMPUTE_PGM_RSRC2:SCRATCH_EN: 0
; COMPUTE_PGM_RSRC2:USER_SGPR: 6
; COMPUTE_PGM_RSRC2:TRAP_HANDLER: 0
; COMPUTE_PGM_RSRC2:TGID_X_EN: 1
; COMPUTE_PGM_RSRC2:TGID_Y_EN: 0
; COMPUTE_PGM_RSRC2:TGID_Z_EN: 0
; COMPUTE_PGM_RSRC2:TIDIG_COMP_CNT: 0
	.section	.text._ZN9rocsparseL20bsrxmvn_17_32_kernelILj29EfliDF16_DF16_fEEvT2_20rocsparse_direction_NS_24const_host_device_scalarIT0_EES1_PKS1_PKT1_SA_S7_PKT3_PKT4_S5_PT5_21rocsparse_index_base_b,"axG",@progbits,_ZN9rocsparseL20bsrxmvn_17_32_kernelILj29EfliDF16_DF16_fEEvT2_20rocsparse_direction_NS_24const_host_device_scalarIT0_EES1_PKS1_PKT1_SA_S7_PKT3_PKT4_S5_PT5_21rocsparse_index_base_b,comdat
	.globl	_ZN9rocsparseL20bsrxmvn_17_32_kernelILj29EfliDF16_DF16_fEEvT2_20rocsparse_direction_NS_24const_host_device_scalarIT0_EES1_PKS1_PKT1_SA_S7_PKT3_PKT4_S5_PT5_21rocsparse_index_base_b ; -- Begin function _ZN9rocsparseL20bsrxmvn_17_32_kernelILj29EfliDF16_DF16_fEEvT2_20rocsparse_direction_NS_24const_host_device_scalarIT0_EES1_PKS1_PKT1_SA_S7_PKT3_PKT4_S5_PT5_21rocsparse_index_base_b
	.p2align	8
	.type	_ZN9rocsparseL20bsrxmvn_17_32_kernelILj29EfliDF16_DF16_fEEvT2_20rocsparse_direction_NS_24const_host_device_scalarIT0_EES1_PKS1_PKT1_SA_S7_PKT3_PKT4_S5_PT5_21rocsparse_index_base_b,@function
_ZN9rocsparseL20bsrxmvn_17_32_kernelILj29EfliDF16_DF16_fEEvT2_20rocsparse_direction_NS_24const_host_device_scalarIT0_EES1_PKS1_PKT1_SA_S7_PKT3_PKT4_S5_PT5_21rocsparse_index_base_b: ; @_ZN9rocsparseL20bsrxmvn_17_32_kernelILj29EfliDF16_DF16_fEEvT2_20rocsparse_direction_NS_24const_host_device_scalarIT0_EES1_PKS1_PKT1_SA_S7_PKT3_PKT4_S5_PT5_21rocsparse_index_base_b
; %bb.0:
	s_load_dwordx2 s[18:19], s[4:5], 0x58
	s_load_dwordx2 s[14:15], s[4:5], 0x8
	;; [unrolled: 1-line block ×3, first 2 shown]
	s_waitcnt lgkmcnt(0)
	s_bitcmp1_b32 s19, 0
	s_cselect_b64 s[2:3], -1, 0
	s_xor_b64 s[0:1], s[2:3], -1
	s_and_b64 vcc, exec, s[2:3]
	s_cbranch_vccnz .LBB316_2
; %bb.1:
	s_load_dword s14, s[14:15], 0x0
.LBB316_2:
	s_andn2_b64 vcc, exec, s[0:1]
	s_cbranch_vccnz .LBB316_4
; %bb.3:
	s_load_dword s12, s[12:13], 0x0
.LBB316_4:
	s_waitcnt lgkmcnt(0)
	v_cmp_neq_f32_e64 s[0:1], s14, 0
	v_cmp_neq_f32_e64 s[2:3], s12, 1.0
	s_or_b64 s[0:1], s[0:1], s[2:3]
	s_andn2_b64 vcc, exec, s[0:1]
	s_cbranch_vccnz .LBB316_40
; %bb.5:
	s_load_dwordx4 s[0:3], s[4:5], 0x18
	s_load_dwordx2 s[8:9], s[4:5], 0x28
	s_waitcnt lgkmcnt(0)
	s_cmp_eq_u64 s[0:1], 0
	s_cbranch_scc1 .LBB316_7
; %bb.6:
	s_ashr_i32 s7, s6, 31
	s_lshl_b64 s[6:7], s[6:7], 2
	s_add_u32 s0, s0, s6
	s_addc_u32 s1, s1, s7
	s_load_dword s0, s[0:1], 0x0
	s_waitcnt lgkmcnt(0)
	s_sub_i32 s6, s0, s18
.LBB316_7:
	s_load_dword s7, s[4:5], 0x4
	s_load_dwordx2 s[16:17], s[4:5], 0x50
	v_mul_u32_u24_e32 v1, 0x8d4, v0
	v_mov_b32_e32 v2, 29
	v_mul_lo_u16_sdwa v2, v1, v2 dst_sel:DWORD dst_unused:UNUSED_PAD src0_sel:WORD_1 src1_sel:DWORD
	s_waitcnt lgkmcnt(0)
	s_cmp_eq_u32 s7, 1
	s_cselect_b64 s[0:1], -1, 0
	s_cmp_lg_u32 s7, 1
	s_cselect_b64 s[20:21], -1, 0
	s_ashr_i32 s7, s6, 31
	s_lshl_b64 s[10:11], s[6:7], 3
	s_add_u32 s2, s2, s10
	s_addc_u32 s3, s3, s11
	s_add_u32 s7, s2, 8
	s_addc_u32 s13, s3, 0
	;; [unrolled: 2-line block ×3, first 2 shown]
	s_cmp_eq_u64 s[8:9], 0
	s_cselect_b32 s9, s13, s11
	s_cselect_b32 s8, s7, s10
	s_load_dwordx2 s[22:23], s[8:9], 0x0
	s_load_dwordx2 s[24:25], s[2:3], 0x0
	v_sub_u16_e32 v9, v0, v2
	v_mov_b32_e32 v8, 0
	s_waitcnt lgkmcnt(0)
	v_mov_b32_e32 v2, s22
	v_mov_b32_e32 v3, s23
	v_cmp_ge_i64_e32 vcc, s[24:25], v[2:3]
	s_cbranch_vccnz .LBB316_12
; %bb.8:
	s_load_dwordx4 s[8:11], s[4:5], 0x30
	s_load_dwordx2 s[2:3], s[4:5], 0x40
	s_sub_u32 s4, s22, s18
	s_mov_b32 s7, 0xffff
	s_subb_u32 s5, s23, 0
	s_movk_i32 s13, 0x349
	v_and_b32_sdwa v1, s7, v1 dst_sel:DWORD dst_unused:UNUSED_PAD src0_sel:DWORD src1_sel:WORD_1
	v_subrev_u32_e32 v2, 29, v1
	v_cmp_gt_u32_e32 vcc, s13, v0
	s_sub_u32 s22, s24, s18
	v_cndmask_b32_e32 v1, v2, v1, vcc
	s_subb_u32 s23, s25, 0
	v_cndmask_b32_e64 v1, v9, v1, s[0:1]
	s_mul_i32 s0, s23, 0x692
	s_mul_hi_u32 s1, s22, 0x692
	s_add_i32 s1, s1, s0
	s_mul_i32 s0, s22, 0x692
	s_waitcnt lgkmcnt(0)
	s_add_u32 s0, s10, s0
	s_addc_u32 s1, s11, s1
	v_lshlrev_b32_e32 v2, 1, v0
	v_mov_b32_e32 v3, s1
	v_add_co_u32_e32 v2, vcc, s0, v2
	v_addc_co_u32_e32 v3, vcc, 0, v3, vcc
	s_movk_i32 s0, 0x348
	v_cmp_lt_u32_e32 vcc, s0, v0
	v_cndmask_b32_e64 v10, 0, 1, vcc
	v_mov_b32_e32 v4, s25
	v_add_co_u32_e32 v5, vcc, s24, v10
	v_addc_co_u32_e32 v6, vcc, 0, v4, vcc
	v_subrev_co_u32_e32 v4, vcc, s18, v5
	v_subbrev_co_u32_e32 v5, vcc, 0, v6, vcc
	v_lshlrev_b64 v[4:5], 2, v[4:5]
	v_mov_b32_e32 v6, s9
	v_add_co_u32_e32 v4, vcc, s8, v4
	v_addc_co_u32_e32 v5, vcc, v6, v5, vcc
	v_mov_b32_e32 v7, s5
	v_mov_b32_e32 v8, 0
	;; [unrolled: 1-line block ×3, first 2 shown]
	s_branch .LBB316_10
.LBB316_9:                              ;   in Loop: Header=BB316_10 Depth=1
	s_or_b64 exec, exec, s[0:1]
	s_add_u32 s22, s22, 1
	s_addc_u32 s23, s23, 0
	v_cmp_lt_i64_e32 vcc, s[22:23], v[6:7]
	v_add_co_u32_e64 v4, s[0:1], 4, v4
	v_addc_co_u32_e64 v5, s[0:1], 0, v5, s[0:1]
	s_cbranch_vccz .LBB316_12
.LBB316_10:                             ; =>This Inner Loop Header: Depth=1
	v_mov_b32_e32 v12, s23
	v_add_co_u32_e32 v11, vcc, s22, v10
	v_addc_co_u32_e32 v12, vcc, 0, v12, vcc
	v_cmp_gt_i64_e32 vcc, s[4:5], v[11:12]
	s_and_saveexec_b64 s[0:1], vcc
	s_cbranch_execz .LBB316_9
; %bb.11:                               ;   in Loop: Header=BB316_10 Depth=1
	global_load_dword v11, v[4:5], off
	v_mov_b32_e32 v14, s3
	global_load_ushort v13, v[2:3], off
	s_waitcnt vmcnt(1)
	v_subrev_u32_e32 v11, s18, v11
	v_mad_u64_u32 v[11:12], s[8:9], v11, 29, v[1:2]
	v_ashrrev_i32_e32 v12, 31, v11
	v_lshlrev_b64 v[11:12], 1, v[11:12]
	v_add_co_u32_e32 v11, vcc, s2, v11
	v_addc_co_u32_e32 v12, vcc, v14, v12, vcc
	global_load_ushort v11, v[11:12], off
	v_add_co_u32_e32 v2, vcc, 0x692, v2
	v_addc_co_u32_e32 v3, vcc, 0, v3, vcc
	s_waitcnt vmcnt(0)
	v_fma_mix_f32 v8, v13, v11, v8 op_sel_hi:[1,1,0]
	s_branch .LBB316_9
.LBB316_12:
	v_lshlrev_b32_e32 v1, 2, v0
	s_and_b64 vcc, exec, s[20:21]
	ds_write_b32 v1, v8
	s_waitcnt lgkmcnt(0)
	s_barrier
	s_cbranch_vccz .LBB316_24
; %bb.13:
	v_cmp_gt_u16_e32 vcc, 13, v9
	s_and_saveexec_b64 s[0:1], vcc
	s_cbranch_execz .LBB316_15
; %bb.14:
	ds_read2_b32 v[2:3], v1 offset1:16
	s_waitcnt lgkmcnt(0)
	v_add_f32_e32 v2, v3, v2
	ds_write_b32 v1, v2
.LBB316_15:
	s_or_b64 exec, exec, s[0:1]
	v_cmp_gt_u16_e32 vcc, 8, v9
	s_waitcnt lgkmcnt(0)
	s_barrier
	s_and_saveexec_b64 s[0:1], vcc
	s_cbranch_execz .LBB316_17
; %bb.16:
	ds_read2_b32 v[2:3], v1 offset1:8
	s_waitcnt lgkmcnt(0)
	v_add_f32_e32 v2, v3, v2
	ds_write_b32 v1, v2
.LBB316_17:
	s_or_b64 exec, exec, s[0:1]
	v_cmp_gt_u16_e32 vcc, 4, v9
	s_waitcnt lgkmcnt(0)
	s_barrier
	;; [unrolled: 12-line block ×3, first 2 shown]
	s_and_saveexec_b64 s[0:1], vcc
	s_cbranch_execz .LBB316_21
; %bb.20:
	ds_read2_b32 v[2:3], v1 offset1:2
	s_waitcnt lgkmcnt(0)
	v_add_f32_e32 v2, v3, v2
	ds_write_b32 v1, v2
.LBB316_21:
	s_or_b64 exec, exec, s[0:1]
	v_cmp_gt_u32_e32 vcc, 29, v0
	v_mov_b32_e32 v2, v8
	s_waitcnt lgkmcnt(0)
	s_barrier
	s_and_saveexec_b64 s[0:1], vcc
	s_cbranch_execz .LBB316_23
; %bb.22:
	s_movk_i32 s2, 0x70
	v_mad_u32_u24 v2, v0, s2, v1
	ds_read2_b32 v[2:3], v2 offset1:1
	s_waitcnt lgkmcnt(0)
	v_add_f32_e32 v2, v2, v3
.LBB316_23:
	s_or_b64 exec, exec, s[0:1]
	s_branch .LBB316_36
.LBB316_24:
                                        ; implicit-def: $vgpr2
	s_cbranch_execz .LBB316_36
; %bb.25:
	s_movk_i32 s0, 0x179
	v_cmp_gt_u32_e32 vcc, s0, v0
	s_and_saveexec_b64 s[0:1], vcc
	s_cbranch_execz .LBB316_27
; %bb.26:
	ds_read_b32 v2, v1 offset:1856
	ds_read_b32 v3, v1
	s_waitcnt lgkmcnt(0)
	v_add_f32_e32 v2, v2, v3
	ds_write_b32 v1, v2
.LBB316_27:
	s_or_b64 exec, exec, s[0:1]
	s_movk_i32 s0, 0xe8
	v_cmp_gt_u32_e32 vcc, s0, v0
	s_waitcnt lgkmcnt(0)
	s_barrier
	s_and_saveexec_b64 s[0:1], vcc
	s_cbranch_execz .LBB316_29
; %bb.28:
	ds_read2_b32 v[2:3], v1 offset1:232
	s_waitcnt lgkmcnt(0)
	v_add_f32_e32 v2, v3, v2
	ds_write_b32 v1, v2
.LBB316_29:
	s_or_b64 exec, exec, s[0:1]
	s_movk_i32 s0, 0x74
	v_cmp_gt_u32_e32 vcc, s0, v0
	s_waitcnt lgkmcnt(0)
	s_barrier
	s_and_saveexec_b64 s[0:1], vcc
	s_cbranch_execz .LBB316_31
; %bb.30:
	ds_read2_b32 v[2:3], v1 offset1:116
	s_waitcnt lgkmcnt(0)
	v_add_f32_e32 v2, v3, v2
	ds_write_b32 v1, v2
.LBB316_31:
	s_or_b64 exec, exec, s[0:1]
	v_cmp_gt_u32_e32 vcc, 58, v0
	s_waitcnt lgkmcnt(0)
	s_barrier
	s_and_saveexec_b64 s[0:1], vcc
	s_cbranch_execz .LBB316_33
; %bb.32:
	ds_read2_b32 v[2:3], v1 offset1:58
	s_waitcnt lgkmcnt(0)
	v_add_f32_e32 v2, v3, v2
	ds_write_b32 v1, v2
.LBB316_33:
	s_or_b64 exec, exec, s[0:1]
	v_cmp_gt_u32_e32 vcc, 29, v0
	s_waitcnt lgkmcnt(0)
	s_and_saveexec_b64 s[0:1], vcc
	s_cbranch_execz .LBB316_35
; %bb.34:
	ds_read2_b32 v[1:2], v1 offset1:29
	s_waitcnt lgkmcnt(0)
	v_add_f32_e32 v8, v1, v2
.LBB316_35:
	s_or_b64 exec, exec, s[0:1]
	v_mov_b32_e32 v2, v8
.LBB316_36:
	v_cmp_gt_u32_e32 vcc, 29, v0
	s_and_saveexec_b64 s[0:1], vcc
	s_cbranch_execz .LBB316_40
; %bb.37:
	v_cmp_eq_f32_e64 s[0:1], s12, 0
	s_and_b64 vcc, exec, s[0:1]
	v_mul_f32_e32 v1, s14, v2
	s_cbranch_vccz .LBB316_41
; %bb.38:
	v_mad_u64_u32 v[2:3], s[0:1], s6, 29, v[0:1]
	v_mov_b32_e32 v3, 0
	v_mov_b32_e32 v4, s17
	v_lshlrev_b64 v[2:3], 2, v[2:3]
	v_add_co_u32_e32 v2, vcc, s16, v2
	v_addc_co_u32_e32 v3, vcc, v4, v3, vcc
	global_store_dword v[2:3], v1, off
	s_cbranch_execnz .LBB316_40
.LBB316_39:
	v_mad_u64_u32 v[2:3], s[0:1], s6, 29, v[0:1]
	v_mov_b32_e32 v3, 0
	v_mov_b32_e32 v0, s17
	v_lshlrev_b64 v[2:3], 2, v[2:3]
	v_add_co_u32_e32 v2, vcc, s16, v2
	v_addc_co_u32_e32 v3, vcc, v0, v3, vcc
	global_load_dword v0, v[2:3], off
	s_waitcnt vmcnt(0)
	v_fmac_f32_e32 v1, s12, v0
	global_store_dword v[2:3], v1, off
.LBB316_40:
	s_endpgm
.LBB316_41:
	s_branch .LBB316_39
	.section	.rodata,"a",@progbits
	.p2align	6, 0x0
	.amdhsa_kernel _ZN9rocsparseL20bsrxmvn_17_32_kernelILj29EfliDF16_DF16_fEEvT2_20rocsparse_direction_NS_24const_host_device_scalarIT0_EES1_PKS1_PKT1_SA_S7_PKT3_PKT4_S5_PT5_21rocsparse_index_base_b
		.amdhsa_group_segment_fixed_size 3364
		.amdhsa_private_segment_fixed_size 0
		.amdhsa_kernarg_size 96
		.amdhsa_user_sgpr_count 6
		.amdhsa_user_sgpr_private_segment_buffer 1
		.amdhsa_user_sgpr_dispatch_ptr 0
		.amdhsa_user_sgpr_queue_ptr 0
		.amdhsa_user_sgpr_kernarg_segment_ptr 1
		.amdhsa_user_sgpr_dispatch_id 0
		.amdhsa_user_sgpr_flat_scratch_init 0
		.amdhsa_user_sgpr_private_segment_size 0
		.amdhsa_uses_dynamic_stack 0
		.amdhsa_system_sgpr_private_segment_wavefront_offset 0
		.amdhsa_system_sgpr_workgroup_id_x 1
		.amdhsa_system_sgpr_workgroup_id_y 0
		.amdhsa_system_sgpr_workgroup_id_z 0
		.amdhsa_system_sgpr_workgroup_info 0
		.amdhsa_system_vgpr_workitem_id 0
		.amdhsa_next_free_vgpr 33
		.amdhsa_next_free_sgpr 77
		.amdhsa_reserve_vcc 1
		.amdhsa_reserve_flat_scratch 0
		.amdhsa_float_round_mode_32 0
		.amdhsa_float_round_mode_16_64 0
		.amdhsa_float_denorm_mode_32 3
		.amdhsa_float_denorm_mode_16_64 3
		.amdhsa_dx10_clamp 1
		.amdhsa_ieee_mode 1
		.amdhsa_fp16_overflow 0
		.amdhsa_exception_fp_ieee_invalid_op 0
		.amdhsa_exception_fp_denorm_src 0
		.amdhsa_exception_fp_ieee_div_zero 0
		.amdhsa_exception_fp_ieee_overflow 0
		.amdhsa_exception_fp_ieee_underflow 0
		.amdhsa_exception_fp_ieee_inexact 0
		.amdhsa_exception_int_div_zero 0
	.end_amdhsa_kernel
	.section	.text._ZN9rocsparseL20bsrxmvn_17_32_kernelILj29EfliDF16_DF16_fEEvT2_20rocsparse_direction_NS_24const_host_device_scalarIT0_EES1_PKS1_PKT1_SA_S7_PKT3_PKT4_S5_PT5_21rocsparse_index_base_b,"axG",@progbits,_ZN9rocsparseL20bsrxmvn_17_32_kernelILj29EfliDF16_DF16_fEEvT2_20rocsparse_direction_NS_24const_host_device_scalarIT0_EES1_PKS1_PKT1_SA_S7_PKT3_PKT4_S5_PT5_21rocsparse_index_base_b,comdat
.Lfunc_end316:
	.size	_ZN9rocsparseL20bsrxmvn_17_32_kernelILj29EfliDF16_DF16_fEEvT2_20rocsparse_direction_NS_24const_host_device_scalarIT0_EES1_PKS1_PKT1_SA_S7_PKT3_PKT4_S5_PT5_21rocsparse_index_base_b, .Lfunc_end316-_ZN9rocsparseL20bsrxmvn_17_32_kernelILj29EfliDF16_DF16_fEEvT2_20rocsparse_direction_NS_24const_host_device_scalarIT0_EES1_PKS1_PKT1_SA_S7_PKT3_PKT4_S5_PT5_21rocsparse_index_base_b
                                        ; -- End function
	.set _ZN9rocsparseL20bsrxmvn_17_32_kernelILj29EfliDF16_DF16_fEEvT2_20rocsparse_direction_NS_24const_host_device_scalarIT0_EES1_PKS1_PKT1_SA_S7_PKT3_PKT4_S5_PT5_21rocsparse_index_base_b.num_vgpr, 15
	.set _ZN9rocsparseL20bsrxmvn_17_32_kernelILj29EfliDF16_DF16_fEEvT2_20rocsparse_direction_NS_24const_host_device_scalarIT0_EES1_PKS1_PKT1_SA_S7_PKT3_PKT4_S5_PT5_21rocsparse_index_base_b.num_agpr, 0
	.set _ZN9rocsparseL20bsrxmvn_17_32_kernelILj29EfliDF16_DF16_fEEvT2_20rocsparse_direction_NS_24const_host_device_scalarIT0_EES1_PKS1_PKT1_SA_S7_PKT3_PKT4_S5_PT5_21rocsparse_index_base_b.numbered_sgpr, 26
	.set _ZN9rocsparseL20bsrxmvn_17_32_kernelILj29EfliDF16_DF16_fEEvT2_20rocsparse_direction_NS_24const_host_device_scalarIT0_EES1_PKS1_PKT1_SA_S7_PKT3_PKT4_S5_PT5_21rocsparse_index_base_b.num_named_barrier, 0
	.set _ZN9rocsparseL20bsrxmvn_17_32_kernelILj29EfliDF16_DF16_fEEvT2_20rocsparse_direction_NS_24const_host_device_scalarIT0_EES1_PKS1_PKT1_SA_S7_PKT3_PKT4_S5_PT5_21rocsparse_index_base_b.private_seg_size, 0
	.set _ZN9rocsparseL20bsrxmvn_17_32_kernelILj29EfliDF16_DF16_fEEvT2_20rocsparse_direction_NS_24const_host_device_scalarIT0_EES1_PKS1_PKT1_SA_S7_PKT3_PKT4_S5_PT5_21rocsparse_index_base_b.uses_vcc, 1
	.set _ZN9rocsparseL20bsrxmvn_17_32_kernelILj29EfliDF16_DF16_fEEvT2_20rocsparse_direction_NS_24const_host_device_scalarIT0_EES1_PKS1_PKT1_SA_S7_PKT3_PKT4_S5_PT5_21rocsparse_index_base_b.uses_flat_scratch, 0
	.set _ZN9rocsparseL20bsrxmvn_17_32_kernelILj29EfliDF16_DF16_fEEvT2_20rocsparse_direction_NS_24const_host_device_scalarIT0_EES1_PKS1_PKT1_SA_S7_PKT3_PKT4_S5_PT5_21rocsparse_index_base_b.has_dyn_sized_stack, 0
	.set _ZN9rocsparseL20bsrxmvn_17_32_kernelILj29EfliDF16_DF16_fEEvT2_20rocsparse_direction_NS_24const_host_device_scalarIT0_EES1_PKS1_PKT1_SA_S7_PKT3_PKT4_S5_PT5_21rocsparse_index_base_b.has_recursion, 0
	.set _ZN9rocsparseL20bsrxmvn_17_32_kernelILj29EfliDF16_DF16_fEEvT2_20rocsparse_direction_NS_24const_host_device_scalarIT0_EES1_PKS1_PKT1_SA_S7_PKT3_PKT4_S5_PT5_21rocsparse_index_base_b.has_indirect_call, 0
	.section	.AMDGPU.csdata,"",@progbits
; Kernel info:
; codeLenInByte = 1320
; TotalNumSgprs: 30
; NumVgprs: 15
; ScratchSize: 0
; MemoryBound: 0
; FloatMode: 240
; IeeeMode: 1
; LDSByteSize: 3364 bytes/workgroup (compile time only)
; SGPRBlocks: 10
; VGPRBlocks: 8
; NumSGPRsForWavesPerEU: 81
; NumVGPRsForWavesPerEU: 33
; Occupancy: 7
; WaveLimiterHint : 1
; COMPUTE_PGM_RSRC2:SCRATCH_EN: 0
; COMPUTE_PGM_RSRC2:USER_SGPR: 6
; COMPUTE_PGM_RSRC2:TRAP_HANDLER: 0
; COMPUTE_PGM_RSRC2:TGID_X_EN: 1
; COMPUTE_PGM_RSRC2:TGID_Y_EN: 0
; COMPUTE_PGM_RSRC2:TGID_Z_EN: 0
; COMPUTE_PGM_RSRC2:TIDIG_COMP_CNT: 0
	.section	.text._ZN9rocsparseL20bsrxmvn_17_32_kernelILj30EfliDF16_DF16_fEEvT2_20rocsparse_direction_NS_24const_host_device_scalarIT0_EES1_PKS1_PKT1_SA_S7_PKT3_PKT4_S5_PT5_21rocsparse_index_base_b,"axG",@progbits,_ZN9rocsparseL20bsrxmvn_17_32_kernelILj30EfliDF16_DF16_fEEvT2_20rocsparse_direction_NS_24const_host_device_scalarIT0_EES1_PKS1_PKT1_SA_S7_PKT3_PKT4_S5_PT5_21rocsparse_index_base_b,comdat
	.globl	_ZN9rocsparseL20bsrxmvn_17_32_kernelILj30EfliDF16_DF16_fEEvT2_20rocsparse_direction_NS_24const_host_device_scalarIT0_EES1_PKS1_PKT1_SA_S7_PKT3_PKT4_S5_PT5_21rocsparse_index_base_b ; -- Begin function _ZN9rocsparseL20bsrxmvn_17_32_kernelILj30EfliDF16_DF16_fEEvT2_20rocsparse_direction_NS_24const_host_device_scalarIT0_EES1_PKS1_PKT1_SA_S7_PKT3_PKT4_S5_PT5_21rocsparse_index_base_b
	.p2align	8
	.type	_ZN9rocsparseL20bsrxmvn_17_32_kernelILj30EfliDF16_DF16_fEEvT2_20rocsparse_direction_NS_24const_host_device_scalarIT0_EES1_PKS1_PKT1_SA_S7_PKT3_PKT4_S5_PT5_21rocsparse_index_base_b,@function
_ZN9rocsparseL20bsrxmvn_17_32_kernelILj30EfliDF16_DF16_fEEvT2_20rocsparse_direction_NS_24const_host_device_scalarIT0_EES1_PKS1_PKT1_SA_S7_PKT3_PKT4_S5_PT5_21rocsparse_index_base_b: ; @_ZN9rocsparseL20bsrxmvn_17_32_kernelILj30EfliDF16_DF16_fEEvT2_20rocsparse_direction_NS_24const_host_device_scalarIT0_EES1_PKS1_PKT1_SA_S7_PKT3_PKT4_S5_PT5_21rocsparse_index_base_b
; %bb.0:
	s_load_dwordx2 s[18:19], s[4:5], 0x58
	s_load_dwordx2 s[14:15], s[4:5], 0x8
	s_load_dwordx2 s[12:13], s[4:5], 0x48
	s_waitcnt lgkmcnt(0)
	s_bitcmp1_b32 s19, 0
	s_cselect_b64 s[2:3], -1, 0
	s_xor_b64 s[0:1], s[2:3], -1
	s_and_b64 vcc, exec, s[2:3]
	s_cbranch_vccnz .LBB317_2
; %bb.1:
	s_load_dword s14, s[14:15], 0x0
.LBB317_2:
	s_andn2_b64 vcc, exec, s[0:1]
	s_cbranch_vccnz .LBB317_4
; %bb.3:
	s_load_dword s12, s[12:13], 0x0
.LBB317_4:
	s_waitcnt lgkmcnt(0)
	v_cmp_neq_f32_e64 s[0:1], s14, 0
	v_cmp_neq_f32_e64 s[2:3], s12, 1.0
	s_or_b64 s[0:1], s[0:1], s[2:3]
	s_andn2_b64 vcc, exec, s[0:1]
	s_cbranch_vccnz .LBB317_40
; %bb.5:
	s_load_dwordx4 s[0:3], s[4:5], 0x18
	s_load_dwordx2 s[8:9], s[4:5], 0x28
	s_waitcnt lgkmcnt(0)
	s_cmp_eq_u64 s[0:1], 0
	s_cbranch_scc1 .LBB317_7
; %bb.6:
	s_ashr_i32 s7, s6, 31
	s_lshl_b64 s[6:7], s[6:7], 2
	s_add_u32 s0, s0, s6
	s_addc_u32 s1, s1, s7
	s_load_dword s0, s[0:1], 0x0
	s_waitcnt lgkmcnt(0)
	s_sub_i32 s6, s0, s18
.LBB317_7:
	s_load_dword s7, s[4:5], 0x4
	s_load_dwordx2 s[16:17], s[4:5], 0x50
	v_mul_u32_u24_e32 v1, 0x889, v0
	v_mov_b32_e32 v2, 30
	v_mul_lo_u16_sdwa v2, v1, v2 dst_sel:DWORD dst_unused:UNUSED_PAD src0_sel:WORD_1 src1_sel:DWORD
	s_waitcnt lgkmcnt(0)
	s_cmp_eq_u32 s7, 1
	s_cselect_b64 s[0:1], -1, 0
	s_cmp_lg_u32 s7, 1
	s_cselect_b64 s[20:21], -1, 0
	s_ashr_i32 s7, s6, 31
	s_lshl_b64 s[10:11], s[6:7], 3
	s_add_u32 s2, s2, s10
	s_addc_u32 s3, s3, s11
	s_add_u32 s7, s2, 8
	s_addc_u32 s13, s3, 0
	;; [unrolled: 2-line block ×3, first 2 shown]
	s_cmp_eq_u64 s[8:9], 0
	s_cselect_b32 s9, s13, s11
	s_cselect_b32 s8, s7, s10
	s_load_dwordx2 s[22:23], s[8:9], 0x0
	s_load_dwordx2 s[24:25], s[2:3], 0x0
	v_sub_u16_e32 v9, v0, v2
	v_mov_b32_e32 v8, 0
	s_waitcnt lgkmcnt(0)
	v_mov_b32_e32 v2, s22
	v_mov_b32_e32 v3, s23
	v_cmp_ge_i64_e32 vcc, s[24:25], v[2:3]
	s_cbranch_vccnz .LBB317_12
; %bb.8:
	s_load_dwordx4 s[8:11], s[4:5], 0x30
	s_load_dwordx2 s[2:3], s[4:5], 0x40
	s_sub_u32 s4, s22, s18
	s_mov_b32 s7, 0xffff
	s_subb_u32 s5, s23, 0
	s_movk_i32 s13, 0x384
	v_and_b32_sdwa v1, s7, v1 dst_sel:DWORD dst_unused:UNUSED_PAD src0_sel:DWORD src1_sel:WORD_1
	v_subrev_u32_e32 v2, 30, v1
	v_cmp_gt_u32_e32 vcc, s13, v0
	s_sub_u32 s22, s24, s18
	v_cndmask_b32_e32 v1, v2, v1, vcc
	s_subb_u32 s23, s25, 0
	v_cndmask_b32_e64 v1, v9, v1, s[0:1]
	s_mul_i32 s0, s23, 0x708
	s_mul_hi_u32 s1, s22, 0x708
	s_add_i32 s1, s1, s0
	s_mul_i32 s0, s22, 0x708
	s_waitcnt lgkmcnt(0)
	s_add_u32 s0, s10, s0
	s_addc_u32 s1, s11, s1
	v_lshlrev_b32_e32 v2, 1, v0
	v_mov_b32_e32 v3, s1
	v_add_co_u32_e32 v2, vcc, s0, v2
	v_addc_co_u32_e32 v3, vcc, 0, v3, vcc
	s_movk_i32 s0, 0x383
	v_cmp_lt_u32_e32 vcc, s0, v0
	v_cndmask_b32_e64 v10, 0, 1, vcc
	v_mov_b32_e32 v4, s25
	v_add_co_u32_e32 v5, vcc, s24, v10
	v_addc_co_u32_e32 v6, vcc, 0, v4, vcc
	v_subrev_co_u32_e32 v4, vcc, s18, v5
	v_subbrev_co_u32_e32 v5, vcc, 0, v6, vcc
	v_lshlrev_b64 v[4:5], 2, v[4:5]
	v_mov_b32_e32 v6, s9
	v_add_co_u32_e32 v4, vcc, s8, v4
	v_addc_co_u32_e32 v5, vcc, v6, v5, vcc
	v_mov_b32_e32 v7, s5
	v_mov_b32_e32 v8, 0
	;; [unrolled: 1-line block ×3, first 2 shown]
	s_branch .LBB317_10
.LBB317_9:                              ;   in Loop: Header=BB317_10 Depth=1
	s_or_b64 exec, exec, s[0:1]
	s_add_u32 s22, s22, 1
	s_addc_u32 s23, s23, 0
	v_cmp_lt_i64_e32 vcc, s[22:23], v[6:7]
	v_add_co_u32_e64 v4, s[0:1], 4, v4
	v_addc_co_u32_e64 v5, s[0:1], 0, v5, s[0:1]
	s_cbranch_vccz .LBB317_12
.LBB317_10:                             ; =>This Inner Loop Header: Depth=1
	v_mov_b32_e32 v12, s23
	v_add_co_u32_e32 v11, vcc, s22, v10
	v_addc_co_u32_e32 v12, vcc, 0, v12, vcc
	v_cmp_gt_i64_e32 vcc, s[4:5], v[11:12]
	s_and_saveexec_b64 s[0:1], vcc
	s_cbranch_execz .LBB317_9
; %bb.11:                               ;   in Loop: Header=BB317_10 Depth=1
	global_load_dword v11, v[4:5], off
	v_mov_b32_e32 v14, s3
	global_load_ushort v13, v[2:3], off
	s_waitcnt vmcnt(1)
	v_subrev_u32_e32 v11, s18, v11
	v_mad_u64_u32 v[11:12], s[8:9], v11, 30, v[1:2]
	v_ashrrev_i32_e32 v12, 31, v11
	v_lshlrev_b64 v[11:12], 1, v[11:12]
	v_add_co_u32_e32 v11, vcc, s2, v11
	v_addc_co_u32_e32 v12, vcc, v14, v12, vcc
	global_load_ushort v11, v[11:12], off
	v_add_co_u32_e32 v2, vcc, 0x708, v2
	v_addc_co_u32_e32 v3, vcc, 0, v3, vcc
	s_waitcnt vmcnt(0)
	v_fma_mix_f32 v8, v13, v11, v8 op_sel_hi:[1,1,0]
	s_branch .LBB317_9
.LBB317_12:
	v_lshlrev_b32_e32 v1, 2, v0
	s_and_b64 vcc, exec, s[20:21]
	ds_write_b32 v1, v8
	s_waitcnt lgkmcnt(0)
	s_barrier
	s_cbranch_vccz .LBB317_24
; %bb.13:
	v_cmp_gt_u16_e32 vcc, 14, v9
	s_and_saveexec_b64 s[0:1], vcc
	s_cbranch_execz .LBB317_15
; %bb.14:
	ds_read2_b32 v[2:3], v1 offset1:16
	s_waitcnt lgkmcnt(0)
	v_add_f32_e32 v2, v3, v2
	ds_write_b32 v1, v2
.LBB317_15:
	s_or_b64 exec, exec, s[0:1]
	v_cmp_gt_u16_e32 vcc, 8, v9
	s_waitcnt lgkmcnt(0)
	s_barrier
	s_and_saveexec_b64 s[0:1], vcc
	s_cbranch_execz .LBB317_17
; %bb.16:
	ds_read2_b32 v[2:3], v1 offset1:8
	s_waitcnt lgkmcnt(0)
	v_add_f32_e32 v2, v3, v2
	ds_write_b32 v1, v2
.LBB317_17:
	s_or_b64 exec, exec, s[0:1]
	v_cmp_gt_u16_e32 vcc, 4, v9
	s_waitcnt lgkmcnt(0)
	s_barrier
	;; [unrolled: 12-line block ×3, first 2 shown]
	s_and_saveexec_b64 s[0:1], vcc
	s_cbranch_execz .LBB317_21
; %bb.20:
	ds_read2_b32 v[2:3], v1 offset1:2
	s_waitcnt lgkmcnt(0)
	v_add_f32_e32 v2, v3, v2
	ds_write_b32 v1, v2
.LBB317_21:
	s_or_b64 exec, exec, s[0:1]
	v_cmp_gt_u32_e32 vcc, 30, v0
	v_mov_b32_e32 v2, v8
	s_waitcnt lgkmcnt(0)
	s_barrier
	s_and_saveexec_b64 s[0:1], vcc
	s_cbranch_execz .LBB317_23
; %bb.22:
	s_movk_i32 s2, 0x74
	v_mad_u32_u24 v2, v0, s2, v1
	ds_read_b64 v[2:3], v2
	s_waitcnt lgkmcnt(0)
	v_add_f32_e32 v2, v2, v3
.LBB317_23:
	s_or_b64 exec, exec, s[0:1]
	s_branch .LBB317_36
.LBB317_24:
                                        ; implicit-def: $vgpr2
	s_cbranch_execz .LBB317_36
; %bb.25:
	s_movk_i32 s0, 0x1a4
	v_cmp_gt_u32_e32 vcc, s0, v0
	s_and_saveexec_b64 s[0:1], vcc
	s_cbranch_execz .LBB317_27
; %bb.26:
	ds_read_b32 v2, v1 offset:1920
	ds_read_b32 v3, v1
	s_waitcnt lgkmcnt(0)
	v_add_f32_e32 v2, v2, v3
	ds_write_b32 v1, v2
.LBB317_27:
	s_or_b64 exec, exec, s[0:1]
	s_movk_i32 s0, 0xf0
	v_cmp_gt_u32_e32 vcc, s0, v0
	s_waitcnt lgkmcnt(0)
	s_barrier
	s_and_saveexec_b64 s[0:1], vcc
	s_cbranch_execz .LBB317_29
; %bb.28:
	ds_read2_b32 v[2:3], v1 offset1:240
	s_waitcnt lgkmcnt(0)
	v_add_f32_e32 v2, v3, v2
	ds_write_b32 v1, v2
.LBB317_29:
	s_or_b64 exec, exec, s[0:1]
	s_movk_i32 s0, 0x78
	v_cmp_gt_u32_e32 vcc, s0, v0
	s_waitcnt lgkmcnt(0)
	s_barrier
	s_and_saveexec_b64 s[0:1], vcc
	s_cbranch_execz .LBB317_31
; %bb.30:
	ds_read2_b32 v[2:3], v1 offset1:120
	s_waitcnt lgkmcnt(0)
	v_add_f32_e32 v2, v3, v2
	ds_write_b32 v1, v2
.LBB317_31:
	s_or_b64 exec, exec, s[0:1]
	v_cmp_gt_u32_e32 vcc, 60, v0
	s_waitcnt lgkmcnt(0)
	s_barrier
	s_and_saveexec_b64 s[0:1], vcc
	s_cbranch_execz .LBB317_33
; %bb.32:
	ds_read2_b32 v[2:3], v1 offset1:60
	s_waitcnt lgkmcnt(0)
	v_add_f32_e32 v2, v3, v2
	ds_write_b32 v1, v2
.LBB317_33:
	s_or_b64 exec, exec, s[0:1]
	v_cmp_gt_u32_e32 vcc, 30, v0
	s_waitcnt lgkmcnt(0)
	s_and_saveexec_b64 s[0:1], vcc
	s_cbranch_execz .LBB317_35
; %bb.34:
	ds_read2_b32 v[1:2], v1 offset1:30
	s_waitcnt lgkmcnt(0)
	v_add_f32_e32 v8, v1, v2
.LBB317_35:
	s_or_b64 exec, exec, s[0:1]
	v_mov_b32_e32 v2, v8
.LBB317_36:
	v_cmp_gt_u32_e32 vcc, 30, v0
	s_and_saveexec_b64 s[0:1], vcc
	s_cbranch_execz .LBB317_40
; %bb.37:
	v_cmp_eq_f32_e64 s[0:1], s12, 0
	s_and_b64 vcc, exec, s[0:1]
	v_mul_f32_e32 v1, s14, v2
	s_cbranch_vccz .LBB317_41
; %bb.38:
	v_mad_u64_u32 v[2:3], s[0:1], s6, 30, v[0:1]
	v_mov_b32_e32 v3, 0
	v_mov_b32_e32 v4, s17
	v_lshlrev_b64 v[2:3], 2, v[2:3]
	v_add_co_u32_e32 v2, vcc, s16, v2
	v_addc_co_u32_e32 v3, vcc, v4, v3, vcc
	global_store_dword v[2:3], v1, off
	s_cbranch_execnz .LBB317_40
.LBB317_39:
	v_mad_u64_u32 v[2:3], s[0:1], s6, 30, v[0:1]
	v_mov_b32_e32 v3, 0
	v_mov_b32_e32 v0, s17
	v_lshlrev_b64 v[2:3], 2, v[2:3]
	v_add_co_u32_e32 v2, vcc, s16, v2
	v_addc_co_u32_e32 v3, vcc, v0, v3, vcc
	global_load_dword v0, v[2:3], off
	s_waitcnt vmcnt(0)
	v_fmac_f32_e32 v1, s12, v0
	global_store_dword v[2:3], v1, off
.LBB317_40:
	s_endpgm
.LBB317_41:
	s_branch .LBB317_39
	.section	.rodata,"a",@progbits
	.p2align	6, 0x0
	.amdhsa_kernel _ZN9rocsparseL20bsrxmvn_17_32_kernelILj30EfliDF16_DF16_fEEvT2_20rocsparse_direction_NS_24const_host_device_scalarIT0_EES1_PKS1_PKT1_SA_S7_PKT3_PKT4_S5_PT5_21rocsparse_index_base_b
		.amdhsa_group_segment_fixed_size 3600
		.amdhsa_private_segment_fixed_size 0
		.amdhsa_kernarg_size 96
		.amdhsa_user_sgpr_count 6
		.amdhsa_user_sgpr_private_segment_buffer 1
		.amdhsa_user_sgpr_dispatch_ptr 0
		.amdhsa_user_sgpr_queue_ptr 0
		.amdhsa_user_sgpr_kernarg_segment_ptr 1
		.amdhsa_user_sgpr_dispatch_id 0
		.amdhsa_user_sgpr_flat_scratch_init 0
		.amdhsa_user_sgpr_private_segment_size 0
		.amdhsa_uses_dynamic_stack 0
		.amdhsa_system_sgpr_private_segment_wavefront_offset 0
		.amdhsa_system_sgpr_workgroup_id_x 1
		.amdhsa_system_sgpr_workgroup_id_y 0
		.amdhsa_system_sgpr_workgroup_id_z 0
		.amdhsa_system_sgpr_workgroup_info 0
		.amdhsa_system_vgpr_workitem_id 0
		.amdhsa_next_free_vgpr 29
		.amdhsa_next_free_sgpr 61
		.amdhsa_reserve_vcc 1
		.amdhsa_reserve_flat_scratch 0
		.amdhsa_float_round_mode_32 0
		.amdhsa_float_round_mode_16_64 0
		.amdhsa_float_denorm_mode_32 3
		.amdhsa_float_denorm_mode_16_64 3
		.amdhsa_dx10_clamp 1
		.amdhsa_ieee_mode 1
		.amdhsa_fp16_overflow 0
		.amdhsa_exception_fp_ieee_invalid_op 0
		.amdhsa_exception_fp_denorm_src 0
		.amdhsa_exception_fp_ieee_div_zero 0
		.amdhsa_exception_fp_ieee_overflow 0
		.amdhsa_exception_fp_ieee_underflow 0
		.amdhsa_exception_fp_ieee_inexact 0
		.amdhsa_exception_int_div_zero 0
	.end_amdhsa_kernel
	.section	.text._ZN9rocsparseL20bsrxmvn_17_32_kernelILj30EfliDF16_DF16_fEEvT2_20rocsparse_direction_NS_24const_host_device_scalarIT0_EES1_PKS1_PKT1_SA_S7_PKT3_PKT4_S5_PT5_21rocsparse_index_base_b,"axG",@progbits,_ZN9rocsparseL20bsrxmvn_17_32_kernelILj30EfliDF16_DF16_fEEvT2_20rocsparse_direction_NS_24const_host_device_scalarIT0_EES1_PKS1_PKT1_SA_S7_PKT3_PKT4_S5_PT5_21rocsparse_index_base_b,comdat
.Lfunc_end317:
	.size	_ZN9rocsparseL20bsrxmvn_17_32_kernelILj30EfliDF16_DF16_fEEvT2_20rocsparse_direction_NS_24const_host_device_scalarIT0_EES1_PKS1_PKT1_SA_S7_PKT3_PKT4_S5_PT5_21rocsparse_index_base_b, .Lfunc_end317-_ZN9rocsparseL20bsrxmvn_17_32_kernelILj30EfliDF16_DF16_fEEvT2_20rocsparse_direction_NS_24const_host_device_scalarIT0_EES1_PKS1_PKT1_SA_S7_PKT3_PKT4_S5_PT5_21rocsparse_index_base_b
                                        ; -- End function
	.set _ZN9rocsparseL20bsrxmvn_17_32_kernelILj30EfliDF16_DF16_fEEvT2_20rocsparse_direction_NS_24const_host_device_scalarIT0_EES1_PKS1_PKT1_SA_S7_PKT3_PKT4_S5_PT5_21rocsparse_index_base_b.num_vgpr, 15
	.set _ZN9rocsparseL20bsrxmvn_17_32_kernelILj30EfliDF16_DF16_fEEvT2_20rocsparse_direction_NS_24const_host_device_scalarIT0_EES1_PKS1_PKT1_SA_S7_PKT3_PKT4_S5_PT5_21rocsparse_index_base_b.num_agpr, 0
	.set _ZN9rocsparseL20bsrxmvn_17_32_kernelILj30EfliDF16_DF16_fEEvT2_20rocsparse_direction_NS_24const_host_device_scalarIT0_EES1_PKS1_PKT1_SA_S7_PKT3_PKT4_S5_PT5_21rocsparse_index_base_b.numbered_sgpr, 26
	.set _ZN9rocsparseL20bsrxmvn_17_32_kernelILj30EfliDF16_DF16_fEEvT2_20rocsparse_direction_NS_24const_host_device_scalarIT0_EES1_PKS1_PKT1_SA_S7_PKT3_PKT4_S5_PT5_21rocsparse_index_base_b.num_named_barrier, 0
	.set _ZN9rocsparseL20bsrxmvn_17_32_kernelILj30EfliDF16_DF16_fEEvT2_20rocsparse_direction_NS_24const_host_device_scalarIT0_EES1_PKS1_PKT1_SA_S7_PKT3_PKT4_S5_PT5_21rocsparse_index_base_b.private_seg_size, 0
	.set _ZN9rocsparseL20bsrxmvn_17_32_kernelILj30EfliDF16_DF16_fEEvT2_20rocsparse_direction_NS_24const_host_device_scalarIT0_EES1_PKS1_PKT1_SA_S7_PKT3_PKT4_S5_PT5_21rocsparse_index_base_b.uses_vcc, 1
	.set _ZN9rocsparseL20bsrxmvn_17_32_kernelILj30EfliDF16_DF16_fEEvT2_20rocsparse_direction_NS_24const_host_device_scalarIT0_EES1_PKS1_PKT1_SA_S7_PKT3_PKT4_S5_PT5_21rocsparse_index_base_b.uses_flat_scratch, 0
	.set _ZN9rocsparseL20bsrxmvn_17_32_kernelILj30EfliDF16_DF16_fEEvT2_20rocsparse_direction_NS_24const_host_device_scalarIT0_EES1_PKS1_PKT1_SA_S7_PKT3_PKT4_S5_PT5_21rocsparse_index_base_b.has_dyn_sized_stack, 0
	.set _ZN9rocsparseL20bsrxmvn_17_32_kernelILj30EfliDF16_DF16_fEEvT2_20rocsparse_direction_NS_24const_host_device_scalarIT0_EES1_PKS1_PKT1_SA_S7_PKT3_PKT4_S5_PT5_21rocsparse_index_base_b.has_recursion, 0
	.set _ZN9rocsparseL20bsrxmvn_17_32_kernelILj30EfliDF16_DF16_fEEvT2_20rocsparse_direction_NS_24const_host_device_scalarIT0_EES1_PKS1_PKT1_SA_S7_PKT3_PKT4_S5_PT5_21rocsparse_index_base_b.has_indirect_call, 0
	.section	.AMDGPU.csdata,"",@progbits
; Kernel info:
; codeLenInByte = 1320
; TotalNumSgprs: 30
; NumVgprs: 15
; ScratchSize: 0
; MemoryBound: 0
; FloatMode: 240
; IeeeMode: 1
; LDSByteSize: 3600 bytes/workgroup (compile time only)
; SGPRBlocks: 8
; VGPRBlocks: 7
; NumSGPRsForWavesPerEU: 65
; NumVGPRsForWavesPerEU: 29
; Occupancy: 8
; WaveLimiterHint : 1
; COMPUTE_PGM_RSRC2:SCRATCH_EN: 0
; COMPUTE_PGM_RSRC2:USER_SGPR: 6
; COMPUTE_PGM_RSRC2:TRAP_HANDLER: 0
; COMPUTE_PGM_RSRC2:TGID_X_EN: 1
; COMPUTE_PGM_RSRC2:TGID_Y_EN: 0
; COMPUTE_PGM_RSRC2:TGID_Z_EN: 0
; COMPUTE_PGM_RSRC2:TIDIG_COMP_CNT: 0
	.section	.text._ZN9rocsparseL20bsrxmvn_17_32_kernelILj31EfliDF16_DF16_fEEvT2_20rocsparse_direction_NS_24const_host_device_scalarIT0_EES1_PKS1_PKT1_SA_S7_PKT3_PKT4_S5_PT5_21rocsparse_index_base_b,"axG",@progbits,_ZN9rocsparseL20bsrxmvn_17_32_kernelILj31EfliDF16_DF16_fEEvT2_20rocsparse_direction_NS_24const_host_device_scalarIT0_EES1_PKS1_PKT1_SA_S7_PKT3_PKT4_S5_PT5_21rocsparse_index_base_b,comdat
	.globl	_ZN9rocsparseL20bsrxmvn_17_32_kernelILj31EfliDF16_DF16_fEEvT2_20rocsparse_direction_NS_24const_host_device_scalarIT0_EES1_PKS1_PKT1_SA_S7_PKT3_PKT4_S5_PT5_21rocsparse_index_base_b ; -- Begin function _ZN9rocsparseL20bsrxmvn_17_32_kernelILj31EfliDF16_DF16_fEEvT2_20rocsparse_direction_NS_24const_host_device_scalarIT0_EES1_PKS1_PKT1_SA_S7_PKT3_PKT4_S5_PT5_21rocsparse_index_base_b
	.p2align	8
	.type	_ZN9rocsparseL20bsrxmvn_17_32_kernelILj31EfliDF16_DF16_fEEvT2_20rocsparse_direction_NS_24const_host_device_scalarIT0_EES1_PKS1_PKT1_SA_S7_PKT3_PKT4_S5_PT5_21rocsparse_index_base_b,@function
_ZN9rocsparseL20bsrxmvn_17_32_kernelILj31EfliDF16_DF16_fEEvT2_20rocsparse_direction_NS_24const_host_device_scalarIT0_EES1_PKS1_PKT1_SA_S7_PKT3_PKT4_S5_PT5_21rocsparse_index_base_b: ; @_ZN9rocsparseL20bsrxmvn_17_32_kernelILj31EfliDF16_DF16_fEEvT2_20rocsparse_direction_NS_24const_host_device_scalarIT0_EES1_PKS1_PKT1_SA_S7_PKT3_PKT4_S5_PT5_21rocsparse_index_base_b
; %bb.0:
	s_load_dwordx2 s[18:19], s[4:5], 0x58
	s_load_dwordx2 s[14:15], s[4:5], 0x8
	;; [unrolled: 1-line block ×3, first 2 shown]
	s_waitcnt lgkmcnt(0)
	s_bitcmp1_b32 s19, 0
	s_cselect_b64 s[2:3], -1, 0
	s_xor_b64 s[0:1], s[2:3], -1
	s_and_b64 vcc, exec, s[2:3]
	s_cbranch_vccnz .LBB318_2
; %bb.1:
	s_load_dword s14, s[14:15], 0x0
.LBB318_2:
	s_andn2_b64 vcc, exec, s[0:1]
	s_cbranch_vccnz .LBB318_4
; %bb.3:
	s_load_dword s12, s[12:13], 0x0
.LBB318_4:
	s_waitcnt lgkmcnt(0)
	v_cmp_neq_f32_e64 s[0:1], s14, 0
	v_cmp_neq_f32_e64 s[2:3], s12, 1.0
	s_or_b64 s[0:1], s[0:1], s[2:3]
	s_andn2_b64 vcc, exec, s[0:1]
	s_cbranch_vccnz .LBB318_40
; %bb.5:
	s_load_dwordx4 s[0:3], s[4:5], 0x18
	s_load_dwordx2 s[8:9], s[4:5], 0x28
	s_waitcnt lgkmcnt(0)
	s_cmp_eq_u64 s[0:1], 0
	s_cbranch_scc1 .LBB318_7
; %bb.6:
	s_ashr_i32 s7, s6, 31
	s_lshl_b64 s[6:7], s[6:7], 2
	s_add_u32 s0, s0, s6
	s_addc_u32 s1, s1, s7
	s_load_dword s0, s[0:1], 0x0
	s_waitcnt lgkmcnt(0)
	s_sub_i32 s6, s0, s18
.LBB318_7:
	s_load_dword s7, s[4:5], 0x4
	s_load_dwordx2 s[16:17], s[4:5], 0x50
	v_mul_u32_u24_e32 v1, 0x843, v0
	v_mov_b32_e32 v2, 31
	v_mul_lo_u16_sdwa v2, v1, v2 dst_sel:DWORD dst_unused:UNUSED_PAD src0_sel:WORD_1 src1_sel:DWORD
	s_waitcnt lgkmcnt(0)
	s_cmp_eq_u32 s7, 1
	s_cselect_b64 s[0:1], -1, 0
	s_cmp_lg_u32 s7, 1
	s_cselect_b64 s[20:21], -1, 0
	s_ashr_i32 s7, s6, 31
	s_lshl_b64 s[10:11], s[6:7], 3
	s_add_u32 s2, s2, s10
	s_addc_u32 s3, s3, s11
	s_add_u32 s7, s2, 8
	s_addc_u32 s13, s3, 0
	;; [unrolled: 2-line block ×3, first 2 shown]
	s_cmp_eq_u64 s[8:9], 0
	s_cselect_b32 s9, s13, s11
	s_cselect_b32 s8, s7, s10
	s_load_dwordx2 s[22:23], s[8:9], 0x0
	s_load_dwordx2 s[24:25], s[2:3], 0x0
	v_sub_u16_e32 v9, v0, v2
	v_mov_b32_e32 v8, 0
	s_waitcnt lgkmcnt(0)
	v_mov_b32_e32 v2, s22
	v_mov_b32_e32 v3, s23
	v_cmp_ge_i64_e32 vcc, s[24:25], v[2:3]
	s_cbranch_vccnz .LBB318_12
; %bb.8:
	s_load_dwordx4 s[8:11], s[4:5], 0x30
	s_load_dwordx2 s[2:3], s[4:5], 0x40
	s_sub_u32 s4, s22, s18
	s_mov_b32 s7, 0xffff
	s_subb_u32 s5, s23, 0
	s_movk_i32 s13, 0x3c1
	v_and_b32_sdwa v1, s7, v1 dst_sel:DWORD dst_unused:UNUSED_PAD src0_sel:DWORD src1_sel:WORD_1
	v_subrev_u32_e32 v2, 31, v1
	v_cmp_gt_u32_e32 vcc, s13, v0
	s_sub_u32 s22, s24, s18
	v_cndmask_b32_e32 v1, v2, v1, vcc
	s_subb_u32 s23, s25, 0
	v_cndmask_b32_e64 v1, v9, v1, s[0:1]
	s_mul_i32 s0, s23, 0x782
	s_mul_hi_u32 s1, s22, 0x782
	s_add_i32 s1, s1, s0
	s_mul_i32 s0, s22, 0x782
	s_waitcnt lgkmcnt(0)
	s_add_u32 s0, s10, s0
	s_addc_u32 s1, s11, s1
	v_lshlrev_b32_e32 v2, 1, v0
	v_mov_b32_e32 v3, s1
	v_add_co_u32_e32 v2, vcc, s0, v2
	v_addc_co_u32_e32 v3, vcc, 0, v3, vcc
	s_movk_i32 s0, 0x3c0
	v_cmp_lt_u32_e32 vcc, s0, v0
	v_cndmask_b32_e64 v10, 0, 1, vcc
	v_mov_b32_e32 v4, s25
	v_add_co_u32_e32 v5, vcc, s24, v10
	v_addc_co_u32_e32 v6, vcc, 0, v4, vcc
	v_subrev_co_u32_e32 v4, vcc, s18, v5
	v_subbrev_co_u32_e32 v5, vcc, 0, v6, vcc
	v_lshlrev_b64 v[4:5], 2, v[4:5]
	v_mov_b32_e32 v6, s9
	v_add_co_u32_e32 v4, vcc, s8, v4
	v_addc_co_u32_e32 v5, vcc, v6, v5, vcc
	v_mov_b32_e32 v7, s5
	v_mov_b32_e32 v8, 0
	;; [unrolled: 1-line block ×3, first 2 shown]
	s_branch .LBB318_10
.LBB318_9:                              ;   in Loop: Header=BB318_10 Depth=1
	s_or_b64 exec, exec, s[0:1]
	s_add_u32 s22, s22, 1
	s_addc_u32 s23, s23, 0
	v_cmp_lt_i64_e32 vcc, s[22:23], v[6:7]
	v_add_co_u32_e64 v4, s[0:1], 4, v4
	v_addc_co_u32_e64 v5, s[0:1], 0, v5, s[0:1]
	s_cbranch_vccz .LBB318_12
.LBB318_10:                             ; =>This Inner Loop Header: Depth=1
	v_mov_b32_e32 v12, s23
	v_add_co_u32_e32 v11, vcc, s22, v10
	v_addc_co_u32_e32 v12, vcc, 0, v12, vcc
	v_cmp_gt_i64_e32 vcc, s[4:5], v[11:12]
	s_and_saveexec_b64 s[0:1], vcc
	s_cbranch_execz .LBB318_9
; %bb.11:                               ;   in Loop: Header=BB318_10 Depth=1
	global_load_dword v11, v[4:5], off
	v_mov_b32_e32 v14, s3
	global_load_ushort v13, v[2:3], off
	s_waitcnt vmcnt(1)
	v_subrev_u32_e32 v11, s18, v11
	v_mad_u64_u32 v[11:12], s[8:9], v11, 31, v[1:2]
	v_ashrrev_i32_e32 v12, 31, v11
	v_lshlrev_b64 v[11:12], 1, v[11:12]
	v_add_co_u32_e32 v11, vcc, s2, v11
	v_addc_co_u32_e32 v12, vcc, v14, v12, vcc
	global_load_ushort v11, v[11:12], off
	v_add_co_u32_e32 v2, vcc, 0x782, v2
	v_addc_co_u32_e32 v3, vcc, 0, v3, vcc
	s_waitcnt vmcnt(0)
	v_fma_mix_f32 v8, v13, v11, v8 op_sel_hi:[1,1,0]
	s_branch .LBB318_9
.LBB318_12:
	v_lshlrev_b32_e32 v1, 2, v0
	s_and_b64 vcc, exec, s[20:21]
	ds_write_b32 v1, v8
	s_waitcnt lgkmcnt(0)
	s_barrier
	s_cbranch_vccz .LBB318_24
; %bb.13:
	v_cmp_gt_u16_e32 vcc, 15, v9
	s_and_saveexec_b64 s[0:1], vcc
	s_cbranch_execz .LBB318_15
; %bb.14:
	ds_read2_b32 v[2:3], v1 offset1:16
	s_waitcnt lgkmcnt(0)
	v_add_f32_e32 v2, v3, v2
	ds_write_b32 v1, v2
.LBB318_15:
	s_or_b64 exec, exec, s[0:1]
	v_cmp_gt_u16_e32 vcc, 8, v9
	s_waitcnt lgkmcnt(0)
	s_barrier
	s_and_saveexec_b64 s[0:1], vcc
	s_cbranch_execz .LBB318_17
; %bb.16:
	ds_read2_b32 v[2:3], v1 offset1:8
	s_waitcnt lgkmcnt(0)
	v_add_f32_e32 v2, v3, v2
	ds_write_b32 v1, v2
.LBB318_17:
	s_or_b64 exec, exec, s[0:1]
	v_cmp_gt_u16_e32 vcc, 4, v9
	s_waitcnt lgkmcnt(0)
	s_barrier
	;; [unrolled: 12-line block ×3, first 2 shown]
	s_and_saveexec_b64 s[0:1], vcc
	s_cbranch_execz .LBB318_21
; %bb.20:
	ds_read2_b32 v[2:3], v1 offset1:2
	s_waitcnt lgkmcnt(0)
	v_add_f32_e32 v2, v3, v2
	ds_write_b32 v1, v2
.LBB318_21:
	s_or_b64 exec, exec, s[0:1]
	v_cmp_gt_u32_e32 vcc, 31, v0
	v_mov_b32_e32 v2, v8
	s_waitcnt lgkmcnt(0)
	s_barrier
	s_and_saveexec_b64 s[0:1], vcc
	s_cbranch_execz .LBB318_23
; %bb.22:
	s_movk_i32 s2, 0x78
	v_mad_u32_u24 v2, v0, s2, v1
	ds_read2_b32 v[2:3], v2 offset1:1
	s_waitcnt lgkmcnt(0)
	v_add_f32_e32 v2, v2, v3
.LBB318_23:
	s_or_b64 exec, exec, s[0:1]
	s_branch .LBB318_36
.LBB318_24:
                                        ; implicit-def: $vgpr2
	s_cbranch_execz .LBB318_36
; %bb.25:
	s_movk_i32 s0, 0x1d1
	v_cmp_gt_u32_e32 vcc, s0, v0
	s_and_saveexec_b64 s[0:1], vcc
	s_cbranch_execz .LBB318_27
; %bb.26:
	ds_read_b32 v2, v1 offset:1984
	ds_read_b32 v3, v1
	s_waitcnt lgkmcnt(0)
	v_add_f32_e32 v2, v2, v3
	ds_write_b32 v1, v2
.LBB318_27:
	s_or_b64 exec, exec, s[0:1]
	s_movk_i32 s0, 0xf8
	v_cmp_gt_u32_e32 vcc, s0, v0
	s_waitcnt lgkmcnt(0)
	s_barrier
	s_and_saveexec_b64 s[0:1], vcc
	s_cbranch_execz .LBB318_29
; %bb.28:
	ds_read2_b32 v[2:3], v1 offset1:248
	s_waitcnt lgkmcnt(0)
	v_add_f32_e32 v2, v3, v2
	ds_write_b32 v1, v2
.LBB318_29:
	s_or_b64 exec, exec, s[0:1]
	s_movk_i32 s0, 0x7c
	v_cmp_gt_u32_e32 vcc, s0, v0
	s_waitcnt lgkmcnt(0)
	s_barrier
	s_and_saveexec_b64 s[0:1], vcc
	s_cbranch_execz .LBB318_31
; %bb.30:
	ds_read2_b32 v[2:3], v1 offset1:124
	s_waitcnt lgkmcnt(0)
	v_add_f32_e32 v2, v3, v2
	ds_write_b32 v1, v2
.LBB318_31:
	s_or_b64 exec, exec, s[0:1]
	v_cmp_gt_u32_e32 vcc, 62, v0
	s_waitcnt lgkmcnt(0)
	s_barrier
	s_and_saveexec_b64 s[0:1], vcc
	s_cbranch_execz .LBB318_33
; %bb.32:
	ds_read2_b32 v[2:3], v1 offset1:62
	s_waitcnt lgkmcnt(0)
	v_add_f32_e32 v2, v3, v2
	ds_write_b32 v1, v2
.LBB318_33:
	s_or_b64 exec, exec, s[0:1]
	v_cmp_gt_u32_e32 vcc, 31, v0
	s_waitcnt lgkmcnt(0)
	s_and_saveexec_b64 s[0:1], vcc
	s_cbranch_execz .LBB318_35
; %bb.34:
	ds_read2_b32 v[1:2], v1 offset1:31
	s_waitcnt lgkmcnt(0)
	v_add_f32_e32 v8, v1, v2
.LBB318_35:
	s_or_b64 exec, exec, s[0:1]
	v_mov_b32_e32 v2, v8
.LBB318_36:
	v_cmp_gt_u32_e32 vcc, 31, v0
	s_and_saveexec_b64 s[0:1], vcc
	s_cbranch_execz .LBB318_40
; %bb.37:
	v_cmp_eq_f32_e64 s[0:1], s12, 0
	s_and_b64 vcc, exec, s[0:1]
	v_mul_f32_e32 v1, s14, v2
	s_cbranch_vccz .LBB318_41
; %bb.38:
	v_mad_u64_u32 v[2:3], s[0:1], s6, 31, v[0:1]
	v_mov_b32_e32 v3, 0
	v_mov_b32_e32 v4, s17
	v_lshlrev_b64 v[2:3], 2, v[2:3]
	v_add_co_u32_e32 v2, vcc, s16, v2
	v_addc_co_u32_e32 v3, vcc, v4, v3, vcc
	global_store_dword v[2:3], v1, off
	s_cbranch_execnz .LBB318_40
.LBB318_39:
	v_mad_u64_u32 v[2:3], s[0:1], s6, 31, v[0:1]
	v_mov_b32_e32 v3, 0
	v_mov_b32_e32 v0, s17
	v_lshlrev_b64 v[2:3], 2, v[2:3]
	v_add_co_u32_e32 v2, vcc, s16, v2
	v_addc_co_u32_e32 v3, vcc, v0, v3, vcc
	global_load_dword v0, v[2:3], off
	s_waitcnt vmcnt(0)
	v_fmac_f32_e32 v1, s12, v0
	global_store_dword v[2:3], v1, off
.LBB318_40:
	s_endpgm
.LBB318_41:
	s_branch .LBB318_39
	.section	.rodata,"a",@progbits
	.p2align	6, 0x0
	.amdhsa_kernel _ZN9rocsparseL20bsrxmvn_17_32_kernelILj31EfliDF16_DF16_fEEvT2_20rocsparse_direction_NS_24const_host_device_scalarIT0_EES1_PKS1_PKT1_SA_S7_PKT3_PKT4_S5_PT5_21rocsparse_index_base_b
		.amdhsa_group_segment_fixed_size 3844
		.amdhsa_private_segment_fixed_size 0
		.amdhsa_kernarg_size 96
		.amdhsa_user_sgpr_count 6
		.amdhsa_user_sgpr_private_segment_buffer 1
		.amdhsa_user_sgpr_dispatch_ptr 0
		.amdhsa_user_sgpr_queue_ptr 0
		.amdhsa_user_sgpr_kernarg_segment_ptr 1
		.amdhsa_user_sgpr_dispatch_id 0
		.amdhsa_user_sgpr_flat_scratch_init 0
		.amdhsa_user_sgpr_private_segment_size 0
		.amdhsa_uses_dynamic_stack 0
		.amdhsa_system_sgpr_private_segment_wavefront_offset 0
		.amdhsa_system_sgpr_workgroup_id_x 1
		.amdhsa_system_sgpr_workgroup_id_y 0
		.amdhsa_system_sgpr_workgroup_id_z 0
		.amdhsa_system_sgpr_workgroup_info 0
		.amdhsa_system_vgpr_workitem_id 0
		.amdhsa_next_free_vgpr 29
		.amdhsa_next_free_sgpr 61
		.amdhsa_reserve_vcc 1
		.amdhsa_reserve_flat_scratch 0
		.amdhsa_float_round_mode_32 0
		.amdhsa_float_round_mode_16_64 0
		.amdhsa_float_denorm_mode_32 3
		.amdhsa_float_denorm_mode_16_64 3
		.amdhsa_dx10_clamp 1
		.amdhsa_ieee_mode 1
		.amdhsa_fp16_overflow 0
		.amdhsa_exception_fp_ieee_invalid_op 0
		.amdhsa_exception_fp_denorm_src 0
		.amdhsa_exception_fp_ieee_div_zero 0
		.amdhsa_exception_fp_ieee_overflow 0
		.amdhsa_exception_fp_ieee_underflow 0
		.amdhsa_exception_fp_ieee_inexact 0
		.amdhsa_exception_int_div_zero 0
	.end_amdhsa_kernel
	.section	.text._ZN9rocsparseL20bsrxmvn_17_32_kernelILj31EfliDF16_DF16_fEEvT2_20rocsparse_direction_NS_24const_host_device_scalarIT0_EES1_PKS1_PKT1_SA_S7_PKT3_PKT4_S5_PT5_21rocsparse_index_base_b,"axG",@progbits,_ZN9rocsparseL20bsrxmvn_17_32_kernelILj31EfliDF16_DF16_fEEvT2_20rocsparse_direction_NS_24const_host_device_scalarIT0_EES1_PKS1_PKT1_SA_S7_PKT3_PKT4_S5_PT5_21rocsparse_index_base_b,comdat
.Lfunc_end318:
	.size	_ZN9rocsparseL20bsrxmvn_17_32_kernelILj31EfliDF16_DF16_fEEvT2_20rocsparse_direction_NS_24const_host_device_scalarIT0_EES1_PKS1_PKT1_SA_S7_PKT3_PKT4_S5_PT5_21rocsparse_index_base_b, .Lfunc_end318-_ZN9rocsparseL20bsrxmvn_17_32_kernelILj31EfliDF16_DF16_fEEvT2_20rocsparse_direction_NS_24const_host_device_scalarIT0_EES1_PKS1_PKT1_SA_S7_PKT3_PKT4_S5_PT5_21rocsparse_index_base_b
                                        ; -- End function
	.set _ZN9rocsparseL20bsrxmvn_17_32_kernelILj31EfliDF16_DF16_fEEvT2_20rocsparse_direction_NS_24const_host_device_scalarIT0_EES1_PKS1_PKT1_SA_S7_PKT3_PKT4_S5_PT5_21rocsparse_index_base_b.num_vgpr, 15
	.set _ZN9rocsparseL20bsrxmvn_17_32_kernelILj31EfliDF16_DF16_fEEvT2_20rocsparse_direction_NS_24const_host_device_scalarIT0_EES1_PKS1_PKT1_SA_S7_PKT3_PKT4_S5_PT5_21rocsparse_index_base_b.num_agpr, 0
	.set _ZN9rocsparseL20bsrxmvn_17_32_kernelILj31EfliDF16_DF16_fEEvT2_20rocsparse_direction_NS_24const_host_device_scalarIT0_EES1_PKS1_PKT1_SA_S7_PKT3_PKT4_S5_PT5_21rocsparse_index_base_b.numbered_sgpr, 26
	.set _ZN9rocsparseL20bsrxmvn_17_32_kernelILj31EfliDF16_DF16_fEEvT2_20rocsparse_direction_NS_24const_host_device_scalarIT0_EES1_PKS1_PKT1_SA_S7_PKT3_PKT4_S5_PT5_21rocsparse_index_base_b.num_named_barrier, 0
	.set _ZN9rocsparseL20bsrxmvn_17_32_kernelILj31EfliDF16_DF16_fEEvT2_20rocsparse_direction_NS_24const_host_device_scalarIT0_EES1_PKS1_PKT1_SA_S7_PKT3_PKT4_S5_PT5_21rocsparse_index_base_b.private_seg_size, 0
	.set _ZN9rocsparseL20bsrxmvn_17_32_kernelILj31EfliDF16_DF16_fEEvT2_20rocsparse_direction_NS_24const_host_device_scalarIT0_EES1_PKS1_PKT1_SA_S7_PKT3_PKT4_S5_PT5_21rocsparse_index_base_b.uses_vcc, 1
	.set _ZN9rocsparseL20bsrxmvn_17_32_kernelILj31EfliDF16_DF16_fEEvT2_20rocsparse_direction_NS_24const_host_device_scalarIT0_EES1_PKS1_PKT1_SA_S7_PKT3_PKT4_S5_PT5_21rocsparse_index_base_b.uses_flat_scratch, 0
	.set _ZN9rocsparseL20bsrxmvn_17_32_kernelILj31EfliDF16_DF16_fEEvT2_20rocsparse_direction_NS_24const_host_device_scalarIT0_EES1_PKS1_PKT1_SA_S7_PKT3_PKT4_S5_PT5_21rocsparse_index_base_b.has_dyn_sized_stack, 0
	.set _ZN9rocsparseL20bsrxmvn_17_32_kernelILj31EfliDF16_DF16_fEEvT2_20rocsparse_direction_NS_24const_host_device_scalarIT0_EES1_PKS1_PKT1_SA_S7_PKT3_PKT4_S5_PT5_21rocsparse_index_base_b.has_recursion, 0
	.set _ZN9rocsparseL20bsrxmvn_17_32_kernelILj31EfliDF16_DF16_fEEvT2_20rocsparse_direction_NS_24const_host_device_scalarIT0_EES1_PKS1_PKT1_SA_S7_PKT3_PKT4_S5_PT5_21rocsparse_index_base_b.has_indirect_call, 0
	.section	.AMDGPU.csdata,"",@progbits
; Kernel info:
; codeLenInByte = 1320
; TotalNumSgprs: 30
; NumVgprs: 15
; ScratchSize: 0
; MemoryBound: 0
; FloatMode: 240
; IeeeMode: 1
; LDSByteSize: 3844 bytes/workgroup (compile time only)
; SGPRBlocks: 8
; VGPRBlocks: 7
; NumSGPRsForWavesPerEU: 65
; NumVGPRsForWavesPerEU: 29
; Occupancy: 8
; WaveLimiterHint : 1
; COMPUTE_PGM_RSRC2:SCRATCH_EN: 0
; COMPUTE_PGM_RSRC2:USER_SGPR: 6
; COMPUTE_PGM_RSRC2:TRAP_HANDLER: 0
; COMPUTE_PGM_RSRC2:TGID_X_EN: 1
; COMPUTE_PGM_RSRC2:TGID_Y_EN: 0
; COMPUTE_PGM_RSRC2:TGID_Z_EN: 0
; COMPUTE_PGM_RSRC2:TIDIG_COMP_CNT: 0
	.section	.text._ZN9rocsparseL20bsrxmvn_17_32_kernelILj32EfliDF16_DF16_fEEvT2_20rocsparse_direction_NS_24const_host_device_scalarIT0_EES1_PKS1_PKT1_SA_S7_PKT3_PKT4_S5_PT5_21rocsparse_index_base_b,"axG",@progbits,_ZN9rocsparseL20bsrxmvn_17_32_kernelILj32EfliDF16_DF16_fEEvT2_20rocsparse_direction_NS_24const_host_device_scalarIT0_EES1_PKS1_PKT1_SA_S7_PKT3_PKT4_S5_PT5_21rocsparse_index_base_b,comdat
	.globl	_ZN9rocsparseL20bsrxmvn_17_32_kernelILj32EfliDF16_DF16_fEEvT2_20rocsparse_direction_NS_24const_host_device_scalarIT0_EES1_PKS1_PKT1_SA_S7_PKT3_PKT4_S5_PT5_21rocsparse_index_base_b ; -- Begin function _ZN9rocsparseL20bsrxmvn_17_32_kernelILj32EfliDF16_DF16_fEEvT2_20rocsparse_direction_NS_24const_host_device_scalarIT0_EES1_PKS1_PKT1_SA_S7_PKT3_PKT4_S5_PT5_21rocsparse_index_base_b
	.p2align	8
	.type	_ZN9rocsparseL20bsrxmvn_17_32_kernelILj32EfliDF16_DF16_fEEvT2_20rocsparse_direction_NS_24const_host_device_scalarIT0_EES1_PKS1_PKT1_SA_S7_PKT3_PKT4_S5_PT5_21rocsparse_index_base_b,@function
_ZN9rocsparseL20bsrxmvn_17_32_kernelILj32EfliDF16_DF16_fEEvT2_20rocsparse_direction_NS_24const_host_device_scalarIT0_EES1_PKS1_PKT1_SA_S7_PKT3_PKT4_S5_PT5_21rocsparse_index_base_b: ; @_ZN9rocsparseL20bsrxmvn_17_32_kernelILj32EfliDF16_DF16_fEEvT2_20rocsparse_direction_NS_24const_host_device_scalarIT0_EES1_PKS1_PKT1_SA_S7_PKT3_PKT4_S5_PT5_21rocsparse_index_base_b
; %bb.0:
	s_load_dwordx2 s[12:13], s[4:5], 0x58
	s_load_dwordx2 s[10:11], s[4:5], 0x8
	;; [unrolled: 1-line block ×3, first 2 shown]
	s_waitcnt lgkmcnt(0)
	s_bitcmp1_b32 s13, 0
	s_cselect_b64 s[2:3], -1, 0
	s_xor_b64 s[0:1], s[2:3], -1
	s_and_b64 vcc, exec, s[2:3]
	s_cbranch_vccnz .LBB319_2
; %bb.1:
	s_load_dword s10, s[10:11], 0x0
.LBB319_2:
	s_andn2_b64 vcc, exec, s[0:1]
	s_cbranch_vccnz .LBB319_4
; %bb.3:
	s_load_dword s8, s[8:9], 0x0
.LBB319_4:
	s_waitcnt lgkmcnt(0)
	v_cmp_neq_f32_e64 s[0:1], s10, 0
	v_cmp_neq_f32_e64 s[2:3], s8, 1.0
	s_or_b64 s[0:1], s[0:1], s[2:3]
	s_andn2_b64 vcc, exec, s[0:1]
	s_cbranch_vccnz .LBB319_38
; %bb.5:
	s_load_dwordx4 s[0:3], s[4:5], 0x18
	s_load_dwordx2 s[16:17], s[4:5], 0x28
	s_waitcnt lgkmcnt(0)
	s_cmp_eq_u64 s[0:1], 0
	s_cbranch_scc1 .LBB319_7
; %bb.6:
	s_ashr_i32 s7, s6, 31
	s_lshl_b64 s[6:7], s[6:7], 2
	s_add_u32 s0, s0, s6
	s_addc_u32 s1, s1, s7
	s_load_dword s0, s[0:1], 0x0
	s_waitcnt lgkmcnt(0)
	s_sub_i32 s6, s0, s12
.LBB319_7:
	s_load_dword s7, s[4:5], 0x4
	v_and_b32_e32 v6, 31, v0
	v_mov_b32_e32 v5, 0
	s_waitcnt lgkmcnt(0)
	s_cmp_eq_u32 s7, 1
	s_cselect_b64 s[0:1], -1, 0
	s_cmp_lg_u32 s7, 1
	s_cselect_b64 s[14:15], -1, 0
	s_ashr_i32 s7, s6, 31
	s_lshl_b64 s[18:19], s[6:7], 3
	s_add_u32 s22, s2, s18
	s_addc_u32 s23, s3, s19
	s_add_u32 s2, s22, 8
	s_addc_u32 s3, s23, 0
	;; [unrolled: 2-line block ×3, first 2 shown]
	s_cmp_eq_u64 s[16:17], 0
	s_cselect_b32 s17, s3, s9
	s_cselect_b32 s16, s2, s7
	s_load_dwordx2 s[20:21], s[16:17], 0x0
	s_load_dwordx2 s[18:19], s[22:23], 0x0
	;; [unrolled: 1-line block ×3, first 2 shown]
	s_waitcnt lgkmcnt(0)
	v_mov_b32_e32 v1, s20
	v_mov_b32_e32 v2, s21
	v_cmp_ge_i64_e32 vcc, s[18:19], v[1:2]
	s_cbranch_vccnz .LBB319_10
; %bb.8:
	s_sub_u32 s20, s20, s12
	s_load_dwordx4 s[24:27], s[4:5], 0x30
	s_load_dwordx2 s[16:17], s[4:5], 0x40
	s_subb_u32 s21, s21, 0
	v_lshrrev_b32_e32 v1, 5, v0
	v_cndmask_b32_e64 v7, v6, v1, s[0:1]
	s_sub_u32 s0, s18, s12
	s_subb_u32 s1, s19, 0
	s_lshl_b64 s[4:5], s[0:1], 11
	s_waitcnt lgkmcnt(0)
	s_add_u32 s4, s26, s4
	s_mov_b32 s13, 0
	s_addc_u32 s5, s27, s5
	v_lshlrev_b32_e32 v1, 1, v0
	v_mov_b32_e32 v2, s5
	v_add_co_u32_e32 v1, vcc, s4, v1
	s_lshl_b64 s[4:5], s[18:19], 2
	s_lshl_b64 s[18:19], s[12:13], 2
	s_sub_u32 s4, s4, s18
	s_subb_u32 s5, s5, s19
	s_add_u32 s4, s24, s4
	v_mov_b32_e32 v3, s20
	v_mov_b32_e32 v5, 0
	v_addc_co_u32_e32 v2, vcc, 0, v2, vcc
	s_addc_u32 s5, s25, s5
	v_mov_b32_e32 v8, s17
	v_mov_b32_e32 v4, s21
.LBB319_9:                              ; =>This Inner Loop Header: Depth=1
	s_load_dword s7, s[4:5], 0x0
	global_load_ushort v11, v[1:2], off
	s_waitcnt lgkmcnt(0)
	s_sub_i32 s7, s7, s12
	v_lshl_or_b32 v9, s7, 5, v7
	v_ashrrev_i32_e32 v10, 31, v9
	v_lshlrev_b64 v[9:10], 1, v[9:10]
	s_add_u32 s0, s0, 1
	v_add_co_u32_e32 v9, vcc, s16, v9
	v_addc_co_u32_e32 v10, vcc, v8, v10, vcc
	global_load_ushort v9, v[9:10], off
	v_add_co_u32_e32 v1, vcc, 0x800, v1
	v_addc_co_u32_e32 v2, vcc, 0, v2, vcc
	s_addc_u32 s1, s1, 0
	v_cmp_lt_i64_e32 vcc, s[0:1], v[3:4]
	s_add_u32 s4, s4, 4
	s_addc_u32 s5, s5, 0
	s_waitcnt vmcnt(0)
	v_fma_mix_f32 v5, v11, v9, v5 op_sel_hi:[1,1,0]
	s_cbranch_vccnz .LBB319_9
.LBB319_10:
	v_lshlrev_b32_e32 v1, 2, v0
	s_and_b64 vcc, exec, s[14:15]
	ds_write_b32 v1, v5
	s_waitcnt lgkmcnt(0)
	s_barrier
	s_cbranch_vccz .LBB319_22
; %bb.11:
	v_cmp_gt_u32_e32 vcc, 16, v6
	s_and_saveexec_b64 s[0:1], vcc
	s_cbranch_execz .LBB319_13
; %bb.12:
	ds_read2_b32 v[2:3], v1 offset1:16
	s_waitcnt lgkmcnt(0)
	v_add_f32_e32 v2, v3, v2
	ds_write_b32 v1, v2
.LBB319_13:
	s_or_b64 exec, exec, s[0:1]
	v_cmp_gt_u32_e32 vcc, 8, v6
	s_waitcnt lgkmcnt(0)
	s_barrier
	s_and_saveexec_b64 s[0:1], vcc
	s_cbranch_execz .LBB319_15
; %bb.14:
	ds_read2_b32 v[2:3], v1 offset1:8
	s_waitcnt lgkmcnt(0)
	v_add_f32_e32 v2, v3, v2
	ds_write_b32 v1, v2
.LBB319_15:
	s_or_b64 exec, exec, s[0:1]
	v_cmp_gt_u32_e32 vcc, 4, v6
	s_waitcnt lgkmcnt(0)
	s_barrier
	;; [unrolled: 12-line block ×3, first 2 shown]
	s_and_saveexec_b64 s[0:1], vcc
	s_cbranch_execz .LBB319_19
; %bb.18:
	ds_read2_b32 v[2:3], v1 offset1:2
	s_waitcnt lgkmcnt(0)
	v_add_f32_e32 v2, v3, v2
	ds_write_b32 v1, v2
.LBB319_19:
	s_or_b64 exec, exec, s[0:1]
	v_cmp_gt_u32_e32 vcc, 32, v0
	v_mov_b32_e32 v2, v5
	s_waitcnt lgkmcnt(0)
	s_barrier
	s_and_saveexec_b64 s[0:1], vcc
	s_cbranch_execz .LBB319_21
; %bb.20:
	s_movk_i32 s4, 0x7c
	v_mad_u32_u24 v2, v0, s4, v1
	ds_read_b64 v[2:3], v2
	s_waitcnt lgkmcnt(0)
	v_add_f32_e32 v2, v2, v3
.LBB319_21:
	s_or_b64 exec, exec, s[0:1]
	s_branch .LBB319_34
.LBB319_22:
                                        ; implicit-def: $vgpr2
	s_cbranch_execz .LBB319_34
; %bb.23:
	s_movk_i32 s0, 0x200
	v_cmp_gt_u32_e32 vcc, s0, v0
	s_and_saveexec_b64 s[0:1], vcc
	s_cbranch_execz .LBB319_25
; %bb.24:
	ds_read2st64_b32 v[2:3], v1 offset1:8
	s_waitcnt lgkmcnt(0)
	v_add_f32_e32 v2, v3, v2
	ds_write_b32 v1, v2
.LBB319_25:
	s_or_b64 exec, exec, s[0:1]
	s_movk_i32 s0, 0x100
	v_cmp_gt_u32_e32 vcc, s0, v0
	s_waitcnt lgkmcnt(0)
	s_barrier
	s_and_saveexec_b64 s[0:1], vcc
	s_cbranch_execz .LBB319_27
; %bb.26:
	ds_read2st64_b32 v[2:3], v1 offset1:4
	s_waitcnt lgkmcnt(0)
	v_add_f32_e32 v2, v3, v2
	ds_write_b32 v1, v2
.LBB319_27:
	s_or_b64 exec, exec, s[0:1]
	s_movk_i32 s0, 0x80
	v_cmp_gt_u32_e32 vcc, s0, v0
	s_waitcnt lgkmcnt(0)
	s_barrier
	s_and_saveexec_b64 s[0:1], vcc
	s_cbranch_execz .LBB319_29
; %bb.28:
	ds_read2st64_b32 v[2:3], v1 offset1:2
	s_waitcnt lgkmcnt(0)
	v_add_f32_e32 v2, v3, v2
	ds_write_b32 v1, v2
.LBB319_29:
	s_or_b64 exec, exec, s[0:1]
	v_cmp_gt_u32_e32 vcc, 64, v0
	s_waitcnt lgkmcnt(0)
	s_barrier
	s_and_saveexec_b64 s[0:1], vcc
	s_cbranch_execz .LBB319_31
; %bb.30:
	ds_read2st64_b32 v[2:3], v1 offset1:1
	s_waitcnt lgkmcnt(0)
	v_add_f32_e32 v2, v3, v2
	ds_write_b32 v1, v2
.LBB319_31:
	s_or_b64 exec, exec, s[0:1]
	v_cmp_gt_u32_e32 vcc, 32, v0
	s_waitcnt lgkmcnt(0)
	s_and_saveexec_b64 s[0:1], vcc
	s_cbranch_execz .LBB319_33
; %bb.32:
	ds_read2_b32 v[1:2], v1 offset1:32
	s_waitcnt lgkmcnt(0)
	v_add_f32_e32 v5, v1, v2
.LBB319_33:
	s_or_b64 exec, exec, s[0:1]
	v_mov_b32_e32 v2, v5
.LBB319_34:
	v_cmp_gt_u32_e32 vcc, 32, v0
	s_and_saveexec_b64 s[0:1], vcc
	s_cbranch_execz .LBB319_38
; %bb.35:
	v_cmp_eq_f32_e64 s[0:1], s8, 0
	s_and_b64 vcc, exec, s[0:1]
	v_mul_f32_e32 v2, s10, v2
	v_lshl_or_b32 v0, s6, 5, v0
	s_cbranch_vccz .LBB319_39
; %bb.36:
	v_mov_b32_e32 v1, 0
	v_lshlrev_b64 v[3:4], 2, v[0:1]
	v_mov_b32_e32 v1, s3
	v_add_co_u32_e32 v3, vcc, s2, v3
	v_addc_co_u32_e32 v4, vcc, v1, v4, vcc
	global_store_dword v[3:4], v2, off
	s_cbranch_execnz .LBB319_38
.LBB319_37:
	v_mov_b32_e32 v1, 0
	v_lshlrev_b64 v[0:1], 2, v[0:1]
	v_mov_b32_e32 v3, s3
	v_add_co_u32_e32 v0, vcc, s2, v0
	v_addc_co_u32_e32 v1, vcc, v3, v1, vcc
	global_load_dword v3, v[0:1], off
	s_waitcnt vmcnt(0)
	v_fmac_f32_e32 v2, s8, v3
	global_store_dword v[0:1], v2, off
.LBB319_38:
	s_endpgm
.LBB319_39:
	s_branch .LBB319_37
	.section	.rodata,"a",@progbits
	.p2align	6, 0x0
	.amdhsa_kernel _ZN9rocsparseL20bsrxmvn_17_32_kernelILj32EfliDF16_DF16_fEEvT2_20rocsparse_direction_NS_24const_host_device_scalarIT0_EES1_PKS1_PKT1_SA_S7_PKT3_PKT4_S5_PT5_21rocsparse_index_base_b
		.amdhsa_group_segment_fixed_size 4096
		.amdhsa_private_segment_fixed_size 0
		.amdhsa_kernarg_size 96
		.amdhsa_user_sgpr_count 6
		.amdhsa_user_sgpr_private_segment_buffer 1
		.amdhsa_user_sgpr_dispatch_ptr 0
		.amdhsa_user_sgpr_queue_ptr 0
		.amdhsa_user_sgpr_kernarg_segment_ptr 1
		.amdhsa_user_sgpr_dispatch_id 0
		.amdhsa_user_sgpr_flat_scratch_init 0
		.amdhsa_user_sgpr_private_segment_size 0
		.amdhsa_uses_dynamic_stack 0
		.amdhsa_system_sgpr_private_segment_wavefront_offset 0
		.amdhsa_system_sgpr_workgroup_id_x 1
		.amdhsa_system_sgpr_workgroup_id_y 0
		.amdhsa_system_sgpr_workgroup_id_z 0
		.amdhsa_system_sgpr_workgroup_info 0
		.amdhsa_system_vgpr_workitem_id 0
		.amdhsa_next_free_vgpr 29
		.amdhsa_next_free_sgpr 61
		.amdhsa_reserve_vcc 1
		.amdhsa_reserve_flat_scratch 0
		.amdhsa_float_round_mode_32 0
		.amdhsa_float_round_mode_16_64 0
		.amdhsa_float_denorm_mode_32 3
		.amdhsa_float_denorm_mode_16_64 3
		.amdhsa_dx10_clamp 1
		.amdhsa_ieee_mode 1
		.amdhsa_fp16_overflow 0
		.amdhsa_exception_fp_ieee_invalid_op 0
		.amdhsa_exception_fp_denorm_src 0
		.amdhsa_exception_fp_ieee_div_zero 0
		.amdhsa_exception_fp_ieee_overflow 0
		.amdhsa_exception_fp_ieee_underflow 0
		.amdhsa_exception_fp_ieee_inexact 0
		.amdhsa_exception_int_div_zero 0
	.end_amdhsa_kernel
	.section	.text._ZN9rocsparseL20bsrxmvn_17_32_kernelILj32EfliDF16_DF16_fEEvT2_20rocsparse_direction_NS_24const_host_device_scalarIT0_EES1_PKS1_PKT1_SA_S7_PKT3_PKT4_S5_PT5_21rocsparse_index_base_b,"axG",@progbits,_ZN9rocsparseL20bsrxmvn_17_32_kernelILj32EfliDF16_DF16_fEEvT2_20rocsparse_direction_NS_24const_host_device_scalarIT0_EES1_PKS1_PKT1_SA_S7_PKT3_PKT4_S5_PT5_21rocsparse_index_base_b,comdat
.Lfunc_end319:
	.size	_ZN9rocsparseL20bsrxmvn_17_32_kernelILj32EfliDF16_DF16_fEEvT2_20rocsparse_direction_NS_24const_host_device_scalarIT0_EES1_PKS1_PKT1_SA_S7_PKT3_PKT4_S5_PT5_21rocsparse_index_base_b, .Lfunc_end319-_ZN9rocsparseL20bsrxmvn_17_32_kernelILj32EfliDF16_DF16_fEEvT2_20rocsparse_direction_NS_24const_host_device_scalarIT0_EES1_PKS1_PKT1_SA_S7_PKT3_PKT4_S5_PT5_21rocsparse_index_base_b
                                        ; -- End function
	.set _ZN9rocsparseL20bsrxmvn_17_32_kernelILj32EfliDF16_DF16_fEEvT2_20rocsparse_direction_NS_24const_host_device_scalarIT0_EES1_PKS1_PKT1_SA_S7_PKT3_PKT4_S5_PT5_21rocsparse_index_base_b.num_vgpr, 12
	.set _ZN9rocsparseL20bsrxmvn_17_32_kernelILj32EfliDF16_DF16_fEEvT2_20rocsparse_direction_NS_24const_host_device_scalarIT0_EES1_PKS1_PKT1_SA_S7_PKT3_PKT4_S5_PT5_21rocsparse_index_base_b.num_agpr, 0
	.set _ZN9rocsparseL20bsrxmvn_17_32_kernelILj32EfliDF16_DF16_fEEvT2_20rocsparse_direction_NS_24const_host_device_scalarIT0_EES1_PKS1_PKT1_SA_S7_PKT3_PKT4_S5_PT5_21rocsparse_index_base_b.numbered_sgpr, 28
	.set _ZN9rocsparseL20bsrxmvn_17_32_kernelILj32EfliDF16_DF16_fEEvT2_20rocsparse_direction_NS_24const_host_device_scalarIT0_EES1_PKS1_PKT1_SA_S7_PKT3_PKT4_S5_PT5_21rocsparse_index_base_b.num_named_barrier, 0
	.set _ZN9rocsparseL20bsrxmvn_17_32_kernelILj32EfliDF16_DF16_fEEvT2_20rocsparse_direction_NS_24const_host_device_scalarIT0_EES1_PKS1_PKT1_SA_S7_PKT3_PKT4_S5_PT5_21rocsparse_index_base_b.private_seg_size, 0
	.set _ZN9rocsparseL20bsrxmvn_17_32_kernelILj32EfliDF16_DF16_fEEvT2_20rocsparse_direction_NS_24const_host_device_scalarIT0_EES1_PKS1_PKT1_SA_S7_PKT3_PKT4_S5_PT5_21rocsparse_index_base_b.uses_vcc, 1
	.set _ZN9rocsparseL20bsrxmvn_17_32_kernelILj32EfliDF16_DF16_fEEvT2_20rocsparse_direction_NS_24const_host_device_scalarIT0_EES1_PKS1_PKT1_SA_S7_PKT3_PKT4_S5_PT5_21rocsparse_index_base_b.uses_flat_scratch, 0
	.set _ZN9rocsparseL20bsrxmvn_17_32_kernelILj32EfliDF16_DF16_fEEvT2_20rocsparse_direction_NS_24const_host_device_scalarIT0_EES1_PKS1_PKT1_SA_S7_PKT3_PKT4_S5_PT5_21rocsparse_index_base_b.has_dyn_sized_stack, 0
	.set _ZN9rocsparseL20bsrxmvn_17_32_kernelILj32EfliDF16_DF16_fEEvT2_20rocsparse_direction_NS_24const_host_device_scalarIT0_EES1_PKS1_PKT1_SA_S7_PKT3_PKT4_S5_PT5_21rocsparse_index_base_b.has_recursion, 0
	.set _ZN9rocsparseL20bsrxmvn_17_32_kernelILj32EfliDF16_DF16_fEEvT2_20rocsparse_direction_NS_24const_host_device_scalarIT0_EES1_PKS1_PKT1_SA_S7_PKT3_PKT4_S5_PT5_21rocsparse_index_base_b.has_indirect_call, 0
	.section	.AMDGPU.csdata,"",@progbits
; Kernel info:
; codeLenInByte = 1160
; TotalNumSgprs: 32
; NumVgprs: 12
; ScratchSize: 0
; MemoryBound: 0
; FloatMode: 240
; IeeeMode: 1
; LDSByteSize: 4096 bytes/workgroup (compile time only)
; SGPRBlocks: 8
; VGPRBlocks: 7
; NumSGPRsForWavesPerEU: 65
; NumVGPRsForWavesPerEU: 29
; Occupancy: 8
; WaveLimiterHint : 1
; COMPUTE_PGM_RSRC2:SCRATCH_EN: 0
; COMPUTE_PGM_RSRC2:USER_SGPR: 6
; COMPUTE_PGM_RSRC2:TRAP_HANDLER: 0
; COMPUTE_PGM_RSRC2:TGID_X_EN: 1
; COMPUTE_PGM_RSRC2:TGID_Y_EN: 0
; COMPUTE_PGM_RSRC2:TGID_Z_EN: 0
; COMPUTE_PGM_RSRC2:TIDIG_COMP_CNT: 0
	.section	.text._ZN9rocsparseL20bsrxmvn_17_32_kernelILj17EfllDF16_DF16_fEEvT2_20rocsparse_direction_NS_24const_host_device_scalarIT0_EES1_PKS1_PKT1_SA_S7_PKT3_PKT4_S5_PT5_21rocsparse_index_base_b,"axG",@progbits,_ZN9rocsparseL20bsrxmvn_17_32_kernelILj17EfllDF16_DF16_fEEvT2_20rocsparse_direction_NS_24const_host_device_scalarIT0_EES1_PKS1_PKT1_SA_S7_PKT3_PKT4_S5_PT5_21rocsparse_index_base_b,comdat
	.globl	_ZN9rocsparseL20bsrxmvn_17_32_kernelILj17EfllDF16_DF16_fEEvT2_20rocsparse_direction_NS_24const_host_device_scalarIT0_EES1_PKS1_PKT1_SA_S7_PKT3_PKT4_S5_PT5_21rocsparse_index_base_b ; -- Begin function _ZN9rocsparseL20bsrxmvn_17_32_kernelILj17EfllDF16_DF16_fEEvT2_20rocsparse_direction_NS_24const_host_device_scalarIT0_EES1_PKS1_PKT1_SA_S7_PKT3_PKT4_S5_PT5_21rocsparse_index_base_b
	.p2align	8
	.type	_ZN9rocsparseL20bsrxmvn_17_32_kernelILj17EfllDF16_DF16_fEEvT2_20rocsparse_direction_NS_24const_host_device_scalarIT0_EES1_PKS1_PKT1_SA_S7_PKT3_PKT4_S5_PT5_21rocsparse_index_base_b,@function
_ZN9rocsparseL20bsrxmvn_17_32_kernelILj17EfllDF16_DF16_fEEvT2_20rocsparse_direction_NS_24const_host_device_scalarIT0_EES1_PKS1_PKT1_SA_S7_PKT3_PKT4_S5_PT5_21rocsparse_index_base_b: ; @_ZN9rocsparseL20bsrxmvn_17_32_kernelILj17EfllDF16_DF16_fEEvT2_20rocsparse_direction_NS_24const_host_device_scalarIT0_EES1_PKS1_PKT1_SA_S7_PKT3_PKT4_S5_PT5_21rocsparse_index_base_b
; %bb.0:
	s_load_dwordx2 s[18:19], s[4:5], 0x60
	s_load_dwordx2 s[14:15], s[4:5], 0x10
	;; [unrolled: 1-line block ×3, first 2 shown]
	s_waitcnt lgkmcnt(0)
	s_bitcmp1_b32 s19, 0
	s_cselect_b64 s[2:3], -1, 0
	s_xor_b64 s[0:1], s[2:3], -1
	s_and_b64 vcc, exec, s[2:3]
	s_cbranch_vccnz .LBB320_2
; %bb.1:
	s_load_dword s14, s[14:15], 0x0
.LBB320_2:
	s_andn2_b64 vcc, exec, s[0:1]
	s_cbranch_vccnz .LBB320_4
; %bb.3:
	s_load_dword s12, s[12:13], 0x0
.LBB320_4:
	s_waitcnt lgkmcnt(0)
	v_cmp_neq_f32_e64 s[0:1], s14, 0
	v_cmp_neq_f32_e64 s[2:3], s12, 1.0
	s_or_b64 s[0:1], s[0:1], s[2:3]
	s_andn2_b64 vcc, exec, s[0:1]
	s_mov_b32 s7, 0
	s_cbranch_vccnz .LBB320_40
; %bb.5:
	s_load_dwordx4 s[0:3], s[4:5], 0x20
	s_load_dwordx2 s[8:9], s[4:5], 0x30
	s_waitcnt lgkmcnt(0)
	s_cmp_eq_u64 s[0:1], 0
	s_cbranch_scc1 .LBB320_7
; %bb.6:
	s_lshl_b64 s[6:7], s[6:7], 3
	s_add_u32 s0, s0, s6
	s_addc_u32 s1, s1, s7
	s_load_dwordx2 s[0:1], s[0:1], 0x0
	s_waitcnt lgkmcnt(0)
	s_sub_u32 s6, s0, s18
	s_subb_u32 s7, s1, 0
.LBB320_7:
	s_load_dword s10, s[4:5], 0x8
	s_load_dwordx2 s[16:17], s[4:5], 0x58
	v_mul_u32_u24_e32 v1, 0xf10, v0
	v_mov_b32_e32 v2, 17
	v_mul_lo_u16_sdwa v2, v1, v2 dst_sel:DWORD dst_unused:UNUSED_PAD src0_sel:WORD_1 src1_sel:DWORD
	s_waitcnt lgkmcnt(0)
	s_cmp_eq_u32 s10, 1
	s_cselect_b64 s[0:1], -1, 0
	s_cmp_lg_u32 s10, 1
	s_cselect_b64 s[20:21], -1, 0
	s_lshl_b64 s[10:11], s[6:7], 3
	s_add_u32 s24, s2, s10
	s_addc_u32 s25, s3, s11
	s_add_u32 s2, s24, 8
	s_addc_u32 s3, s25, 0
	;; [unrolled: 2-line block ×3, first 2 shown]
	s_cmp_eq_u64 s[8:9], 0
	s_cselect_b32 s9, s3, s11
	s_cselect_b32 s8, s2, s10
	s_load_dwordx2 s[2:3], s[8:9], 0x0
	s_load_dwordx2 s[22:23], s[24:25], 0x0
	v_sub_u16_e32 v8, v0, v2
	v_mov_b32_e32 v7, 0
	s_waitcnt lgkmcnt(0)
	v_mov_b32_e32 v2, s2
	v_mov_b32_e32 v3, s3
	v_cmp_ge_i64_e32 vcc, s[22:23], v[2:3]
	s_cbranch_vccnz .LBB320_12
; %bb.8:
	v_mov_b32_e32 v2, 31
	v_mul_lo_u16_sdwa v2, v1, v2 dst_sel:DWORD dst_unused:UNUSED_PAD src0_sel:WORD_1 src1_sel:DWORD
	v_lshrrev_b16_e32 v2, 9, v2
	s_load_dwordx4 s[8:11], s[4:5], 0x38
	s_load_dwordx2 s[24:25], s[4:5], 0x48
	v_mul_lo_u16_e32 v2, 17, v2
	s_sub_u32 s2, s2, s18
	v_sub_u16_sdwa v1, v1, v2 dst_sel:DWORD dst_unused:UNUSED_PAD src0_sel:WORD_1 src1_sel:DWORD
	s_subb_u32 s3, s3, 0
	v_and_b32_e32 v1, 0xff, v1
	s_sub_u32 s4, s22, s18
	v_cndmask_b32_e64 v1, v8, v1, s[0:1]
	s_subb_u32 s5, s23, 0
	v_lshlrev_b32_e32 v1, 1, v1
	s_mul_i32 s0, s5, 0x242
	s_mul_hi_u32 s1, s4, 0x242
	s_waitcnt lgkmcnt(0)
	v_mov_b32_e32 v2, s25
	v_add_co_u32_e32 v1, vcc, s24, v1
	s_add_i32 s1, s1, s0
	s_mul_i32 s0, s4, 0x242
	v_addc_co_u32_e32 v2, vcc, 0, v2, vcc
	s_add_u32 s0, s10, s0
	v_lshlrev_b32_e32 v3, 1, v0
	s_addc_u32 s1, s11, s1
	v_add_co_u32_e32 v3, vcc, s0, v3
	s_movk_i32 s0, 0xe3
	v_mov_b32_e32 v4, s1
	v_mul_u32_u24_sdwa v5, v0, s0 dst_sel:DWORD dst_unused:UNUSED_PAD src0_sel:WORD_0 src1_sel:DWORD
	v_addc_co_u32_e32 v4, vcc, 0, v4, vcc
	v_lshrrev_b32_e32 v9, 16, v5
	v_mov_b32_e32 v5, s23
	v_add_co_u32_e32 v6, vcc, s22, v9
	v_addc_co_u32_e32 v10, vcc, 0, v5, vcc
	v_subrev_co_u32_e32 v5, vcc, s18, v6
	v_subbrev_co_u32_e32 v6, vcc, 0, v10, vcc
	v_lshlrev_b64 v[5:6], 3, v[5:6]
	v_mov_b32_e32 v10, s9
	v_add_co_u32_e32 v5, vcc, s8, v5
	v_mov_b32_e32 v7, 0
	v_addc_co_u32_e32 v6, vcc, v10, v6, vcc
	s_branch .LBB320_10
.LBB320_9:                              ;   in Loop: Header=BB320_10 Depth=1
	s_or_b64 exec, exec, s[0:1]
	s_add_u32 s4, s4, 1
	v_mov_b32_e32 v11, s3
	s_addc_u32 s5, s5, 0
	v_mov_b32_e32 v10, s2
	v_cmp_lt_i64_e32 vcc, s[4:5], v[10:11]
	v_add_co_u32_e64 v5, s[0:1], 8, v5
	v_addc_co_u32_e64 v6, s[0:1], 0, v6, s[0:1]
	s_cbranch_vccz .LBB320_12
.LBB320_10:                             ; =>This Inner Loop Header: Depth=1
	v_mov_b32_e32 v11, s5
	v_add_co_u32_e32 v10, vcc, s4, v9
	v_addc_co_u32_e32 v11, vcc, 0, v11, vcc
	v_cmp_gt_i64_e32 vcc, s[2:3], v[10:11]
	s_and_saveexec_b64 s[0:1], vcc
	s_cbranch_execz .LBB320_9
; %bb.11:                               ;   in Loop: Header=BB320_10 Depth=1
	global_load_dwordx2 v[10:11], v[5:6], off
	s_waitcnt vmcnt(0)
	v_subrev_co_u32_e32 v10, vcc, s18, v10
	v_subbrev_co_u32_e32 v12, vcc, 0, v11, vcc
	v_mad_u64_u32 v[10:11], s[8:9], v10, 34, v[1:2]
	v_mad_u64_u32 v[11:12], s[8:9], v12, 34, v[11:12]
	global_load_ushort v12, v[3:4], off
	s_nop 0
	global_load_ushort v10, v[10:11], off
	v_add_co_u32_e32 v3, vcc, 0x242, v3
	v_addc_co_u32_e32 v4, vcc, 0, v4, vcc
	s_waitcnt vmcnt(0)
	v_fma_mix_f32 v7, v12, v10, v7 op_sel_hi:[1,1,0]
	s_branch .LBB320_9
.LBB320_12:
	v_lshlrev_b32_e32 v1, 2, v0
	s_and_b64 vcc, exec, s[20:21]
	ds_write_b32 v1, v7
	s_waitcnt lgkmcnt(0)
	s_barrier
	s_cbranch_vccz .LBB320_24
; %bb.13:
	v_cmp_eq_u16_e32 vcc, 0, v8
	s_and_saveexec_b64 s[0:1], vcc
	s_cbranch_execz .LBB320_15
; %bb.14:
	ds_read2_b32 v[2:3], v1 offset1:16
	s_waitcnt lgkmcnt(0)
	v_add_f32_e32 v2, v3, v2
	ds_write_b32 v1, v2
.LBB320_15:
	s_or_b64 exec, exec, s[0:1]
	v_cmp_gt_u16_e32 vcc, 8, v8
	s_waitcnt lgkmcnt(0)
	s_barrier
	s_and_saveexec_b64 s[0:1], vcc
	s_cbranch_execz .LBB320_17
; %bb.16:
	ds_read2_b32 v[2:3], v1 offset1:8
	s_waitcnt lgkmcnt(0)
	v_add_f32_e32 v2, v3, v2
	ds_write_b32 v1, v2
.LBB320_17:
	s_or_b64 exec, exec, s[0:1]
	v_cmp_gt_u16_e32 vcc, 4, v8
	s_waitcnt lgkmcnt(0)
	s_barrier
	;; [unrolled: 12-line block ×3, first 2 shown]
	s_and_saveexec_b64 s[0:1], vcc
	s_cbranch_execz .LBB320_21
; %bb.20:
	ds_read2_b32 v[2:3], v1 offset1:2
	s_waitcnt lgkmcnt(0)
	v_add_f32_e32 v2, v3, v2
	ds_write_b32 v1, v2
.LBB320_21:
	s_or_b64 exec, exec, s[0:1]
	v_cmp_gt_u32_e32 vcc, 17, v0
	v_mov_b32_e32 v2, v7
	s_waitcnt lgkmcnt(0)
	s_barrier
	s_and_saveexec_b64 s[0:1], vcc
	s_cbranch_execz .LBB320_23
; %bb.22:
	v_lshl_add_u32 v2, v0, 6, v1
	ds_read2_b32 v[2:3], v2 offset1:1
	s_waitcnt lgkmcnt(0)
	v_add_f32_e32 v2, v2, v3
.LBB320_23:
	s_or_b64 exec, exec, s[0:1]
	v_cmp_gt_u32_e64 s[0:1], 17, v0
	s_branch .LBB320_36
.LBB320_24:
                                        ; implicit-def: $vgpr2
	v_cmp_gt_u32_e64 s[0:1], 17, v0
	s_cbranch_execz .LBB320_36
; %bb.25:
	s_and_saveexec_b64 s[2:3], s[0:1]
	s_cbranch_execz .LBB320_27
; %bb.26:
	ds_read_b32 v2, v1 offset:1088
	ds_read_b32 v3, v1
	s_waitcnt lgkmcnt(0)
	v_add_f32_e32 v2, v2, v3
	ds_write_b32 v1, v2
.LBB320_27:
	s_or_b64 exec, exec, s[2:3]
	s_movk_i32 s2, 0x88
	v_cmp_gt_u32_e32 vcc, s2, v0
	s_waitcnt lgkmcnt(0)
	s_barrier
	s_and_saveexec_b64 s[2:3], vcc
	s_cbranch_execz .LBB320_29
; %bb.28:
	ds_read2_b32 v[2:3], v1 offset1:136
	s_waitcnt lgkmcnt(0)
	v_add_f32_e32 v2, v3, v2
	ds_write_b32 v1, v2
.LBB320_29:
	s_or_b64 exec, exec, s[2:3]
	s_movk_i32 s2, 0x44
	v_cmp_gt_u32_e32 vcc, s2, v0
	s_waitcnt lgkmcnt(0)
	s_barrier
	s_and_saveexec_b64 s[2:3], vcc
	s_cbranch_execz .LBB320_31
; %bb.30:
	ds_read2_b32 v[2:3], v1 offset1:68
	s_waitcnt lgkmcnt(0)
	v_add_f32_e32 v2, v3, v2
	ds_write_b32 v1, v2
.LBB320_31:
	s_or_b64 exec, exec, s[2:3]
	v_cmp_gt_u32_e32 vcc, 34, v0
	s_waitcnt lgkmcnt(0)
	s_barrier
	s_and_saveexec_b64 s[2:3], vcc
	s_cbranch_execz .LBB320_33
; %bb.32:
	ds_read2_b32 v[2:3], v1 offset1:34
	s_waitcnt lgkmcnt(0)
	v_add_f32_e32 v2, v3, v2
	ds_write_b32 v1, v2
.LBB320_33:
	s_or_b64 exec, exec, s[2:3]
	s_waitcnt lgkmcnt(0)
	s_and_saveexec_b64 s[2:3], s[0:1]
	s_cbranch_execz .LBB320_35
; %bb.34:
	ds_read2_b32 v[2:3], v1 offset1:17
	s_waitcnt lgkmcnt(0)
	v_add_f32_e32 v7, v2, v3
.LBB320_35:
	s_or_b64 exec, exec, s[2:3]
	v_mov_b32_e32 v2, v7
.LBB320_36:
	v_cmp_gt_u32_e32 vcc, 17, v0
	s_and_saveexec_b64 s[0:1], vcc
	s_cbranch_execz .LBB320_40
; %bb.37:
	v_cmp_eq_f32_e64 s[0:1], s12, 0
	s_and_b64 vcc, exec, s[0:1]
	v_mul_f32_e32 v0, s14, v2
	s_mul_i32 s2, s7, 0x44
	s_mul_hi_u32 s3, s6, 0x44
	s_mul_i32 s4, s6, 0x44
	s_cbranch_vccz .LBB320_41
; %bb.38:
	s_add_i32 s1, s3, s2
	s_add_u32 s0, s16, s4
	s_addc_u32 s1, s17, s1
	global_store_dword v1, v0, s[0:1]
	s_cbranch_execnz .LBB320_40
.LBB320_39:
	s_add_i32 s3, s3, s2
	s_add_u32 s0, s16, s4
	s_addc_u32 s1, s17, s3
	global_load_dword v2, v1, s[0:1]
	s_waitcnt vmcnt(0)
	v_fmac_f32_e32 v0, s12, v2
	global_store_dword v1, v0, s[0:1]
.LBB320_40:
	s_endpgm
.LBB320_41:
	s_branch .LBB320_39
	.section	.rodata,"a",@progbits
	.p2align	6, 0x0
	.amdhsa_kernel _ZN9rocsparseL20bsrxmvn_17_32_kernelILj17EfllDF16_DF16_fEEvT2_20rocsparse_direction_NS_24const_host_device_scalarIT0_EES1_PKS1_PKT1_SA_S7_PKT3_PKT4_S5_PT5_21rocsparse_index_base_b
		.amdhsa_group_segment_fixed_size 1156
		.amdhsa_private_segment_fixed_size 0
		.amdhsa_kernarg_size 104
		.amdhsa_user_sgpr_count 6
		.amdhsa_user_sgpr_private_segment_buffer 1
		.amdhsa_user_sgpr_dispatch_ptr 0
		.amdhsa_user_sgpr_queue_ptr 0
		.amdhsa_user_sgpr_kernarg_segment_ptr 1
		.amdhsa_user_sgpr_dispatch_id 0
		.amdhsa_user_sgpr_flat_scratch_init 0
		.amdhsa_user_sgpr_private_segment_size 0
		.amdhsa_uses_dynamic_stack 0
		.amdhsa_system_sgpr_private_segment_wavefront_offset 0
		.amdhsa_system_sgpr_workgroup_id_x 1
		.amdhsa_system_sgpr_workgroup_id_y 0
		.amdhsa_system_sgpr_workgroup_id_z 0
		.amdhsa_system_sgpr_workgroup_info 0
		.amdhsa_system_vgpr_workitem_id 0
		.amdhsa_next_free_vgpr 13
		.amdhsa_next_free_sgpr 26
		.amdhsa_reserve_vcc 1
		.amdhsa_reserve_flat_scratch 0
		.amdhsa_float_round_mode_32 0
		.amdhsa_float_round_mode_16_64 0
		.amdhsa_float_denorm_mode_32 3
		.amdhsa_float_denorm_mode_16_64 3
		.amdhsa_dx10_clamp 1
		.amdhsa_ieee_mode 1
		.amdhsa_fp16_overflow 0
		.amdhsa_exception_fp_ieee_invalid_op 0
		.amdhsa_exception_fp_denorm_src 0
		.amdhsa_exception_fp_ieee_div_zero 0
		.amdhsa_exception_fp_ieee_overflow 0
		.amdhsa_exception_fp_ieee_underflow 0
		.amdhsa_exception_fp_ieee_inexact 0
		.amdhsa_exception_int_div_zero 0
	.end_amdhsa_kernel
	.section	.text._ZN9rocsparseL20bsrxmvn_17_32_kernelILj17EfllDF16_DF16_fEEvT2_20rocsparse_direction_NS_24const_host_device_scalarIT0_EES1_PKS1_PKT1_SA_S7_PKT3_PKT4_S5_PT5_21rocsparse_index_base_b,"axG",@progbits,_ZN9rocsparseL20bsrxmvn_17_32_kernelILj17EfllDF16_DF16_fEEvT2_20rocsparse_direction_NS_24const_host_device_scalarIT0_EES1_PKS1_PKT1_SA_S7_PKT3_PKT4_S5_PT5_21rocsparse_index_base_b,comdat
.Lfunc_end320:
	.size	_ZN9rocsparseL20bsrxmvn_17_32_kernelILj17EfllDF16_DF16_fEEvT2_20rocsparse_direction_NS_24const_host_device_scalarIT0_EES1_PKS1_PKT1_SA_S7_PKT3_PKT4_S5_PT5_21rocsparse_index_base_b, .Lfunc_end320-_ZN9rocsparseL20bsrxmvn_17_32_kernelILj17EfllDF16_DF16_fEEvT2_20rocsparse_direction_NS_24const_host_device_scalarIT0_EES1_PKS1_PKT1_SA_S7_PKT3_PKT4_S5_PT5_21rocsparse_index_base_b
                                        ; -- End function
	.set _ZN9rocsparseL20bsrxmvn_17_32_kernelILj17EfllDF16_DF16_fEEvT2_20rocsparse_direction_NS_24const_host_device_scalarIT0_EES1_PKS1_PKT1_SA_S7_PKT3_PKT4_S5_PT5_21rocsparse_index_base_b.num_vgpr, 13
	.set _ZN9rocsparseL20bsrxmvn_17_32_kernelILj17EfllDF16_DF16_fEEvT2_20rocsparse_direction_NS_24const_host_device_scalarIT0_EES1_PKS1_PKT1_SA_S7_PKT3_PKT4_S5_PT5_21rocsparse_index_base_b.num_agpr, 0
	.set _ZN9rocsparseL20bsrxmvn_17_32_kernelILj17EfllDF16_DF16_fEEvT2_20rocsparse_direction_NS_24const_host_device_scalarIT0_EES1_PKS1_PKT1_SA_S7_PKT3_PKT4_S5_PT5_21rocsparse_index_base_b.numbered_sgpr, 26
	.set _ZN9rocsparseL20bsrxmvn_17_32_kernelILj17EfllDF16_DF16_fEEvT2_20rocsparse_direction_NS_24const_host_device_scalarIT0_EES1_PKS1_PKT1_SA_S7_PKT3_PKT4_S5_PT5_21rocsparse_index_base_b.num_named_barrier, 0
	.set _ZN9rocsparseL20bsrxmvn_17_32_kernelILj17EfllDF16_DF16_fEEvT2_20rocsparse_direction_NS_24const_host_device_scalarIT0_EES1_PKS1_PKT1_SA_S7_PKT3_PKT4_S5_PT5_21rocsparse_index_base_b.private_seg_size, 0
	.set _ZN9rocsparseL20bsrxmvn_17_32_kernelILj17EfllDF16_DF16_fEEvT2_20rocsparse_direction_NS_24const_host_device_scalarIT0_EES1_PKS1_PKT1_SA_S7_PKT3_PKT4_S5_PT5_21rocsparse_index_base_b.uses_vcc, 1
	.set _ZN9rocsparseL20bsrxmvn_17_32_kernelILj17EfllDF16_DF16_fEEvT2_20rocsparse_direction_NS_24const_host_device_scalarIT0_EES1_PKS1_PKT1_SA_S7_PKT3_PKT4_S5_PT5_21rocsparse_index_base_b.uses_flat_scratch, 0
	.set _ZN9rocsparseL20bsrxmvn_17_32_kernelILj17EfllDF16_DF16_fEEvT2_20rocsparse_direction_NS_24const_host_device_scalarIT0_EES1_PKS1_PKT1_SA_S7_PKT3_PKT4_S5_PT5_21rocsparse_index_base_b.has_dyn_sized_stack, 0
	.set _ZN9rocsparseL20bsrxmvn_17_32_kernelILj17EfllDF16_DF16_fEEvT2_20rocsparse_direction_NS_24const_host_device_scalarIT0_EES1_PKS1_PKT1_SA_S7_PKT3_PKT4_S5_PT5_21rocsparse_index_base_b.has_recursion, 0
	.set _ZN9rocsparseL20bsrxmvn_17_32_kernelILj17EfllDF16_DF16_fEEvT2_20rocsparse_direction_NS_24const_host_device_scalarIT0_EES1_PKS1_PKT1_SA_S7_PKT3_PKT4_S5_PT5_21rocsparse_index_base_b.has_indirect_call, 0
	.section	.AMDGPU.csdata,"",@progbits
; Kernel info:
; codeLenInByte = 1316
; TotalNumSgprs: 30
; NumVgprs: 13
; ScratchSize: 0
; MemoryBound: 0
; FloatMode: 240
; IeeeMode: 1
; LDSByteSize: 1156 bytes/workgroup (compile time only)
; SGPRBlocks: 3
; VGPRBlocks: 3
; NumSGPRsForWavesPerEU: 30
; NumVGPRsForWavesPerEU: 13
; Occupancy: 10
; WaveLimiterHint : 1
; COMPUTE_PGM_RSRC2:SCRATCH_EN: 0
; COMPUTE_PGM_RSRC2:USER_SGPR: 6
; COMPUTE_PGM_RSRC2:TRAP_HANDLER: 0
; COMPUTE_PGM_RSRC2:TGID_X_EN: 1
; COMPUTE_PGM_RSRC2:TGID_Y_EN: 0
; COMPUTE_PGM_RSRC2:TGID_Z_EN: 0
; COMPUTE_PGM_RSRC2:TIDIG_COMP_CNT: 0
	.section	.text._ZN9rocsparseL20bsrxmvn_17_32_kernelILj18EfllDF16_DF16_fEEvT2_20rocsparse_direction_NS_24const_host_device_scalarIT0_EES1_PKS1_PKT1_SA_S7_PKT3_PKT4_S5_PT5_21rocsparse_index_base_b,"axG",@progbits,_ZN9rocsparseL20bsrxmvn_17_32_kernelILj18EfllDF16_DF16_fEEvT2_20rocsparse_direction_NS_24const_host_device_scalarIT0_EES1_PKS1_PKT1_SA_S7_PKT3_PKT4_S5_PT5_21rocsparse_index_base_b,comdat
	.globl	_ZN9rocsparseL20bsrxmvn_17_32_kernelILj18EfllDF16_DF16_fEEvT2_20rocsparse_direction_NS_24const_host_device_scalarIT0_EES1_PKS1_PKT1_SA_S7_PKT3_PKT4_S5_PT5_21rocsparse_index_base_b ; -- Begin function _ZN9rocsparseL20bsrxmvn_17_32_kernelILj18EfllDF16_DF16_fEEvT2_20rocsparse_direction_NS_24const_host_device_scalarIT0_EES1_PKS1_PKT1_SA_S7_PKT3_PKT4_S5_PT5_21rocsparse_index_base_b
	.p2align	8
	.type	_ZN9rocsparseL20bsrxmvn_17_32_kernelILj18EfllDF16_DF16_fEEvT2_20rocsparse_direction_NS_24const_host_device_scalarIT0_EES1_PKS1_PKT1_SA_S7_PKT3_PKT4_S5_PT5_21rocsparse_index_base_b,@function
_ZN9rocsparseL20bsrxmvn_17_32_kernelILj18EfllDF16_DF16_fEEvT2_20rocsparse_direction_NS_24const_host_device_scalarIT0_EES1_PKS1_PKT1_SA_S7_PKT3_PKT4_S5_PT5_21rocsparse_index_base_b: ; @_ZN9rocsparseL20bsrxmvn_17_32_kernelILj18EfllDF16_DF16_fEEvT2_20rocsparse_direction_NS_24const_host_device_scalarIT0_EES1_PKS1_PKT1_SA_S7_PKT3_PKT4_S5_PT5_21rocsparse_index_base_b
; %bb.0:
	s_load_dwordx2 s[18:19], s[4:5], 0x60
	s_load_dwordx2 s[14:15], s[4:5], 0x10
	;; [unrolled: 1-line block ×3, first 2 shown]
	s_waitcnt lgkmcnt(0)
	s_bitcmp1_b32 s19, 0
	s_cselect_b64 s[2:3], -1, 0
	s_xor_b64 s[0:1], s[2:3], -1
	s_and_b64 vcc, exec, s[2:3]
	s_cbranch_vccnz .LBB321_2
; %bb.1:
	s_load_dword s14, s[14:15], 0x0
.LBB321_2:
	s_andn2_b64 vcc, exec, s[0:1]
	s_cbranch_vccnz .LBB321_4
; %bb.3:
	s_load_dword s12, s[12:13], 0x0
.LBB321_4:
	s_waitcnt lgkmcnt(0)
	v_cmp_neq_f32_e64 s[0:1], s14, 0
	v_cmp_neq_f32_e64 s[2:3], s12, 1.0
	s_or_b64 s[0:1], s[0:1], s[2:3]
	s_andn2_b64 vcc, exec, s[0:1]
	s_mov_b32 s7, 0
	s_cbranch_vccnz .LBB321_40
; %bb.5:
	s_load_dwordx4 s[0:3], s[4:5], 0x20
	s_load_dwordx2 s[8:9], s[4:5], 0x30
	s_waitcnt lgkmcnt(0)
	s_cmp_eq_u64 s[0:1], 0
	s_cbranch_scc1 .LBB321_7
; %bb.6:
	s_lshl_b64 s[6:7], s[6:7], 3
	s_add_u32 s0, s0, s6
	s_addc_u32 s1, s1, s7
	s_load_dwordx2 s[0:1], s[0:1], 0x0
	s_waitcnt lgkmcnt(0)
	s_sub_u32 s6, s0, s18
	s_subb_u32 s7, s1, 0
.LBB321_7:
	s_load_dword s10, s[4:5], 0x8
	s_load_dwordx2 s[16:17], s[4:5], 0x58
	v_mul_u32_u24_e32 v1, 0xe39, v0
	v_mov_b32_e32 v2, 18
	v_mul_lo_u16_sdwa v3, v1, v2 dst_sel:DWORD dst_unused:UNUSED_PAD src0_sel:WORD_1 src1_sel:DWORD
	s_waitcnt lgkmcnt(0)
	s_cmp_eq_u32 s10, 1
	s_cselect_b64 s[0:1], -1, 0
	s_cmp_lg_u32 s10, 1
	s_cselect_b64 s[20:21], -1, 0
	s_lshl_b64 s[10:11], s[6:7], 3
	s_add_u32 s24, s2, s10
	s_addc_u32 s25, s3, s11
	s_add_u32 s2, s24, 8
	s_addc_u32 s3, s25, 0
	;; [unrolled: 2-line block ×3, first 2 shown]
	s_cmp_eq_u64 s[8:9], 0
	s_cselect_b32 s9, s3, s11
	s_cselect_b32 s8, s2, s10
	s_load_dwordx2 s[2:3], s[8:9], 0x0
	s_load_dwordx2 s[22:23], s[24:25], 0x0
	v_sub_u16_e32 v8, v0, v3
	v_mov_b32_e32 v7, 0
	s_waitcnt lgkmcnt(0)
	v_mov_b32_e32 v4, s3
	v_mov_b32_e32 v3, s2
	v_cmp_ge_i64_e32 vcc, s[22:23], v[3:4]
	s_cbranch_vccnz .LBB321_12
; %bb.8:
	v_mov_b32_e32 v3, 15
	v_mul_lo_u16_sdwa v3, v1, v3 dst_sel:DWORD dst_unused:UNUSED_PAD src0_sel:WORD_1 src1_sel:DWORD
	s_load_dwordx4 s[8:11], s[4:5], 0x38
	s_load_dwordx2 s[24:25], s[4:5], 0x48
	v_mul_lo_u16_sdwa v2, v3, v2 dst_sel:DWORD dst_unused:UNUSED_PAD src0_sel:BYTE_1 src1_sel:DWORD
	s_sub_u32 s2, s2, s18
	v_sub_u16_sdwa v1, v1, v2 dst_sel:DWORD dst_unused:UNUSED_PAD src0_sel:WORD_1 src1_sel:DWORD
	s_subb_u32 s3, s3, 0
	v_and_b32_e32 v1, 0xff, v1
	s_sub_u32 s4, s22, s18
	v_cndmask_b32_e64 v1, v8, v1, s[0:1]
	s_subb_u32 s5, s23, 0
	v_lshlrev_b32_e32 v1, 1, v1
	s_mul_i32 s0, s5, 0x288
	s_mul_hi_u32 s1, s4, 0x288
	s_waitcnt lgkmcnt(0)
	v_mov_b32_e32 v2, s25
	v_add_co_u32_e32 v1, vcc, s24, v1
	s_add_i32 s1, s1, s0
	s_mul_i32 s0, s4, 0x288
	v_addc_co_u32_e32 v2, vcc, 0, v2, vcc
	s_add_u32 s0, s10, s0
	v_lshlrev_b32_e32 v3, 1, v0
	s_addc_u32 s1, s11, s1
	v_add_co_u32_e32 v3, vcc, s0, v3
	s_movk_i32 s0, 0x195
	v_mov_b32_e32 v4, s1
	v_mul_u32_u24_sdwa v5, v0, s0 dst_sel:DWORD dst_unused:UNUSED_PAD src0_sel:WORD_0 src1_sel:DWORD
	v_addc_co_u32_e32 v4, vcc, 0, v4, vcc
	v_lshrrev_b32_e32 v9, 17, v5
	v_mov_b32_e32 v5, s23
	v_add_co_u32_e32 v6, vcc, s22, v9
	v_addc_co_u32_e32 v10, vcc, 0, v5, vcc
	v_subrev_co_u32_e32 v5, vcc, s18, v6
	v_subbrev_co_u32_e32 v6, vcc, 0, v10, vcc
	v_lshlrev_b64 v[5:6], 3, v[5:6]
	v_mov_b32_e32 v10, s9
	v_add_co_u32_e32 v5, vcc, s8, v5
	v_mov_b32_e32 v7, 0
	v_addc_co_u32_e32 v6, vcc, v10, v6, vcc
	s_branch .LBB321_10
.LBB321_9:                              ;   in Loop: Header=BB321_10 Depth=1
	s_or_b64 exec, exec, s[0:1]
	s_add_u32 s4, s4, 1
	v_mov_b32_e32 v11, s3
	s_addc_u32 s5, s5, 0
	v_mov_b32_e32 v10, s2
	v_cmp_lt_i64_e32 vcc, s[4:5], v[10:11]
	v_add_co_u32_e64 v5, s[0:1], 8, v5
	v_addc_co_u32_e64 v6, s[0:1], 0, v6, s[0:1]
	s_cbranch_vccz .LBB321_12
.LBB321_10:                             ; =>This Inner Loop Header: Depth=1
	v_mov_b32_e32 v11, s5
	v_add_co_u32_e32 v10, vcc, s4, v9
	v_addc_co_u32_e32 v11, vcc, 0, v11, vcc
	v_cmp_gt_i64_e32 vcc, s[2:3], v[10:11]
	s_and_saveexec_b64 s[0:1], vcc
	s_cbranch_execz .LBB321_9
; %bb.11:                               ;   in Loop: Header=BB321_10 Depth=1
	global_load_dwordx2 v[10:11], v[5:6], off
	s_waitcnt vmcnt(0)
	v_subrev_co_u32_e32 v10, vcc, s18, v10
	v_subbrev_co_u32_e32 v12, vcc, 0, v11, vcc
	v_mad_u64_u32 v[10:11], s[8:9], v10, 36, v[1:2]
	v_mad_u64_u32 v[11:12], s[8:9], v12, 36, v[11:12]
	global_load_ushort v12, v[3:4], off
	s_nop 0
	global_load_ushort v10, v[10:11], off
	v_add_co_u32_e32 v3, vcc, 0x288, v3
	v_addc_co_u32_e32 v4, vcc, 0, v4, vcc
	s_waitcnt vmcnt(0)
	v_fma_mix_f32 v7, v12, v10, v7 op_sel_hi:[1,1,0]
	s_branch .LBB321_9
.LBB321_12:
	v_lshlrev_b32_e32 v1, 2, v0
	s_and_b64 vcc, exec, s[20:21]
	ds_write_b32 v1, v7
	s_waitcnt lgkmcnt(0)
	s_barrier
	s_cbranch_vccz .LBB321_24
; %bb.13:
	v_cmp_gt_u16_e32 vcc, 2, v8
	s_and_saveexec_b64 s[0:1], vcc
	s_cbranch_execz .LBB321_15
; %bb.14:
	ds_read2_b32 v[2:3], v1 offset1:16
	s_waitcnt lgkmcnt(0)
	v_add_f32_e32 v2, v3, v2
	ds_write_b32 v1, v2
.LBB321_15:
	s_or_b64 exec, exec, s[0:1]
	v_cmp_gt_u16_e64 s[0:1], 8, v8
	s_waitcnt lgkmcnt(0)
	s_barrier
	s_and_saveexec_b64 s[2:3], s[0:1]
	s_cbranch_execz .LBB321_17
; %bb.16:
	ds_read2_b32 v[2:3], v1 offset1:8
	s_waitcnt lgkmcnt(0)
	v_add_f32_e32 v2, v3, v2
	ds_write_b32 v1, v2
.LBB321_17:
	s_or_b64 exec, exec, s[2:3]
	v_cmp_gt_u16_e64 s[0:1], 4, v8
	s_waitcnt lgkmcnt(0)
	s_barrier
	s_and_saveexec_b64 s[2:3], s[0:1]
	s_cbranch_execz .LBB321_19
; %bb.18:
	ds_read2_b32 v[2:3], v1 offset1:4
	s_waitcnt lgkmcnt(0)
	v_add_f32_e32 v2, v3, v2
	ds_write_b32 v1, v2
.LBB321_19:
	s_or_b64 exec, exec, s[2:3]
	s_waitcnt lgkmcnt(0)
	s_barrier
	s_and_saveexec_b64 s[0:1], vcc
	s_cbranch_execz .LBB321_21
; %bb.20:
	ds_read2_b32 v[2:3], v1 offset1:2
	s_waitcnt lgkmcnt(0)
	v_add_f32_e32 v2, v3, v2
	ds_write_b32 v1, v2
.LBB321_21:
	s_or_b64 exec, exec, s[0:1]
	v_cmp_gt_u32_e32 vcc, 18, v0
	v_mov_b32_e32 v2, v7
	s_waitcnt lgkmcnt(0)
	s_barrier
	s_and_saveexec_b64 s[0:1], vcc
	s_cbranch_execz .LBB321_23
; %bb.22:
	s_movk_i32 s2, 0x44
	v_mad_u32_u24 v2, v0, s2, v1
	ds_read_b64 v[2:3], v2
	s_waitcnt lgkmcnt(0)
	v_add_f32_e32 v2, v2, v3
.LBB321_23:
	s_or_b64 exec, exec, s[0:1]
	s_branch .LBB321_36
.LBB321_24:
                                        ; implicit-def: $vgpr2
	s_cbranch_execz .LBB321_36
; %bb.25:
	v_cmp_gt_u32_e32 vcc, 36, v0
	s_and_saveexec_b64 s[0:1], vcc
	s_cbranch_execz .LBB321_27
; %bb.26:
	ds_read_b32 v2, v1 offset:1152
	ds_read_b32 v3, v1
	s_waitcnt lgkmcnt(0)
	v_add_f32_e32 v2, v2, v3
	ds_write_b32 v1, v2
.LBB321_27:
	s_or_b64 exec, exec, s[0:1]
	s_movk_i32 s0, 0x90
	v_cmp_gt_u32_e64 s[0:1], s0, v0
	s_waitcnt lgkmcnt(0)
	s_barrier
	s_and_saveexec_b64 s[2:3], s[0:1]
	s_cbranch_execz .LBB321_29
; %bb.28:
	ds_read2_b32 v[2:3], v1 offset1:144
	s_waitcnt lgkmcnt(0)
	v_add_f32_e32 v2, v3, v2
	ds_write_b32 v1, v2
.LBB321_29:
	s_or_b64 exec, exec, s[2:3]
	s_movk_i32 s0, 0x48
	v_cmp_gt_u32_e64 s[0:1], s0, v0
	s_waitcnt lgkmcnt(0)
	s_barrier
	s_and_saveexec_b64 s[2:3], s[0:1]
	s_cbranch_execz .LBB321_31
; %bb.30:
	ds_read2_b32 v[2:3], v1 offset1:72
	s_waitcnt lgkmcnt(0)
	v_add_f32_e32 v2, v3, v2
	ds_write_b32 v1, v2
.LBB321_31:
	s_or_b64 exec, exec, s[2:3]
	s_waitcnt lgkmcnt(0)
	s_barrier
	s_and_saveexec_b64 s[0:1], vcc
	s_cbranch_execz .LBB321_33
; %bb.32:
	ds_read2_b32 v[2:3], v1 offset1:36
	s_waitcnt lgkmcnt(0)
	v_add_f32_e32 v2, v3, v2
	ds_write_b32 v1, v2
.LBB321_33:
	s_or_b64 exec, exec, s[0:1]
	v_cmp_gt_u32_e32 vcc, 18, v0
	s_waitcnt lgkmcnt(0)
	s_and_saveexec_b64 s[0:1], vcc
	s_cbranch_execz .LBB321_35
; %bb.34:
	ds_read2_b32 v[2:3], v1 offset1:18
	s_waitcnt lgkmcnt(0)
	v_add_f32_e32 v7, v2, v3
.LBB321_35:
	s_or_b64 exec, exec, s[0:1]
	v_mov_b32_e32 v2, v7
.LBB321_36:
	v_cmp_gt_u32_e32 vcc, 18, v0
	s_and_saveexec_b64 s[0:1], vcc
	s_cbranch_execz .LBB321_40
; %bb.37:
	v_cmp_eq_f32_e64 s[0:1], s12, 0
	s_and_b64 vcc, exec, s[0:1]
	v_mul_f32_e32 v0, s14, v2
	s_mul_i32 s2, s7, 0x48
	s_mul_hi_u32 s3, s6, 0x48
	s_mul_i32 s4, s6, 0x48
	s_cbranch_vccz .LBB321_41
; %bb.38:
	s_add_i32 s1, s3, s2
	s_add_u32 s0, s16, s4
	s_addc_u32 s1, s17, s1
	global_store_dword v1, v0, s[0:1]
	s_cbranch_execnz .LBB321_40
.LBB321_39:
	s_add_i32 s3, s3, s2
	s_add_u32 s0, s16, s4
	s_addc_u32 s1, s17, s3
	global_load_dword v2, v1, s[0:1]
	s_waitcnt vmcnt(0)
	v_fmac_f32_e32 v0, s12, v2
	global_store_dword v1, v0, s[0:1]
.LBB321_40:
	s_endpgm
.LBB321_41:
	s_branch .LBB321_39
	.section	.rodata,"a",@progbits
	.p2align	6, 0x0
	.amdhsa_kernel _ZN9rocsparseL20bsrxmvn_17_32_kernelILj18EfllDF16_DF16_fEEvT2_20rocsparse_direction_NS_24const_host_device_scalarIT0_EES1_PKS1_PKT1_SA_S7_PKT3_PKT4_S5_PT5_21rocsparse_index_base_b
		.amdhsa_group_segment_fixed_size 1296
		.amdhsa_private_segment_fixed_size 0
		.amdhsa_kernarg_size 104
		.amdhsa_user_sgpr_count 6
		.amdhsa_user_sgpr_private_segment_buffer 1
		.amdhsa_user_sgpr_dispatch_ptr 0
		.amdhsa_user_sgpr_queue_ptr 0
		.amdhsa_user_sgpr_kernarg_segment_ptr 1
		.amdhsa_user_sgpr_dispatch_id 0
		.amdhsa_user_sgpr_flat_scratch_init 0
		.amdhsa_user_sgpr_private_segment_size 0
		.amdhsa_uses_dynamic_stack 0
		.amdhsa_system_sgpr_private_segment_wavefront_offset 0
		.amdhsa_system_sgpr_workgroup_id_x 1
		.amdhsa_system_sgpr_workgroup_id_y 0
		.amdhsa_system_sgpr_workgroup_id_z 0
		.amdhsa_system_sgpr_workgroup_info 0
		.amdhsa_system_vgpr_workitem_id 0
		.amdhsa_next_free_vgpr 13
		.amdhsa_next_free_sgpr 26
		.amdhsa_reserve_vcc 1
		.amdhsa_reserve_flat_scratch 0
		.amdhsa_float_round_mode_32 0
		.amdhsa_float_round_mode_16_64 0
		.amdhsa_float_denorm_mode_32 3
		.amdhsa_float_denorm_mode_16_64 3
		.amdhsa_dx10_clamp 1
		.amdhsa_ieee_mode 1
		.amdhsa_fp16_overflow 0
		.amdhsa_exception_fp_ieee_invalid_op 0
		.amdhsa_exception_fp_denorm_src 0
		.amdhsa_exception_fp_ieee_div_zero 0
		.amdhsa_exception_fp_ieee_overflow 0
		.amdhsa_exception_fp_ieee_underflow 0
		.amdhsa_exception_fp_ieee_inexact 0
		.amdhsa_exception_int_div_zero 0
	.end_amdhsa_kernel
	.section	.text._ZN9rocsparseL20bsrxmvn_17_32_kernelILj18EfllDF16_DF16_fEEvT2_20rocsparse_direction_NS_24const_host_device_scalarIT0_EES1_PKS1_PKT1_SA_S7_PKT3_PKT4_S5_PT5_21rocsparse_index_base_b,"axG",@progbits,_ZN9rocsparseL20bsrxmvn_17_32_kernelILj18EfllDF16_DF16_fEEvT2_20rocsparse_direction_NS_24const_host_device_scalarIT0_EES1_PKS1_PKT1_SA_S7_PKT3_PKT4_S5_PT5_21rocsparse_index_base_b,comdat
.Lfunc_end321:
	.size	_ZN9rocsparseL20bsrxmvn_17_32_kernelILj18EfllDF16_DF16_fEEvT2_20rocsparse_direction_NS_24const_host_device_scalarIT0_EES1_PKS1_PKT1_SA_S7_PKT3_PKT4_S5_PT5_21rocsparse_index_base_b, .Lfunc_end321-_ZN9rocsparseL20bsrxmvn_17_32_kernelILj18EfllDF16_DF16_fEEvT2_20rocsparse_direction_NS_24const_host_device_scalarIT0_EES1_PKS1_PKT1_SA_S7_PKT3_PKT4_S5_PT5_21rocsparse_index_base_b
                                        ; -- End function
	.set _ZN9rocsparseL20bsrxmvn_17_32_kernelILj18EfllDF16_DF16_fEEvT2_20rocsparse_direction_NS_24const_host_device_scalarIT0_EES1_PKS1_PKT1_SA_S7_PKT3_PKT4_S5_PT5_21rocsparse_index_base_b.num_vgpr, 13
	.set _ZN9rocsparseL20bsrxmvn_17_32_kernelILj18EfllDF16_DF16_fEEvT2_20rocsparse_direction_NS_24const_host_device_scalarIT0_EES1_PKS1_PKT1_SA_S7_PKT3_PKT4_S5_PT5_21rocsparse_index_base_b.num_agpr, 0
	.set _ZN9rocsparseL20bsrxmvn_17_32_kernelILj18EfllDF16_DF16_fEEvT2_20rocsparse_direction_NS_24const_host_device_scalarIT0_EES1_PKS1_PKT1_SA_S7_PKT3_PKT4_S5_PT5_21rocsparse_index_base_b.numbered_sgpr, 26
	.set _ZN9rocsparseL20bsrxmvn_17_32_kernelILj18EfllDF16_DF16_fEEvT2_20rocsparse_direction_NS_24const_host_device_scalarIT0_EES1_PKS1_PKT1_SA_S7_PKT3_PKT4_S5_PT5_21rocsparse_index_base_b.num_named_barrier, 0
	.set _ZN9rocsparseL20bsrxmvn_17_32_kernelILj18EfllDF16_DF16_fEEvT2_20rocsparse_direction_NS_24const_host_device_scalarIT0_EES1_PKS1_PKT1_SA_S7_PKT3_PKT4_S5_PT5_21rocsparse_index_base_b.private_seg_size, 0
	.set _ZN9rocsparseL20bsrxmvn_17_32_kernelILj18EfllDF16_DF16_fEEvT2_20rocsparse_direction_NS_24const_host_device_scalarIT0_EES1_PKS1_PKT1_SA_S7_PKT3_PKT4_S5_PT5_21rocsparse_index_base_b.uses_vcc, 1
	.set _ZN9rocsparseL20bsrxmvn_17_32_kernelILj18EfllDF16_DF16_fEEvT2_20rocsparse_direction_NS_24const_host_device_scalarIT0_EES1_PKS1_PKT1_SA_S7_PKT3_PKT4_S5_PT5_21rocsparse_index_base_b.uses_flat_scratch, 0
	.set _ZN9rocsparseL20bsrxmvn_17_32_kernelILj18EfllDF16_DF16_fEEvT2_20rocsparse_direction_NS_24const_host_device_scalarIT0_EES1_PKS1_PKT1_SA_S7_PKT3_PKT4_S5_PT5_21rocsparse_index_base_b.has_dyn_sized_stack, 0
	.set _ZN9rocsparseL20bsrxmvn_17_32_kernelILj18EfllDF16_DF16_fEEvT2_20rocsparse_direction_NS_24const_host_device_scalarIT0_EES1_PKS1_PKT1_SA_S7_PKT3_PKT4_S5_PT5_21rocsparse_index_base_b.has_recursion, 0
	.set _ZN9rocsparseL20bsrxmvn_17_32_kernelILj18EfllDF16_DF16_fEEvT2_20rocsparse_direction_NS_24const_host_device_scalarIT0_EES1_PKS1_PKT1_SA_S7_PKT3_PKT4_S5_PT5_21rocsparse_index_base_b.has_indirect_call, 0
	.section	.AMDGPU.csdata,"",@progbits
; Kernel info:
; codeLenInByte = 1320
; TotalNumSgprs: 30
; NumVgprs: 13
; ScratchSize: 0
; MemoryBound: 0
; FloatMode: 240
; IeeeMode: 1
; LDSByteSize: 1296 bytes/workgroup (compile time only)
; SGPRBlocks: 3
; VGPRBlocks: 3
; NumSGPRsForWavesPerEU: 30
; NumVGPRsForWavesPerEU: 13
; Occupancy: 10
; WaveLimiterHint : 1
; COMPUTE_PGM_RSRC2:SCRATCH_EN: 0
; COMPUTE_PGM_RSRC2:USER_SGPR: 6
; COMPUTE_PGM_RSRC2:TRAP_HANDLER: 0
; COMPUTE_PGM_RSRC2:TGID_X_EN: 1
; COMPUTE_PGM_RSRC2:TGID_Y_EN: 0
; COMPUTE_PGM_RSRC2:TGID_Z_EN: 0
; COMPUTE_PGM_RSRC2:TIDIG_COMP_CNT: 0
	.section	.text._ZN9rocsparseL20bsrxmvn_17_32_kernelILj19EfllDF16_DF16_fEEvT2_20rocsparse_direction_NS_24const_host_device_scalarIT0_EES1_PKS1_PKT1_SA_S7_PKT3_PKT4_S5_PT5_21rocsparse_index_base_b,"axG",@progbits,_ZN9rocsparseL20bsrxmvn_17_32_kernelILj19EfllDF16_DF16_fEEvT2_20rocsparse_direction_NS_24const_host_device_scalarIT0_EES1_PKS1_PKT1_SA_S7_PKT3_PKT4_S5_PT5_21rocsparse_index_base_b,comdat
	.globl	_ZN9rocsparseL20bsrxmvn_17_32_kernelILj19EfllDF16_DF16_fEEvT2_20rocsparse_direction_NS_24const_host_device_scalarIT0_EES1_PKS1_PKT1_SA_S7_PKT3_PKT4_S5_PT5_21rocsparse_index_base_b ; -- Begin function _ZN9rocsparseL20bsrxmvn_17_32_kernelILj19EfllDF16_DF16_fEEvT2_20rocsparse_direction_NS_24const_host_device_scalarIT0_EES1_PKS1_PKT1_SA_S7_PKT3_PKT4_S5_PT5_21rocsparse_index_base_b
	.p2align	8
	.type	_ZN9rocsparseL20bsrxmvn_17_32_kernelILj19EfllDF16_DF16_fEEvT2_20rocsparse_direction_NS_24const_host_device_scalarIT0_EES1_PKS1_PKT1_SA_S7_PKT3_PKT4_S5_PT5_21rocsparse_index_base_b,@function
_ZN9rocsparseL20bsrxmvn_17_32_kernelILj19EfllDF16_DF16_fEEvT2_20rocsparse_direction_NS_24const_host_device_scalarIT0_EES1_PKS1_PKT1_SA_S7_PKT3_PKT4_S5_PT5_21rocsparse_index_base_b: ; @_ZN9rocsparseL20bsrxmvn_17_32_kernelILj19EfllDF16_DF16_fEEvT2_20rocsparse_direction_NS_24const_host_device_scalarIT0_EES1_PKS1_PKT1_SA_S7_PKT3_PKT4_S5_PT5_21rocsparse_index_base_b
; %bb.0:
	s_load_dwordx2 s[18:19], s[4:5], 0x60
	s_load_dwordx2 s[14:15], s[4:5], 0x10
	;; [unrolled: 1-line block ×3, first 2 shown]
	s_waitcnt lgkmcnt(0)
	s_bitcmp1_b32 s19, 0
	s_cselect_b64 s[2:3], -1, 0
	s_xor_b64 s[0:1], s[2:3], -1
	s_and_b64 vcc, exec, s[2:3]
	s_cbranch_vccnz .LBB322_2
; %bb.1:
	s_load_dword s14, s[14:15], 0x0
.LBB322_2:
	s_andn2_b64 vcc, exec, s[0:1]
	s_cbranch_vccnz .LBB322_4
; %bb.3:
	s_load_dword s12, s[12:13], 0x0
.LBB322_4:
	s_waitcnt lgkmcnt(0)
	v_cmp_neq_f32_e64 s[0:1], s14, 0
	v_cmp_neq_f32_e64 s[2:3], s12, 1.0
	s_or_b64 s[0:1], s[0:1], s[2:3]
	s_andn2_b64 vcc, exec, s[0:1]
	s_mov_b32 s7, 0
	s_cbranch_vccnz .LBB322_40
; %bb.5:
	s_load_dwordx4 s[0:3], s[4:5], 0x20
	s_load_dwordx2 s[8:9], s[4:5], 0x30
	s_waitcnt lgkmcnt(0)
	s_cmp_eq_u64 s[0:1], 0
	s_cbranch_scc1 .LBB322_7
; %bb.6:
	s_lshl_b64 s[6:7], s[6:7], 3
	s_add_u32 s0, s0, s6
	s_addc_u32 s1, s1, s7
	s_load_dwordx2 s[0:1], s[0:1], 0x0
	s_waitcnt lgkmcnt(0)
	s_sub_u32 s6, s0, s18
	s_subb_u32 s7, s1, 0
.LBB322_7:
	s_load_dword s10, s[4:5], 0x8
	s_load_dwordx2 s[16:17], s[4:5], 0x58
	v_mul_u32_u24_e32 v1, 0xd7a, v0
	v_mov_b32_e32 v2, 19
	v_mul_lo_u16_sdwa v3, v1, v2 dst_sel:DWORD dst_unused:UNUSED_PAD src0_sel:WORD_1 src1_sel:DWORD
	s_waitcnt lgkmcnt(0)
	s_cmp_eq_u32 s10, 1
	s_cselect_b64 s[0:1], -1, 0
	s_cmp_lg_u32 s10, 1
	s_cselect_b64 s[20:21], -1, 0
	s_lshl_b64 s[10:11], s[6:7], 3
	s_add_u32 s24, s2, s10
	s_addc_u32 s25, s3, s11
	s_add_u32 s2, s24, 8
	s_addc_u32 s3, s25, 0
	;; [unrolled: 2-line block ×3, first 2 shown]
	s_cmp_eq_u64 s[8:9], 0
	s_cselect_b32 s9, s3, s11
	s_cselect_b32 s8, s2, s10
	s_load_dwordx2 s[2:3], s[8:9], 0x0
	s_load_dwordx2 s[22:23], s[24:25], 0x0
	v_sub_u16_e32 v8, v0, v3
	v_mov_b32_e32 v7, 0
	s_waitcnt lgkmcnt(0)
	v_mov_b32_e32 v4, s3
	v_mov_b32_e32 v3, s2
	v_cmp_ge_i64_e32 vcc, s[22:23], v[3:4]
	s_cbranch_vccnz .LBB322_12
; %bb.8:
	v_mov_b32_e32 v3, 14
	v_mul_lo_u16_sdwa v3, v1, v3 dst_sel:DWORD dst_unused:UNUSED_PAD src0_sel:WORD_1 src1_sel:DWORD
	s_load_dwordx4 s[8:11], s[4:5], 0x38
	s_load_dwordx2 s[24:25], s[4:5], 0x48
	v_mul_lo_u16_sdwa v2, v3, v2 dst_sel:DWORD dst_unused:UNUSED_PAD src0_sel:BYTE_1 src1_sel:DWORD
	s_sub_u32 s2, s2, s18
	v_sub_u16_sdwa v1, v1, v2 dst_sel:DWORD dst_unused:UNUSED_PAD src0_sel:WORD_1 src1_sel:DWORD
	s_subb_u32 s3, s3, 0
	v_and_b32_e32 v1, 0xff, v1
	s_sub_u32 s4, s22, s18
	v_cndmask_b32_e64 v1, v8, v1, s[0:1]
	s_subb_u32 s5, s23, 0
	v_lshlrev_b32_e32 v1, 1, v1
	s_mul_i32 s0, s5, 0x2d2
	s_mul_hi_u32 s1, s4, 0x2d2
	s_waitcnt lgkmcnt(0)
	v_mov_b32_e32 v2, s25
	v_add_co_u32_e32 v1, vcc, s24, v1
	s_add_i32 s1, s1, s0
	s_mul_i32 s0, s4, 0x2d2
	v_addc_co_u32_e32 v2, vcc, 0, v2, vcc
	s_add_u32 s0, s10, s0
	v_lshlrev_b32_e32 v3, 1, v0
	s_addc_u32 s1, s11, s1
	v_add_co_u32_e32 v3, vcc, s0, v3
	s_movk_i32 s0, 0xb6
	v_mov_b32_e32 v4, s1
	v_mul_u32_u24_sdwa v5, v0, s0 dst_sel:DWORD dst_unused:UNUSED_PAD src0_sel:WORD_0 src1_sel:DWORD
	v_addc_co_u32_e32 v4, vcc, 0, v4, vcc
	v_lshrrev_b32_e32 v9, 16, v5
	v_mov_b32_e32 v5, s23
	v_add_co_u32_e32 v6, vcc, s22, v9
	v_addc_co_u32_e32 v10, vcc, 0, v5, vcc
	v_subrev_co_u32_e32 v5, vcc, s18, v6
	v_subbrev_co_u32_e32 v6, vcc, 0, v10, vcc
	v_lshlrev_b64 v[5:6], 3, v[5:6]
	v_mov_b32_e32 v10, s9
	v_add_co_u32_e32 v5, vcc, s8, v5
	v_mov_b32_e32 v7, 0
	v_addc_co_u32_e32 v6, vcc, v10, v6, vcc
	s_branch .LBB322_10
.LBB322_9:                              ;   in Loop: Header=BB322_10 Depth=1
	s_or_b64 exec, exec, s[0:1]
	s_add_u32 s4, s4, 1
	v_mov_b32_e32 v11, s3
	s_addc_u32 s5, s5, 0
	v_mov_b32_e32 v10, s2
	v_cmp_lt_i64_e32 vcc, s[4:5], v[10:11]
	v_add_co_u32_e64 v5, s[0:1], 8, v5
	v_addc_co_u32_e64 v6, s[0:1], 0, v6, s[0:1]
	s_cbranch_vccz .LBB322_12
.LBB322_10:                             ; =>This Inner Loop Header: Depth=1
	v_mov_b32_e32 v11, s5
	v_add_co_u32_e32 v10, vcc, s4, v9
	v_addc_co_u32_e32 v11, vcc, 0, v11, vcc
	v_cmp_gt_i64_e32 vcc, s[2:3], v[10:11]
	s_and_saveexec_b64 s[0:1], vcc
	s_cbranch_execz .LBB322_9
; %bb.11:                               ;   in Loop: Header=BB322_10 Depth=1
	global_load_dwordx2 v[10:11], v[5:6], off
	s_waitcnt vmcnt(0)
	v_subrev_co_u32_e32 v10, vcc, s18, v10
	v_subbrev_co_u32_e32 v12, vcc, 0, v11, vcc
	v_mad_u64_u32 v[10:11], s[8:9], v10, 38, v[1:2]
	v_mad_u64_u32 v[11:12], s[8:9], v12, 38, v[11:12]
	global_load_ushort v12, v[3:4], off
	s_nop 0
	global_load_ushort v10, v[10:11], off
	v_add_co_u32_e32 v3, vcc, 0x2d2, v3
	v_addc_co_u32_e32 v4, vcc, 0, v4, vcc
	s_waitcnt vmcnt(0)
	v_fma_mix_f32 v7, v12, v10, v7 op_sel_hi:[1,1,0]
	s_branch .LBB322_9
.LBB322_12:
	v_lshlrev_b32_e32 v1, 2, v0
	s_and_b64 vcc, exec, s[20:21]
	ds_write_b32 v1, v7
	s_waitcnt lgkmcnt(0)
	s_barrier
	s_cbranch_vccz .LBB322_24
; %bb.13:
	v_cmp_gt_u16_e32 vcc, 3, v8
	s_and_saveexec_b64 s[0:1], vcc
	s_cbranch_execz .LBB322_15
; %bb.14:
	ds_read2_b32 v[2:3], v1 offset1:16
	s_waitcnt lgkmcnt(0)
	v_add_f32_e32 v2, v3, v2
	ds_write_b32 v1, v2
.LBB322_15:
	s_or_b64 exec, exec, s[0:1]
	v_cmp_gt_u16_e32 vcc, 8, v8
	s_waitcnt lgkmcnt(0)
	s_barrier
	s_and_saveexec_b64 s[0:1], vcc
	s_cbranch_execz .LBB322_17
; %bb.16:
	ds_read2_b32 v[2:3], v1 offset1:8
	s_waitcnt lgkmcnt(0)
	v_add_f32_e32 v2, v3, v2
	ds_write_b32 v1, v2
.LBB322_17:
	s_or_b64 exec, exec, s[0:1]
	v_cmp_gt_u16_e32 vcc, 4, v8
	s_waitcnt lgkmcnt(0)
	s_barrier
	;; [unrolled: 12-line block ×3, first 2 shown]
	s_and_saveexec_b64 s[0:1], vcc
	s_cbranch_execz .LBB322_21
; %bb.20:
	ds_read2_b32 v[2:3], v1 offset1:2
	s_waitcnt lgkmcnt(0)
	v_add_f32_e32 v2, v3, v2
	ds_write_b32 v1, v2
.LBB322_21:
	s_or_b64 exec, exec, s[0:1]
	v_cmp_gt_u32_e32 vcc, 19, v0
	v_mov_b32_e32 v2, v7
	s_waitcnt lgkmcnt(0)
	s_barrier
	s_and_saveexec_b64 s[0:1], vcc
	s_cbranch_execz .LBB322_23
; %bb.22:
	s_movk_i32 s2, 0x48
	v_mad_u32_u24 v2, v0, s2, v1
	ds_read2_b32 v[2:3], v2 offset1:1
	s_waitcnt lgkmcnt(0)
	v_add_f32_e32 v2, v2, v3
.LBB322_23:
	s_or_b64 exec, exec, s[0:1]
	s_branch .LBB322_36
.LBB322_24:
                                        ; implicit-def: $vgpr2
	s_cbranch_execz .LBB322_36
; %bb.25:
	v_cmp_gt_u32_e32 vcc, 57, v0
	s_and_saveexec_b64 s[0:1], vcc
	s_cbranch_execz .LBB322_27
; %bb.26:
	ds_read_b32 v2, v1 offset:1216
	ds_read_b32 v3, v1
	s_waitcnt lgkmcnt(0)
	v_add_f32_e32 v2, v2, v3
	ds_write_b32 v1, v2
.LBB322_27:
	s_or_b64 exec, exec, s[0:1]
	s_movk_i32 s0, 0x98
	v_cmp_gt_u32_e32 vcc, s0, v0
	s_waitcnt lgkmcnt(0)
	s_barrier
	s_and_saveexec_b64 s[0:1], vcc
	s_cbranch_execz .LBB322_29
; %bb.28:
	ds_read2_b32 v[2:3], v1 offset1:152
	s_waitcnt lgkmcnt(0)
	v_add_f32_e32 v2, v3, v2
	ds_write_b32 v1, v2
.LBB322_29:
	s_or_b64 exec, exec, s[0:1]
	s_movk_i32 s0, 0x4c
	v_cmp_gt_u32_e32 vcc, s0, v0
	s_waitcnt lgkmcnt(0)
	s_barrier
	s_and_saveexec_b64 s[0:1], vcc
	s_cbranch_execz .LBB322_31
; %bb.30:
	ds_read2_b32 v[2:3], v1 offset1:76
	s_waitcnt lgkmcnt(0)
	v_add_f32_e32 v2, v3, v2
	ds_write_b32 v1, v2
.LBB322_31:
	s_or_b64 exec, exec, s[0:1]
	v_cmp_gt_u32_e32 vcc, 38, v0
	s_waitcnt lgkmcnt(0)
	s_barrier
	s_and_saveexec_b64 s[0:1], vcc
	s_cbranch_execz .LBB322_33
; %bb.32:
	ds_read2_b32 v[2:3], v1 offset1:38
	s_waitcnt lgkmcnt(0)
	v_add_f32_e32 v2, v3, v2
	ds_write_b32 v1, v2
.LBB322_33:
	s_or_b64 exec, exec, s[0:1]
	v_cmp_gt_u32_e32 vcc, 19, v0
	s_waitcnt lgkmcnt(0)
	s_and_saveexec_b64 s[0:1], vcc
	s_cbranch_execz .LBB322_35
; %bb.34:
	ds_read2_b32 v[2:3], v1 offset1:19
	s_waitcnt lgkmcnt(0)
	v_add_f32_e32 v7, v2, v3
.LBB322_35:
	s_or_b64 exec, exec, s[0:1]
	v_mov_b32_e32 v2, v7
.LBB322_36:
	v_cmp_gt_u32_e32 vcc, 19, v0
	s_and_saveexec_b64 s[0:1], vcc
	s_cbranch_execz .LBB322_40
; %bb.37:
	v_cmp_eq_f32_e64 s[0:1], s12, 0
	s_and_b64 vcc, exec, s[0:1]
	v_mul_f32_e32 v0, s14, v2
	s_mul_i32 s2, s7, 0x4c
	s_mul_hi_u32 s3, s6, 0x4c
	s_mul_i32 s4, s6, 0x4c
	s_cbranch_vccz .LBB322_41
; %bb.38:
	s_add_i32 s1, s3, s2
	s_add_u32 s0, s16, s4
	s_addc_u32 s1, s17, s1
	global_store_dword v1, v0, s[0:1]
	s_cbranch_execnz .LBB322_40
.LBB322_39:
	s_add_i32 s3, s3, s2
	s_add_u32 s0, s16, s4
	s_addc_u32 s1, s17, s3
	global_load_dword v2, v1, s[0:1]
	s_waitcnt vmcnt(0)
	v_fmac_f32_e32 v0, s12, v2
	global_store_dword v1, v0, s[0:1]
.LBB322_40:
	s_endpgm
.LBB322_41:
	s_branch .LBB322_39
	.section	.rodata,"a",@progbits
	.p2align	6, 0x0
	.amdhsa_kernel _ZN9rocsparseL20bsrxmvn_17_32_kernelILj19EfllDF16_DF16_fEEvT2_20rocsparse_direction_NS_24const_host_device_scalarIT0_EES1_PKS1_PKT1_SA_S7_PKT3_PKT4_S5_PT5_21rocsparse_index_base_b
		.amdhsa_group_segment_fixed_size 1444
		.amdhsa_private_segment_fixed_size 0
		.amdhsa_kernarg_size 104
		.amdhsa_user_sgpr_count 6
		.amdhsa_user_sgpr_private_segment_buffer 1
		.amdhsa_user_sgpr_dispatch_ptr 0
		.amdhsa_user_sgpr_queue_ptr 0
		.amdhsa_user_sgpr_kernarg_segment_ptr 1
		.amdhsa_user_sgpr_dispatch_id 0
		.amdhsa_user_sgpr_flat_scratch_init 0
		.amdhsa_user_sgpr_private_segment_size 0
		.amdhsa_uses_dynamic_stack 0
		.amdhsa_system_sgpr_private_segment_wavefront_offset 0
		.amdhsa_system_sgpr_workgroup_id_x 1
		.amdhsa_system_sgpr_workgroup_id_y 0
		.amdhsa_system_sgpr_workgroup_id_z 0
		.amdhsa_system_sgpr_workgroup_info 0
		.amdhsa_system_vgpr_workitem_id 0
		.amdhsa_next_free_vgpr 13
		.amdhsa_next_free_sgpr 26
		.amdhsa_reserve_vcc 1
		.amdhsa_reserve_flat_scratch 0
		.amdhsa_float_round_mode_32 0
		.amdhsa_float_round_mode_16_64 0
		.amdhsa_float_denorm_mode_32 3
		.amdhsa_float_denorm_mode_16_64 3
		.amdhsa_dx10_clamp 1
		.amdhsa_ieee_mode 1
		.amdhsa_fp16_overflow 0
		.amdhsa_exception_fp_ieee_invalid_op 0
		.amdhsa_exception_fp_denorm_src 0
		.amdhsa_exception_fp_ieee_div_zero 0
		.amdhsa_exception_fp_ieee_overflow 0
		.amdhsa_exception_fp_ieee_underflow 0
		.amdhsa_exception_fp_ieee_inexact 0
		.amdhsa_exception_int_div_zero 0
	.end_amdhsa_kernel
	.section	.text._ZN9rocsparseL20bsrxmvn_17_32_kernelILj19EfllDF16_DF16_fEEvT2_20rocsparse_direction_NS_24const_host_device_scalarIT0_EES1_PKS1_PKT1_SA_S7_PKT3_PKT4_S5_PT5_21rocsparse_index_base_b,"axG",@progbits,_ZN9rocsparseL20bsrxmvn_17_32_kernelILj19EfllDF16_DF16_fEEvT2_20rocsparse_direction_NS_24const_host_device_scalarIT0_EES1_PKS1_PKT1_SA_S7_PKT3_PKT4_S5_PT5_21rocsparse_index_base_b,comdat
.Lfunc_end322:
	.size	_ZN9rocsparseL20bsrxmvn_17_32_kernelILj19EfllDF16_DF16_fEEvT2_20rocsparse_direction_NS_24const_host_device_scalarIT0_EES1_PKS1_PKT1_SA_S7_PKT3_PKT4_S5_PT5_21rocsparse_index_base_b, .Lfunc_end322-_ZN9rocsparseL20bsrxmvn_17_32_kernelILj19EfllDF16_DF16_fEEvT2_20rocsparse_direction_NS_24const_host_device_scalarIT0_EES1_PKS1_PKT1_SA_S7_PKT3_PKT4_S5_PT5_21rocsparse_index_base_b
                                        ; -- End function
	.set _ZN9rocsparseL20bsrxmvn_17_32_kernelILj19EfllDF16_DF16_fEEvT2_20rocsparse_direction_NS_24const_host_device_scalarIT0_EES1_PKS1_PKT1_SA_S7_PKT3_PKT4_S5_PT5_21rocsparse_index_base_b.num_vgpr, 13
	.set _ZN9rocsparseL20bsrxmvn_17_32_kernelILj19EfllDF16_DF16_fEEvT2_20rocsparse_direction_NS_24const_host_device_scalarIT0_EES1_PKS1_PKT1_SA_S7_PKT3_PKT4_S5_PT5_21rocsparse_index_base_b.num_agpr, 0
	.set _ZN9rocsparseL20bsrxmvn_17_32_kernelILj19EfllDF16_DF16_fEEvT2_20rocsparse_direction_NS_24const_host_device_scalarIT0_EES1_PKS1_PKT1_SA_S7_PKT3_PKT4_S5_PT5_21rocsparse_index_base_b.numbered_sgpr, 26
	.set _ZN9rocsparseL20bsrxmvn_17_32_kernelILj19EfllDF16_DF16_fEEvT2_20rocsparse_direction_NS_24const_host_device_scalarIT0_EES1_PKS1_PKT1_SA_S7_PKT3_PKT4_S5_PT5_21rocsparse_index_base_b.num_named_barrier, 0
	.set _ZN9rocsparseL20bsrxmvn_17_32_kernelILj19EfllDF16_DF16_fEEvT2_20rocsparse_direction_NS_24const_host_device_scalarIT0_EES1_PKS1_PKT1_SA_S7_PKT3_PKT4_S5_PT5_21rocsparse_index_base_b.private_seg_size, 0
	.set _ZN9rocsparseL20bsrxmvn_17_32_kernelILj19EfllDF16_DF16_fEEvT2_20rocsparse_direction_NS_24const_host_device_scalarIT0_EES1_PKS1_PKT1_SA_S7_PKT3_PKT4_S5_PT5_21rocsparse_index_base_b.uses_vcc, 1
	.set _ZN9rocsparseL20bsrxmvn_17_32_kernelILj19EfllDF16_DF16_fEEvT2_20rocsparse_direction_NS_24const_host_device_scalarIT0_EES1_PKS1_PKT1_SA_S7_PKT3_PKT4_S5_PT5_21rocsparse_index_base_b.uses_flat_scratch, 0
	.set _ZN9rocsparseL20bsrxmvn_17_32_kernelILj19EfllDF16_DF16_fEEvT2_20rocsparse_direction_NS_24const_host_device_scalarIT0_EES1_PKS1_PKT1_SA_S7_PKT3_PKT4_S5_PT5_21rocsparse_index_base_b.has_dyn_sized_stack, 0
	.set _ZN9rocsparseL20bsrxmvn_17_32_kernelILj19EfllDF16_DF16_fEEvT2_20rocsparse_direction_NS_24const_host_device_scalarIT0_EES1_PKS1_PKT1_SA_S7_PKT3_PKT4_S5_PT5_21rocsparse_index_base_b.has_recursion, 0
	.set _ZN9rocsparseL20bsrxmvn_17_32_kernelILj19EfllDF16_DF16_fEEvT2_20rocsparse_direction_NS_24const_host_device_scalarIT0_EES1_PKS1_PKT1_SA_S7_PKT3_PKT4_S5_PT5_21rocsparse_index_base_b.has_indirect_call, 0
	.section	.AMDGPU.csdata,"",@progbits
; Kernel info:
; codeLenInByte = 1312
; TotalNumSgprs: 30
; NumVgprs: 13
; ScratchSize: 0
; MemoryBound: 0
; FloatMode: 240
; IeeeMode: 1
; LDSByteSize: 1444 bytes/workgroup (compile time only)
; SGPRBlocks: 3
; VGPRBlocks: 3
; NumSGPRsForWavesPerEU: 30
; NumVGPRsForWavesPerEU: 13
; Occupancy: 10
; WaveLimiterHint : 1
; COMPUTE_PGM_RSRC2:SCRATCH_EN: 0
; COMPUTE_PGM_RSRC2:USER_SGPR: 6
; COMPUTE_PGM_RSRC2:TRAP_HANDLER: 0
; COMPUTE_PGM_RSRC2:TGID_X_EN: 1
; COMPUTE_PGM_RSRC2:TGID_Y_EN: 0
; COMPUTE_PGM_RSRC2:TGID_Z_EN: 0
; COMPUTE_PGM_RSRC2:TIDIG_COMP_CNT: 0
	.section	.text._ZN9rocsparseL20bsrxmvn_17_32_kernelILj20EfllDF16_DF16_fEEvT2_20rocsparse_direction_NS_24const_host_device_scalarIT0_EES1_PKS1_PKT1_SA_S7_PKT3_PKT4_S5_PT5_21rocsparse_index_base_b,"axG",@progbits,_ZN9rocsparseL20bsrxmvn_17_32_kernelILj20EfllDF16_DF16_fEEvT2_20rocsparse_direction_NS_24const_host_device_scalarIT0_EES1_PKS1_PKT1_SA_S7_PKT3_PKT4_S5_PT5_21rocsparse_index_base_b,comdat
	.globl	_ZN9rocsparseL20bsrxmvn_17_32_kernelILj20EfllDF16_DF16_fEEvT2_20rocsparse_direction_NS_24const_host_device_scalarIT0_EES1_PKS1_PKT1_SA_S7_PKT3_PKT4_S5_PT5_21rocsparse_index_base_b ; -- Begin function _ZN9rocsparseL20bsrxmvn_17_32_kernelILj20EfllDF16_DF16_fEEvT2_20rocsparse_direction_NS_24const_host_device_scalarIT0_EES1_PKS1_PKT1_SA_S7_PKT3_PKT4_S5_PT5_21rocsparse_index_base_b
	.p2align	8
	.type	_ZN9rocsparseL20bsrxmvn_17_32_kernelILj20EfllDF16_DF16_fEEvT2_20rocsparse_direction_NS_24const_host_device_scalarIT0_EES1_PKS1_PKT1_SA_S7_PKT3_PKT4_S5_PT5_21rocsparse_index_base_b,@function
_ZN9rocsparseL20bsrxmvn_17_32_kernelILj20EfllDF16_DF16_fEEvT2_20rocsparse_direction_NS_24const_host_device_scalarIT0_EES1_PKS1_PKT1_SA_S7_PKT3_PKT4_S5_PT5_21rocsparse_index_base_b: ; @_ZN9rocsparseL20bsrxmvn_17_32_kernelILj20EfllDF16_DF16_fEEvT2_20rocsparse_direction_NS_24const_host_device_scalarIT0_EES1_PKS1_PKT1_SA_S7_PKT3_PKT4_S5_PT5_21rocsparse_index_base_b
; %bb.0:
	s_load_dwordx2 s[18:19], s[4:5], 0x60
	s_load_dwordx2 s[14:15], s[4:5], 0x10
	s_load_dwordx2 s[12:13], s[4:5], 0x50
	s_waitcnt lgkmcnt(0)
	s_bitcmp1_b32 s19, 0
	s_cselect_b64 s[2:3], -1, 0
	s_xor_b64 s[0:1], s[2:3], -1
	s_and_b64 vcc, exec, s[2:3]
	s_cbranch_vccnz .LBB323_2
; %bb.1:
	s_load_dword s14, s[14:15], 0x0
.LBB323_2:
	s_andn2_b64 vcc, exec, s[0:1]
	s_cbranch_vccnz .LBB323_4
; %bb.3:
	s_load_dword s12, s[12:13], 0x0
.LBB323_4:
	s_waitcnt lgkmcnt(0)
	v_cmp_neq_f32_e64 s[0:1], s14, 0
	v_cmp_neq_f32_e64 s[2:3], s12, 1.0
	s_or_b64 s[0:1], s[0:1], s[2:3]
	s_andn2_b64 vcc, exec, s[0:1]
	s_mov_b32 s7, 0
	s_cbranch_vccnz .LBB323_40
; %bb.5:
	s_load_dwordx4 s[0:3], s[4:5], 0x20
	s_load_dwordx2 s[8:9], s[4:5], 0x30
	s_waitcnt lgkmcnt(0)
	s_cmp_eq_u64 s[0:1], 0
	s_cbranch_scc1 .LBB323_7
; %bb.6:
	s_lshl_b64 s[6:7], s[6:7], 3
	s_add_u32 s0, s0, s6
	s_addc_u32 s1, s1, s7
	s_load_dwordx2 s[0:1], s[0:1], 0x0
	s_waitcnt lgkmcnt(0)
	s_sub_u32 s6, s0, s18
	s_subb_u32 s7, s1, 0
.LBB323_7:
	s_load_dword s10, s[4:5], 0x8
	s_load_dwordx2 s[16:17], s[4:5], 0x58
	v_mul_u32_u24_e32 v1, 0xccd, v0
	v_mov_b32_e32 v2, 20
	v_mul_lo_u16_sdwa v3, v1, v2 dst_sel:DWORD dst_unused:UNUSED_PAD src0_sel:WORD_1 src1_sel:DWORD
	s_waitcnt lgkmcnt(0)
	s_cmp_eq_u32 s10, 1
	s_cselect_b64 s[0:1], -1, 0
	s_cmp_lg_u32 s10, 1
	s_cselect_b64 s[20:21], -1, 0
	s_lshl_b64 s[10:11], s[6:7], 3
	s_add_u32 s24, s2, s10
	s_addc_u32 s25, s3, s11
	s_add_u32 s2, s24, 8
	s_addc_u32 s3, s25, 0
	;; [unrolled: 2-line block ×3, first 2 shown]
	s_cmp_eq_u64 s[8:9], 0
	s_cselect_b32 s9, s3, s11
	s_cselect_b32 s8, s2, s10
	s_load_dwordx2 s[2:3], s[8:9], 0x0
	s_load_dwordx2 s[22:23], s[24:25], 0x0
	v_sub_u16_e32 v8, v0, v3
	v_mov_b32_e32 v7, 0
	s_waitcnt lgkmcnt(0)
	v_mov_b32_e32 v4, s3
	v_mov_b32_e32 v3, s2
	v_cmp_ge_i64_e32 vcc, s[22:23], v[3:4]
	s_cbranch_vccnz .LBB323_12
; %bb.8:
	v_mov_b32_e32 v3, 13
	v_mul_lo_u16_sdwa v3, v1, v3 dst_sel:DWORD dst_unused:UNUSED_PAD src0_sel:WORD_1 src1_sel:DWORD
	s_load_dwordx4 s[8:11], s[4:5], 0x38
	s_load_dwordx2 s[24:25], s[4:5], 0x48
	v_mul_lo_u16_sdwa v2, v3, v2 dst_sel:DWORD dst_unused:UNUSED_PAD src0_sel:BYTE_1 src1_sel:DWORD
	s_sub_u32 s2, s2, s18
	v_sub_u16_sdwa v1, v1, v2 dst_sel:DWORD dst_unused:UNUSED_PAD src0_sel:WORD_1 src1_sel:DWORD
	s_subb_u32 s3, s3, 0
	v_and_b32_e32 v1, 0xff, v1
	s_sub_u32 s4, s22, s18
	v_cndmask_b32_e64 v1, v8, v1, s[0:1]
	s_subb_u32 s5, s23, 0
	v_lshlrev_b32_e32 v1, 1, v1
	s_mul_i32 s0, s5, 0x320
	s_mul_hi_u32 s1, s4, 0x320
	s_waitcnt lgkmcnt(0)
	v_mov_b32_e32 v2, s25
	v_add_co_u32_e32 v1, vcc, s24, v1
	s_add_i32 s1, s1, s0
	s_mul_i32 s0, s4, 0x320
	v_addc_co_u32_e32 v2, vcc, 0, v2, vcc
	s_add_u32 s0, s10, s0
	v_lshlrev_b32_e32 v3, 1, v0
	s_addc_u32 s1, s11, s1
	v_add_co_u32_e32 v3, vcc, s0, v3
	s_movk_i32 s0, 0xa4
	v_mov_b32_e32 v4, s1
	v_mul_u32_u24_sdwa v5, v0, s0 dst_sel:DWORD dst_unused:UNUSED_PAD src0_sel:WORD_0 src1_sel:DWORD
	v_addc_co_u32_e32 v4, vcc, 0, v4, vcc
	v_lshrrev_b32_e32 v9, 16, v5
	v_mov_b32_e32 v5, s23
	v_add_co_u32_e32 v6, vcc, s22, v9
	v_addc_co_u32_e32 v10, vcc, 0, v5, vcc
	v_subrev_co_u32_e32 v5, vcc, s18, v6
	v_subbrev_co_u32_e32 v6, vcc, 0, v10, vcc
	v_lshlrev_b64 v[5:6], 3, v[5:6]
	v_mov_b32_e32 v10, s9
	v_add_co_u32_e32 v5, vcc, s8, v5
	v_mov_b32_e32 v7, 0
	v_addc_co_u32_e32 v6, vcc, v10, v6, vcc
	s_branch .LBB323_10
.LBB323_9:                              ;   in Loop: Header=BB323_10 Depth=1
	s_or_b64 exec, exec, s[0:1]
	s_add_u32 s4, s4, 1
	v_mov_b32_e32 v11, s3
	s_addc_u32 s5, s5, 0
	v_mov_b32_e32 v10, s2
	v_cmp_lt_i64_e32 vcc, s[4:5], v[10:11]
	v_add_co_u32_e64 v5, s[0:1], 8, v5
	v_addc_co_u32_e64 v6, s[0:1], 0, v6, s[0:1]
	s_cbranch_vccz .LBB323_12
.LBB323_10:                             ; =>This Inner Loop Header: Depth=1
	v_mov_b32_e32 v11, s5
	v_add_co_u32_e32 v10, vcc, s4, v9
	v_addc_co_u32_e32 v11, vcc, 0, v11, vcc
	v_cmp_gt_i64_e32 vcc, s[2:3], v[10:11]
	s_and_saveexec_b64 s[0:1], vcc
	s_cbranch_execz .LBB323_9
; %bb.11:                               ;   in Loop: Header=BB323_10 Depth=1
	global_load_dwordx2 v[10:11], v[5:6], off
	s_waitcnt vmcnt(0)
	v_subrev_co_u32_e32 v10, vcc, s18, v10
	v_subbrev_co_u32_e32 v12, vcc, 0, v11, vcc
	v_mad_u64_u32 v[10:11], s[8:9], v10, 40, v[1:2]
	v_mad_u64_u32 v[11:12], s[8:9], v12, 40, v[11:12]
	global_load_ushort v12, v[3:4], off
	s_nop 0
	global_load_ushort v10, v[10:11], off
	v_add_co_u32_e32 v3, vcc, 0x320, v3
	v_addc_co_u32_e32 v4, vcc, 0, v4, vcc
	s_waitcnt vmcnt(0)
	v_fma_mix_f32 v7, v12, v10, v7 op_sel_hi:[1,1,0]
	s_branch .LBB323_9
.LBB323_12:
	v_lshlrev_b32_e32 v1, 2, v0
	s_and_b64 vcc, exec, s[20:21]
	ds_write_b32 v1, v7
	s_waitcnt lgkmcnt(0)
	s_barrier
	s_cbranch_vccz .LBB323_24
; %bb.13:
	v_cmp_gt_u16_e32 vcc, 4, v8
	s_and_saveexec_b64 s[0:1], vcc
	s_cbranch_execz .LBB323_15
; %bb.14:
	ds_read2_b32 v[2:3], v1 offset1:16
	s_waitcnt lgkmcnt(0)
	v_add_f32_e32 v2, v3, v2
	ds_write_b32 v1, v2
.LBB323_15:
	s_or_b64 exec, exec, s[0:1]
	v_cmp_gt_u16_e64 s[0:1], 8, v8
	s_waitcnt lgkmcnt(0)
	s_barrier
	s_and_saveexec_b64 s[2:3], s[0:1]
	s_cbranch_execz .LBB323_17
; %bb.16:
	ds_read2_b32 v[2:3], v1 offset1:8
	s_waitcnt lgkmcnt(0)
	v_add_f32_e32 v2, v3, v2
	ds_write_b32 v1, v2
.LBB323_17:
	s_or_b64 exec, exec, s[2:3]
	s_waitcnt lgkmcnt(0)
	s_barrier
	s_and_saveexec_b64 s[0:1], vcc
	s_cbranch_execz .LBB323_19
; %bb.18:
	ds_read2_b32 v[2:3], v1 offset1:4
	s_waitcnt lgkmcnt(0)
	v_add_f32_e32 v2, v3, v2
	ds_write_b32 v1, v2
.LBB323_19:
	s_or_b64 exec, exec, s[0:1]
	v_cmp_gt_u16_e32 vcc, 2, v8
	s_waitcnt lgkmcnt(0)
	s_barrier
	s_and_saveexec_b64 s[0:1], vcc
	s_cbranch_execz .LBB323_21
; %bb.20:
	ds_read2_b32 v[2:3], v1 offset1:2
	s_waitcnt lgkmcnt(0)
	v_add_f32_e32 v2, v3, v2
	ds_write_b32 v1, v2
.LBB323_21:
	s_or_b64 exec, exec, s[0:1]
	v_cmp_gt_u32_e32 vcc, 20, v0
	v_mov_b32_e32 v2, v7
	s_waitcnt lgkmcnt(0)
	s_barrier
	s_and_saveexec_b64 s[0:1], vcc
	s_cbranch_execz .LBB323_23
; %bb.22:
	s_movk_i32 s2, 0x4c
	v_mad_u32_u24 v2, v0, s2, v1
	ds_read_b64 v[2:3], v2
	s_waitcnt lgkmcnt(0)
	v_add_f32_e32 v2, v2, v3
.LBB323_23:
	s_or_b64 exec, exec, s[0:1]
	s_branch .LBB323_36
.LBB323_24:
                                        ; implicit-def: $vgpr2
	s_cbranch_execz .LBB323_36
; %bb.25:
	s_movk_i32 s0, 0x50
	v_cmp_gt_u32_e32 vcc, s0, v0
	s_and_saveexec_b64 s[0:1], vcc
	s_cbranch_execz .LBB323_27
; %bb.26:
	ds_read2st64_b32 v[2:3], v1 offset1:5
	s_waitcnt lgkmcnt(0)
	v_add_f32_e32 v2, v3, v2
	ds_write_b32 v1, v2
.LBB323_27:
	s_or_b64 exec, exec, s[0:1]
	s_movk_i32 s0, 0xa0
	v_cmp_gt_u32_e64 s[0:1], s0, v0
	s_waitcnt lgkmcnt(0)
	s_barrier
	s_and_saveexec_b64 s[2:3], s[0:1]
	s_cbranch_execz .LBB323_29
; %bb.28:
	ds_read2_b32 v[2:3], v1 offset1:160
	s_waitcnt lgkmcnt(0)
	v_add_f32_e32 v2, v3, v2
	ds_write_b32 v1, v2
.LBB323_29:
	s_or_b64 exec, exec, s[2:3]
	s_waitcnt lgkmcnt(0)
	s_barrier
	s_and_saveexec_b64 s[0:1], vcc
	s_cbranch_execz .LBB323_31
; %bb.30:
	ds_read2_b32 v[2:3], v1 offset1:80
	s_waitcnt lgkmcnt(0)
	v_add_f32_e32 v2, v3, v2
	ds_write_b32 v1, v2
.LBB323_31:
	s_or_b64 exec, exec, s[0:1]
	v_cmp_gt_u32_e32 vcc, 40, v0
	s_waitcnt lgkmcnt(0)
	s_barrier
	s_and_saveexec_b64 s[0:1], vcc
	s_cbranch_execz .LBB323_33
; %bb.32:
	ds_read2_b32 v[2:3], v1 offset1:40
	s_waitcnt lgkmcnt(0)
	v_add_f32_e32 v2, v3, v2
	ds_write_b32 v1, v2
.LBB323_33:
	s_or_b64 exec, exec, s[0:1]
	v_cmp_gt_u32_e32 vcc, 20, v0
	s_waitcnt lgkmcnt(0)
	s_and_saveexec_b64 s[0:1], vcc
	s_cbranch_execz .LBB323_35
; %bb.34:
	ds_read2_b32 v[2:3], v1 offset1:20
	s_waitcnt lgkmcnt(0)
	v_add_f32_e32 v7, v2, v3
.LBB323_35:
	s_or_b64 exec, exec, s[0:1]
	v_mov_b32_e32 v2, v7
.LBB323_36:
	v_cmp_gt_u32_e32 vcc, 20, v0
	s_and_saveexec_b64 s[0:1], vcc
	s_cbranch_execz .LBB323_40
; %bb.37:
	v_cmp_eq_f32_e64 s[0:1], s12, 0
	s_and_b64 vcc, exec, s[0:1]
	v_mul_f32_e32 v0, s14, v2
	s_mul_i32 s2, s7, 0x50
	s_mul_hi_u32 s3, s6, 0x50
	s_mul_i32 s4, s6, 0x50
	s_cbranch_vccz .LBB323_41
; %bb.38:
	s_add_i32 s1, s3, s2
	s_add_u32 s0, s16, s4
	s_addc_u32 s1, s17, s1
	global_store_dword v1, v0, s[0:1]
	s_cbranch_execnz .LBB323_40
.LBB323_39:
	s_add_i32 s3, s3, s2
	s_add_u32 s0, s16, s4
	s_addc_u32 s1, s17, s3
	global_load_dword v2, v1, s[0:1]
	s_waitcnt vmcnt(0)
	v_fmac_f32_e32 v0, s12, v2
	global_store_dword v1, v0, s[0:1]
.LBB323_40:
	s_endpgm
.LBB323_41:
	s_branch .LBB323_39
	.section	.rodata,"a",@progbits
	.p2align	6, 0x0
	.amdhsa_kernel _ZN9rocsparseL20bsrxmvn_17_32_kernelILj20EfllDF16_DF16_fEEvT2_20rocsparse_direction_NS_24const_host_device_scalarIT0_EES1_PKS1_PKT1_SA_S7_PKT3_PKT4_S5_PT5_21rocsparse_index_base_b
		.amdhsa_group_segment_fixed_size 1600
		.amdhsa_private_segment_fixed_size 0
		.amdhsa_kernarg_size 104
		.amdhsa_user_sgpr_count 6
		.amdhsa_user_sgpr_private_segment_buffer 1
		.amdhsa_user_sgpr_dispatch_ptr 0
		.amdhsa_user_sgpr_queue_ptr 0
		.amdhsa_user_sgpr_kernarg_segment_ptr 1
		.amdhsa_user_sgpr_dispatch_id 0
		.amdhsa_user_sgpr_flat_scratch_init 0
		.amdhsa_user_sgpr_private_segment_size 0
		.amdhsa_uses_dynamic_stack 0
		.amdhsa_system_sgpr_private_segment_wavefront_offset 0
		.amdhsa_system_sgpr_workgroup_id_x 1
		.amdhsa_system_sgpr_workgroup_id_y 0
		.amdhsa_system_sgpr_workgroup_id_z 0
		.amdhsa_system_sgpr_workgroup_info 0
		.amdhsa_system_vgpr_workitem_id 0
		.amdhsa_next_free_vgpr 13
		.amdhsa_next_free_sgpr 26
		.amdhsa_reserve_vcc 1
		.amdhsa_reserve_flat_scratch 0
		.amdhsa_float_round_mode_32 0
		.amdhsa_float_round_mode_16_64 0
		.amdhsa_float_denorm_mode_32 3
		.amdhsa_float_denorm_mode_16_64 3
		.amdhsa_dx10_clamp 1
		.amdhsa_ieee_mode 1
		.amdhsa_fp16_overflow 0
		.amdhsa_exception_fp_ieee_invalid_op 0
		.amdhsa_exception_fp_denorm_src 0
		.amdhsa_exception_fp_ieee_div_zero 0
		.amdhsa_exception_fp_ieee_overflow 0
		.amdhsa_exception_fp_ieee_underflow 0
		.amdhsa_exception_fp_ieee_inexact 0
		.amdhsa_exception_int_div_zero 0
	.end_amdhsa_kernel
	.section	.text._ZN9rocsparseL20bsrxmvn_17_32_kernelILj20EfllDF16_DF16_fEEvT2_20rocsparse_direction_NS_24const_host_device_scalarIT0_EES1_PKS1_PKT1_SA_S7_PKT3_PKT4_S5_PT5_21rocsparse_index_base_b,"axG",@progbits,_ZN9rocsparseL20bsrxmvn_17_32_kernelILj20EfllDF16_DF16_fEEvT2_20rocsparse_direction_NS_24const_host_device_scalarIT0_EES1_PKS1_PKT1_SA_S7_PKT3_PKT4_S5_PT5_21rocsparse_index_base_b,comdat
.Lfunc_end323:
	.size	_ZN9rocsparseL20bsrxmvn_17_32_kernelILj20EfllDF16_DF16_fEEvT2_20rocsparse_direction_NS_24const_host_device_scalarIT0_EES1_PKS1_PKT1_SA_S7_PKT3_PKT4_S5_PT5_21rocsparse_index_base_b, .Lfunc_end323-_ZN9rocsparseL20bsrxmvn_17_32_kernelILj20EfllDF16_DF16_fEEvT2_20rocsparse_direction_NS_24const_host_device_scalarIT0_EES1_PKS1_PKT1_SA_S7_PKT3_PKT4_S5_PT5_21rocsparse_index_base_b
                                        ; -- End function
	.set _ZN9rocsparseL20bsrxmvn_17_32_kernelILj20EfllDF16_DF16_fEEvT2_20rocsparse_direction_NS_24const_host_device_scalarIT0_EES1_PKS1_PKT1_SA_S7_PKT3_PKT4_S5_PT5_21rocsparse_index_base_b.num_vgpr, 13
	.set _ZN9rocsparseL20bsrxmvn_17_32_kernelILj20EfllDF16_DF16_fEEvT2_20rocsparse_direction_NS_24const_host_device_scalarIT0_EES1_PKS1_PKT1_SA_S7_PKT3_PKT4_S5_PT5_21rocsparse_index_base_b.num_agpr, 0
	.set _ZN9rocsparseL20bsrxmvn_17_32_kernelILj20EfllDF16_DF16_fEEvT2_20rocsparse_direction_NS_24const_host_device_scalarIT0_EES1_PKS1_PKT1_SA_S7_PKT3_PKT4_S5_PT5_21rocsparse_index_base_b.numbered_sgpr, 26
	.set _ZN9rocsparseL20bsrxmvn_17_32_kernelILj20EfllDF16_DF16_fEEvT2_20rocsparse_direction_NS_24const_host_device_scalarIT0_EES1_PKS1_PKT1_SA_S7_PKT3_PKT4_S5_PT5_21rocsparse_index_base_b.num_named_barrier, 0
	.set _ZN9rocsparseL20bsrxmvn_17_32_kernelILj20EfllDF16_DF16_fEEvT2_20rocsparse_direction_NS_24const_host_device_scalarIT0_EES1_PKS1_PKT1_SA_S7_PKT3_PKT4_S5_PT5_21rocsparse_index_base_b.private_seg_size, 0
	.set _ZN9rocsparseL20bsrxmvn_17_32_kernelILj20EfllDF16_DF16_fEEvT2_20rocsparse_direction_NS_24const_host_device_scalarIT0_EES1_PKS1_PKT1_SA_S7_PKT3_PKT4_S5_PT5_21rocsparse_index_base_b.uses_vcc, 1
	.set _ZN9rocsparseL20bsrxmvn_17_32_kernelILj20EfllDF16_DF16_fEEvT2_20rocsparse_direction_NS_24const_host_device_scalarIT0_EES1_PKS1_PKT1_SA_S7_PKT3_PKT4_S5_PT5_21rocsparse_index_base_b.uses_flat_scratch, 0
	.set _ZN9rocsparseL20bsrxmvn_17_32_kernelILj20EfllDF16_DF16_fEEvT2_20rocsparse_direction_NS_24const_host_device_scalarIT0_EES1_PKS1_PKT1_SA_S7_PKT3_PKT4_S5_PT5_21rocsparse_index_base_b.has_dyn_sized_stack, 0
	.set _ZN9rocsparseL20bsrxmvn_17_32_kernelILj20EfllDF16_DF16_fEEvT2_20rocsparse_direction_NS_24const_host_device_scalarIT0_EES1_PKS1_PKT1_SA_S7_PKT3_PKT4_S5_PT5_21rocsparse_index_base_b.has_recursion, 0
	.set _ZN9rocsparseL20bsrxmvn_17_32_kernelILj20EfllDF16_DF16_fEEvT2_20rocsparse_direction_NS_24const_host_device_scalarIT0_EES1_PKS1_PKT1_SA_S7_PKT3_PKT4_S5_PT5_21rocsparse_index_base_b.has_indirect_call, 0
	.section	.AMDGPU.csdata,"",@progbits
; Kernel info:
; codeLenInByte = 1304
; TotalNumSgprs: 30
; NumVgprs: 13
; ScratchSize: 0
; MemoryBound: 0
; FloatMode: 240
; IeeeMode: 1
; LDSByteSize: 1600 bytes/workgroup (compile time only)
; SGPRBlocks: 3
; VGPRBlocks: 3
; NumSGPRsForWavesPerEU: 30
; NumVGPRsForWavesPerEU: 13
; Occupancy: 10
; WaveLimiterHint : 1
; COMPUTE_PGM_RSRC2:SCRATCH_EN: 0
; COMPUTE_PGM_RSRC2:USER_SGPR: 6
; COMPUTE_PGM_RSRC2:TRAP_HANDLER: 0
; COMPUTE_PGM_RSRC2:TGID_X_EN: 1
; COMPUTE_PGM_RSRC2:TGID_Y_EN: 0
; COMPUTE_PGM_RSRC2:TGID_Z_EN: 0
; COMPUTE_PGM_RSRC2:TIDIG_COMP_CNT: 0
	.section	.text._ZN9rocsparseL20bsrxmvn_17_32_kernelILj21EfllDF16_DF16_fEEvT2_20rocsparse_direction_NS_24const_host_device_scalarIT0_EES1_PKS1_PKT1_SA_S7_PKT3_PKT4_S5_PT5_21rocsparse_index_base_b,"axG",@progbits,_ZN9rocsparseL20bsrxmvn_17_32_kernelILj21EfllDF16_DF16_fEEvT2_20rocsparse_direction_NS_24const_host_device_scalarIT0_EES1_PKS1_PKT1_SA_S7_PKT3_PKT4_S5_PT5_21rocsparse_index_base_b,comdat
	.globl	_ZN9rocsparseL20bsrxmvn_17_32_kernelILj21EfllDF16_DF16_fEEvT2_20rocsparse_direction_NS_24const_host_device_scalarIT0_EES1_PKS1_PKT1_SA_S7_PKT3_PKT4_S5_PT5_21rocsparse_index_base_b ; -- Begin function _ZN9rocsparseL20bsrxmvn_17_32_kernelILj21EfllDF16_DF16_fEEvT2_20rocsparse_direction_NS_24const_host_device_scalarIT0_EES1_PKS1_PKT1_SA_S7_PKT3_PKT4_S5_PT5_21rocsparse_index_base_b
	.p2align	8
	.type	_ZN9rocsparseL20bsrxmvn_17_32_kernelILj21EfllDF16_DF16_fEEvT2_20rocsparse_direction_NS_24const_host_device_scalarIT0_EES1_PKS1_PKT1_SA_S7_PKT3_PKT4_S5_PT5_21rocsparse_index_base_b,@function
_ZN9rocsparseL20bsrxmvn_17_32_kernelILj21EfllDF16_DF16_fEEvT2_20rocsparse_direction_NS_24const_host_device_scalarIT0_EES1_PKS1_PKT1_SA_S7_PKT3_PKT4_S5_PT5_21rocsparse_index_base_b: ; @_ZN9rocsparseL20bsrxmvn_17_32_kernelILj21EfllDF16_DF16_fEEvT2_20rocsparse_direction_NS_24const_host_device_scalarIT0_EES1_PKS1_PKT1_SA_S7_PKT3_PKT4_S5_PT5_21rocsparse_index_base_b
; %bb.0:
	s_load_dwordx2 s[18:19], s[4:5], 0x60
	s_load_dwordx2 s[14:15], s[4:5], 0x10
	;; [unrolled: 1-line block ×3, first 2 shown]
	s_waitcnt lgkmcnt(0)
	s_bitcmp1_b32 s19, 0
	s_cselect_b64 s[2:3], -1, 0
	s_xor_b64 s[0:1], s[2:3], -1
	s_and_b64 vcc, exec, s[2:3]
	s_cbranch_vccnz .LBB324_2
; %bb.1:
	s_load_dword s14, s[14:15], 0x0
.LBB324_2:
	s_andn2_b64 vcc, exec, s[0:1]
	s_cbranch_vccnz .LBB324_4
; %bb.3:
	s_load_dword s12, s[12:13], 0x0
.LBB324_4:
	s_waitcnt lgkmcnt(0)
	v_cmp_neq_f32_e64 s[0:1], s14, 0
	v_cmp_neq_f32_e64 s[2:3], s12, 1.0
	s_or_b64 s[0:1], s[0:1], s[2:3]
	s_andn2_b64 vcc, exec, s[0:1]
	s_mov_b32 s7, 0
	s_cbranch_vccnz .LBB324_40
; %bb.5:
	s_load_dwordx4 s[0:3], s[4:5], 0x20
	s_load_dwordx2 s[8:9], s[4:5], 0x30
	s_waitcnt lgkmcnt(0)
	s_cmp_eq_u64 s[0:1], 0
	s_cbranch_scc1 .LBB324_7
; %bb.6:
	s_lshl_b64 s[6:7], s[6:7], 3
	s_add_u32 s0, s0, s6
	s_addc_u32 s1, s1, s7
	s_load_dwordx2 s[0:1], s[0:1], 0x0
	s_waitcnt lgkmcnt(0)
	s_sub_u32 s6, s0, s18
	s_subb_u32 s7, s1, 0
.LBB324_7:
	s_load_dword s10, s[4:5], 0x8
	s_load_dwordx2 s[16:17], s[4:5], 0x58
	v_mul_u32_u24_e32 v1, 0xc31, v0
	v_mov_b32_e32 v2, 21
	v_mul_lo_u16_sdwa v2, v1, v2 dst_sel:DWORD dst_unused:UNUSED_PAD src0_sel:WORD_1 src1_sel:DWORD
	s_waitcnt lgkmcnt(0)
	s_cmp_eq_u32 s10, 1
	s_cselect_b64 s[0:1], -1, 0
	s_cmp_lg_u32 s10, 1
	s_cselect_b64 s[20:21], -1, 0
	s_lshl_b64 s[10:11], s[6:7], 3
	s_add_u32 s24, s2, s10
	s_addc_u32 s25, s3, s11
	s_add_u32 s2, s24, 8
	s_addc_u32 s3, s25, 0
	s_add_u32 s10, s8, s10
	s_addc_u32 s11, s9, s11
	s_cmp_eq_u64 s[8:9], 0
	s_cselect_b32 s9, s3, s11
	s_cselect_b32 s8, s2, s10
	s_load_dwordx2 s[2:3], s[8:9], 0x0
	s_load_dwordx2 s[22:23], s[24:25], 0x0
	v_sub_u16_e32 v8, v0, v2
	v_mov_b32_e32 v7, 0
	s_waitcnt lgkmcnt(0)
	v_mov_b32_e32 v2, s2
	v_mov_b32_e32 v3, s3
	v_cmp_ge_i64_e32 vcc, s[22:23], v[2:3]
	s_cbranch_vccnz .LBB324_12
; %bb.8:
	v_mov_b32_e32 v2, 25
	v_mul_lo_u16_sdwa v2, v1, v2 dst_sel:DWORD dst_unused:UNUSED_PAD src0_sel:WORD_1 src1_sel:DWORD
	v_lshrrev_b16_e32 v2, 9, v2
	s_load_dwordx4 s[8:11], s[4:5], 0x38
	s_load_dwordx2 s[24:25], s[4:5], 0x48
	v_mul_lo_u16_e32 v2, 21, v2
	s_sub_u32 s2, s2, s18
	v_sub_u16_sdwa v1, v1, v2 dst_sel:DWORD dst_unused:UNUSED_PAD src0_sel:WORD_1 src1_sel:DWORD
	s_subb_u32 s3, s3, 0
	v_and_b32_e32 v1, 0xff, v1
	s_sub_u32 s4, s22, s18
	v_cndmask_b32_e64 v1, v8, v1, s[0:1]
	s_subb_u32 s5, s23, 0
	v_lshlrev_b32_e32 v1, 1, v1
	s_mul_i32 s0, s5, 0x372
	s_mul_hi_u32 s1, s4, 0x372
	s_waitcnt lgkmcnt(0)
	v_mov_b32_e32 v2, s25
	v_add_co_u32_e32 v1, vcc, s24, v1
	s_add_i32 s1, s1, s0
	s_mul_i32 s0, s4, 0x372
	v_addc_co_u32_e32 v2, vcc, 0, v2, vcc
	s_add_u32 s0, s10, s0
	v_lshlrev_b32_e32 v3, 1, v0
	s_addc_u32 s1, s11, s1
	v_add_co_u32_e32 v3, vcc, s0, v3
	s_movk_i32 s0, 0x253
	v_mov_b32_e32 v4, s1
	v_mul_u32_u24_sdwa v5, v0, s0 dst_sel:DWORD dst_unused:UNUSED_PAD src0_sel:WORD_0 src1_sel:DWORD
	v_addc_co_u32_e32 v4, vcc, 0, v4, vcc
	v_lshrrev_b32_e32 v9, 18, v5
	v_mov_b32_e32 v5, s23
	v_add_co_u32_e32 v6, vcc, s22, v9
	v_addc_co_u32_e32 v10, vcc, 0, v5, vcc
	v_subrev_co_u32_e32 v5, vcc, s18, v6
	v_subbrev_co_u32_e32 v6, vcc, 0, v10, vcc
	v_lshlrev_b64 v[5:6], 3, v[5:6]
	v_mov_b32_e32 v10, s9
	v_add_co_u32_e32 v5, vcc, s8, v5
	v_mov_b32_e32 v7, 0
	v_addc_co_u32_e32 v6, vcc, v10, v6, vcc
	s_branch .LBB324_10
.LBB324_9:                              ;   in Loop: Header=BB324_10 Depth=1
	s_or_b64 exec, exec, s[0:1]
	s_add_u32 s4, s4, 1
	v_mov_b32_e32 v11, s3
	s_addc_u32 s5, s5, 0
	v_mov_b32_e32 v10, s2
	v_cmp_lt_i64_e32 vcc, s[4:5], v[10:11]
	v_add_co_u32_e64 v5, s[0:1], 8, v5
	v_addc_co_u32_e64 v6, s[0:1], 0, v6, s[0:1]
	s_cbranch_vccz .LBB324_12
.LBB324_10:                             ; =>This Inner Loop Header: Depth=1
	v_mov_b32_e32 v11, s5
	v_add_co_u32_e32 v10, vcc, s4, v9
	v_addc_co_u32_e32 v11, vcc, 0, v11, vcc
	v_cmp_gt_i64_e32 vcc, s[2:3], v[10:11]
	s_and_saveexec_b64 s[0:1], vcc
	s_cbranch_execz .LBB324_9
; %bb.11:                               ;   in Loop: Header=BB324_10 Depth=1
	global_load_dwordx2 v[10:11], v[5:6], off
	s_waitcnt vmcnt(0)
	v_subrev_co_u32_e32 v10, vcc, s18, v10
	v_subbrev_co_u32_e32 v12, vcc, 0, v11, vcc
	v_mad_u64_u32 v[10:11], s[8:9], v10, 42, v[1:2]
	v_mad_u64_u32 v[11:12], s[8:9], v12, 42, v[11:12]
	global_load_ushort v12, v[3:4], off
	s_nop 0
	global_load_ushort v10, v[10:11], off
	v_add_co_u32_e32 v3, vcc, 0x372, v3
	v_addc_co_u32_e32 v4, vcc, 0, v4, vcc
	s_waitcnt vmcnt(0)
	v_fma_mix_f32 v7, v12, v10, v7 op_sel_hi:[1,1,0]
	s_branch .LBB324_9
.LBB324_12:
	v_lshlrev_b32_e32 v1, 2, v0
	s_and_b64 vcc, exec, s[20:21]
	ds_write_b32 v1, v7
	s_waitcnt lgkmcnt(0)
	s_barrier
	s_cbranch_vccz .LBB324_24
; %bb.13:
	v_cmp_gt_u16_e32 vcc, 5, v8
	s_and_saveexec_b64 s[0:1], vcc
	s_cbranch_execz .LBB324_15
; %bb.14:
	ds_read2_b32 v[2:3], v1 offset1:16
	s_waitcnt lgkmcnt(0)
	v_add_f32_e32 v2, v3, v2
	ds_write_b32 v1, v2
.LBB324_15:
	s_or_b64 exec, exec, s[0:1]
	v_cmp_gt_u16_e32 vcc, 8, v8
	s_waitcnt lgkmcnt(0)
	s_barrier
	s_and_saveexec_b64 s[0:1], vcc
	s_cbranch_execz .LBB324_17
; %bb.16:
	ds_read2_b32 v[2:3], v1 offset1:8
	s_waitcnt lgkmcnt(0)
	v_add_f32_e32 v2, v3, v2
	ds_write_b32 v1, v2
.LBB324_17:
	s_or_b64 exec, exec, s[0:1]
	v_cmp_gt_u16_e32 vcc, 4, v8
	s_waitcnt lgkmcnt(0)
	s_barrier
	;; [unrolled: 12-line block ×3, first 2 shown]
	s_and_saveexec_b64 s[0:1], vcc
	s_cbranch_execz .LBB324_21
; %bb.20:
	ds_read2_b32 v[2:3], v1 offset1:2
	s_waitcnt lgkmcnt(0)
	v_add_f32_e32 v2, v3, v2
	ds_write_b32 v1, v2
.LBB324_21:
	s_or_b64 exec, exec, s[0:1]
	v_cmp_gt_u32_e32 vcc, 21, v0
	v_mov_b32_e32 v2, v7
	s_waitcnt lgkmcnt(0)
	s_barrier
	s_and_saveexec_b64 s[0:1], vcc
	s_cbranch_execz .LBB324_23
; %bb.22:
	s_movk_i32 s2, 0x50
	v_mad_u32_u24 v2, v0, s2, v1
	ds_read2_b32 v[2:3], v2 offset1:1
	s_waitcnt lgkmcnt(0)
	v_add_f32_e32 v2, v2, v3
.LBB324_23:
	s_or_b64 exec, exec, s[0:1]
	s_branch .LBB324_36
.LBB324_24:
                                        ; implicit-def: $vgpr2
	s_cbranch_execz .LBB324_36
; %bb.25:
	s_movk_i32 s0, 0x69
	v_cmp_gt_u32_e32 vcc, s0, v0
	s_and_saveexec_b64 s[0:1], vcc
	s_cbranch_execz .LBB324_27
; %bb.26:
	ds_read_b32 v2, v1 offset:1344
	ds_read_b32 v3, v1
	s_waitcnt lgkmcnt(0)
	v_add_f32_e32 v2, v2, v3
	ds_write_b32 v1, v2
.LBB324_27:
	s_or_b64 exec, exec, s[0:1]
	s_movk_i32 s0, 0xa8
	v_cmp_gt_u32_e32 vcc, s0, v0
	s_waitcnt lgkmcnt(0)
	s_barrier
	s_and_saveexec_b64 s[0:1], vcc
	s_cbranch_execz .LBB324_29
; %bb.28:
	ds_read2_b32 v[2:3], v1 offset1:168
	s_waitcnt lgkmcnt(0)
	v_add_f32_e32 v2, v3, v2
	ds_write_b32 v1, v2
.LBB324_29:
	s_or_b64 exec, exec, s[0:1]
	s_movk_i32 s0, 0x54
	v_cmp_gt_u32_e32 vcc, s0, v0
	s_waitcnt lgkmcnt(0)
	s_barrier
	s_and_saveexec_b64 s[0:1], vcc
	s_cbranch_execz .LBB324_31
; %bb.30:
	ds_read2_b32 v[2:3], v1 offset1:84
	s_waitcnt lgkmcnt(0)
	v_add_f32_e32 v2, v3, v2
	ds_write_b32 v1, v2
.LBB324_31:
	s_or_b64 exec, exec, s[0:1]
	v_cmp_gt_u32_e32 vcc, 42, v0
	s_waitcnt lgkmcnt(0)
	s_barrier
	s_and_saveexec_b64 s[0:1], vcc
	s_cbranch_execz .LBB324_33
; %bb.32:
	ds_read2_b32 v[2:3], v1 offset1:42
	s_waitcnt lgkmcnt(0)
	v_add_f32_e32 v2, v3, v2
	ds_write_b32 v1, v2
.LBB324_33:
	s_or_b64 exec, exec, s[0:1]
	v_cmp_gt_u32_e32 vcc, 21, v0
	s_waitcnt lgkmcnt(0)
	s_and_saveexec_b64 s[0:1], vcc
	s_cbranch_execz .LBB324_35
; %bb.34:
	ds_read2_b32 v[2:3], v1 offset1:21
	s_waitcnt lgkmcnt(0)
	v_add_f32_e32 v7, v2, v3
.LBB324_35:
	s_or_b64 exec, exec, s[0:1]
	v_mov_b32_e32 v2, v7
.LBB324_36:
	v_cmp_gt_u32_e32 vcc, 21, v0
	s_and_saveexec_b64 s[0:1], vcc
	s_cbranch_execz .LBB324_40
; %bb.37:
	v_cmp_eq_f32_e64 s[0:1], s12, 0
	s_and_b64 vcc, exec, s[0:1]
	v_mul_f32_e32 v0, s14, v2
	s_mul_i32 s2, s7, 0x54
	s_mul_hi_u32 s3, s6, 0x54
	s_mul_i32 s4, s6, 0x54
	s_cbranch_vccz .LBB324_41
; %bb.38:
	s_add_i32 s1, s3, s2
	s_add_u32 s0, s16, s4
	s_addc_u32 s1, s17, s1
	global_store_dword v1, v0, s[0:1]
	s_cbranch_execnz .LBB324_40
.LBB324_39:
	s_add_i32 s3, s3, s2
	s_add_u32 s0, s16, s4
	s_addc_u32 s1, s17, s3
	global_load_dword v2, v1, s[0:1]
	s_waitcnt vmcnt(0)
	v_fmac_f32_e32 v0, s12, v2
	global_store_dword v1, v0, s[0:1]
.LBB324_40:
	s_endpgm
.LBB324_41:
	s_branch .LBB324_39
	.section	.rodata,"a",@progbits
	.p2align	6, 0x0
	.amdhsa_kernel _ZN9rocsparseL20bsrxmvn_17_32_kernelILj21EfllDF16_DF16_fEEvT2_20rocsparse_direction_NS_24const_host_device_scalarIT0_EES1_PKS1_PKT1_SA_S7_PKT3_PKT4_S5_PT5_21rocsparse_index_base_b
		.amdhsa_group_segment_fixed_size 1764
		.amdhsa_private_segment_fixed_size 0
		.amdhsa_kernarg_size 104
		.amdhsa_user_sgpr_count 6
		.amdhsa_user_sgpr_private_segment_buffer 1
		.amdhsa_user_sgpr_dispatch_ptr 0
		.amdhsa_user_sgpr_queue_ptr 0
		.amdhsa_user_sgpr_kernarg_segment_ptr 1
		.amdhsa_user_sgpr_dispatch_id 0
		.amdhsa_user_sgpr_flat_scratch_init 0
		.amdhsa_user_sgpr_private_segment_size 0
		.amdhsa_uses_dynamic_stack 0
		.amdhsa_system_sgpr_private_segment_wavefront_offset 0
		.amdhsa_system_sgpr_workgroup_id_x 1
		.amdhsa_system_sgpr_workgroup_id_y 0
		.amdhsa_system_sgpr_workgroup_id_z 0
		.amdhsa_system_sgpr_workgroup_info 0
		.amdhsa_system_vgpr_workitem_id 0
		.amdhsa_next_free_vgpr 13
		.amdhsa_next_free_sgpr 26
		.amdhsa_reserve_vcc 1
		.amdhsa_reserve_flat_scratch 0
		.amdhsa_float_round_mode_32 0
		.amdhsa_float_round_mode_16_64 0
		.amdhsa_float_denorm_mode_32 3
		.amdhsa_float_denorm_mode_16_64 3
		.amdhsa_dx10_clamp 1
		.amdhsa_ieee_mode 1
		.amdhsa_fp16_overflow 0
		.amdhsa_exception_fp_ieee_invalid_op 0
		.amdhsa_exception_fp_denorm_src 0
		.amdhsa_exception_fp_ieee_div_zero 0
		.amdhsa_exception_fp_ieee_overflow 0
		.amdhsa_exception_fp_ieee_underflow 0
		.amdhsa_exception_fp_ieee_inexact 0
		.amdhsa_exception_int_div_zero 0
	.end_amdhsa_kernel
	.section	.text._ZN9rocsparseL20bsrxmvn_17_32_kernelILj21EfllDF16_DF16_fEEvT2_20rocsparse_direction_NS_24const_host_device_scalarIT0_EES1_PKS1_PKT1_SA_S7_PKT3_PKT4_S5_PT5_21rocsparse_index_base_b,"axG",@progbits,_ZN9rocsparseL20bsrxmvn_17_32_kernelILj21EfllDF16_DF16_fEEvT2_20rocsparse_direction_NS_24const_host_device_scalarIT0_EES1_PKS1_PKT1_SA_S7_PKT3_PKT4_S5_PT5_21rocsparse_index_base_b,comdat
.Lfunc_end324:
	.size	_ZN9rocsparseL20bsrxmvn_17_32_kernelILj21EfllDF16_DF16_fEEvT2_20rocsparse_direction_NS_24const_host_device_scalarIT0_EES1_PKS1_PKT1_SA_S7_PKT3_PKT4_S5_PT5_21rocsparse_index_base_b, .Lfunc_end324-_ZN9rocsparseL20bsrxmvn_17_32_kernelILj21EfllDF16_DF16_fEEvT2_20rocsparse_direction_NS_24const_host_device_scalarIT0_EES1_PKS1_PKT1_SA_S7_PKT3_PKT4_S5_PT5_21rocsparse_index_base_b
                                        ; -- End function
	.set _ZN9rocsparseL20bsrxmvn_17_32_kernelILj21EfllDF16_DF16_fEEvT2_20rocsparse_direction_NS_24const_host_device_scalarIT0_EES1_PKS1_PKT1_SA_S7_PKT3_PKT4_S5_PT5_21rocsparse_index_base_b.num_vgpr, 13
	.set _ZN9rocsparseL20bsrxmvn_17_32_kernelILj21EfllDF16_DF16_fEEvT2_20rocsparse_direction_NS_24const_host_device_scalarIT0_EES1_PKS1_PKT1_SA_S7_PKT3_PKT4_S5_PT5_21rocsparse_index_base_b.num_agpr, 0
	.set _ZN9rocsparseL20bsrxmvn_17_32_kernelILj21EfllDF16_DF16_fEEvT2_20rocsparse_direction_NS_24const_host_device_scalarIT0_EES1_PKS1_PKT1_SA_S7_PKT3_PKT4_S5_PT5_21rocsparse_index_base_b.numbered_sgpr, 26
	.set _ZN9rocsparseL20bsrxmvn_17_32_kernelILj21EfllDF16_DF16_fEEvT2_20rocsparse_direction_NS_24const_host_device_scalarIT0_EES1_PKS1_PKT1_SA_S7_PKT3_PKT4_S5_PT5_21rocsparse_index_base_b.num_named_barrier, 0
	.set _ZN9rocsparseL20bsrxmvn_17_32_kernelILj21EfllDF16_DF16_fEEvT2_20rocsparse_direction_NS_24const_host_device_scalarIT0_EES1_PKS1_PKT1_SA_S7_PKT3_PKT4_S5_PT5_21rocsparse_index_base_b.private_seg_size, 0
	.set _ZN9rocsparseL20bsrxmvn_17_32_kernelILj21EfllDF16_DF16_fEEvT2_20rocsparse_direction_NS_24const_host_device_scalarIT0_EES1_PKS1_PKT1_SA_S7_PKT3_PKT4_S5_PT5_21rocsparse_index_base_b.uses_vcc, 1
	.set _ZN9rocsparseL20bsrxmvn_17_32_kernelILj21EfllDF16_DF16_fEEvT2_20rocsparse_direction_NS_24const_host_device_scalarIT0_EES1_PKS1_PKT1_SA_S7_PKT3_PKT4_S5_PT5_21rocsparse_index_base_b.uses_flat_scratch, 0
	.set _ZN9rocsparseL20bsrxmvn_17_32_kernelILj21EfllDF16_DF16_fEEvT2_20rocsparse_direction_NS_24const_host_device_scalarIT0_EES1_PKS1_PKT1_SA_S7_PKT3_PKT4_S5_PT5_21rocsparse_index_base_b.has_dyn_sized_stack, 0
	.set _ZN9rocsparseL20bsrxmvn_17_32_kernelILj21EfllDF16_DF16_fEEvT2_20rocsparse_direction_NS_24const_host_device_scalarIT0_EES1_PKS1_PKT1_SA_S7_PKT3_PKT4_S5_PT5_21rocsparse_index_base_b.has_recursion, 0
	.set _ZN9rocsparseL20bsrxmvn_17_32_kernelILj21EfllDF16_DF16_fEEvT2_20rocsparse_direction_NS_24const_host_device_scalarIT0_EES1_PKS1_PKT1_SA_S7_PKT3_PKT4_S5_PT5_21rocsparse_index_base_b.has_indirect_call, 0
	.section	.AMDGPU.csdata,"",@progbits
; Kernel info:
; codeLenInByte = 1316
; TotalNumSgprs: 30
; NumVgprs: 13
; ScratchSize: 0
; MemoryBound: 0
; FloatMode: 240
; IeeeMode: 1
; LDSByteSize: 1764 bytes/workgroup (compile time only)
; SGPRBlocks: 3
; VGPRBlocks: 3
; NumSGPRsForWavesPerEU: 30
; NumVGPRsForWavesPerEU: 13
; Occupancy: 10
; WaveLimiterHint : 1
; COMPUTE_PGM_RSRC2:SCRATCH_EN: 0
; COMPUTE_PGM_RSRC2:USER_SGPR: 6
; COMPUTE_PGM_RSRC2:TRAP_HANDLER: 0
; COMPUTE_PGM_RSRC2:TGID_X_EN: 1
; COMPUTE_PGM_RSRC2:TGID_Y_EN: 0
; COMPUTE_PGM_RSRC2:TGID_Z_EN: 0
; COMPUTE_PGM_RSRC2:TIDIG_COMP_CNT: 0
	.section	.text._ZN9rocsparseL20bsrxmvn_17_32_kernelILj22EfllDF16_DF16_fEEvT2_20rocsparse_direction_NS_24const_host_device_scalarIT0_EES1_PKS1_PKT1_SA_S7_PKT3_PKT4_S5_PT5_21rocsparse_index_base_b,"axG",@progbits,_ZN9rocsparseL20bsrxmvn_17_32_kernelILj22EfllDF16_DF16_fEEvT2_20rocsparse_direction_NS_24const_host_device_scalarIT0_EES1_PKS1_PKT1_SA_S7_PKT3_PKT4_S5_PT5_21rocsparse_index_base_b,comdat
	.globl	_ZN9rocsparseL20bsrxmvn_17_32_kernelILj22EfllDF16_DF16_fEEvT2_20rocsparse_direction_NS_24const_host_device_scalarIT0_EES1_PKS1_PKT1_SA_S7_PKT3_PKT4_S5_PT5_21rocsparse_index_base_b ; -- Begin function _ZN9rocsparseL20bsrxmvn_17_32_kernelILj22EfllDF16_DF16_fEEvT2_20rocsparse_direction_NS_24const_host_device_scalarIT0_EES1_PKS1_PKT1_SA_S7_PKT3_PKT4_S5_PT5_21rocsparse_index_base_b
	.p2align	8
	.type	_ZN9rocsparseL20bsrxmvn_17_32_kernelILj22EfllDF16_DF16_fEEvT2_20rocsparse_direction_NS_24const_host_device_scalarIT0_EES1_PKS1_PKT1_SA_S7_PKT3_PKT4_S5_PT5_21rocsparse_index_base_b,@function
_ZN9rocsparseL20bsrxmvn_17_32_kernelILj22EfllDF16_DF16_fEEvT2_20rocsparse_direction_NS_24const_host_device_scalarIT0_EES1_PKS1_PKT1_SA_S7_PKT3_PKT4_S5_PT5_21rocsparse_index_base_b: ; @_ZN9rocsparseL20bsrxmvn_17_32_kernelILj22EfllDF16_DF16_fEEvT2_20rocsparse_direction_NS_24const_host_device_scalarIT0_EES1_PKS1_PKT1_SA_S7_PKT3_PKT4_S5_PT5_21rocsparse_index_base_b
; %bb.0:
	s_load_dwordx2 s[18:19], s[4:5], 0x60
	s_load_dwordx2 s[14:15], s[4:5], 0x10
	;; [unrolled: 1-line block ×3, first 2 shown]
	s_waitcnt lgkmcnt(0)
	s_bitcmp1_b32 s19, 0
	s_cselect_b64 s[2:3], -1, 0
	s_xor_b64 s[0:1], s[2:3], -1
	s_and_b64 vcc, exec, s[2:3]
	s_cbranch_vccnz .LBB325_2
; %bb.1:
	s_load_dword s14, s[14:15], 0x0
.LBB325_2:
	s_andn2_b64 vcc, exec, s[0:1]
	s_cbranch_vccnz .LBB325_4
; %bb.3:
	s_load_dword s12, s[12:13], 0x0
.LBB325_4:
	s_waitcnt lgkmcnt(0)
	v_cmp_neq_f32_e64 s[0:1], s14, 0
	v_cmp_neq_f32_e64 s[2:3], s12, 1.0
	s_or_b64 s[0:1], s[0:1], s[2:3]
	s_andn2_b64 vcc, exec, s[0:1]
	s_mov_b32 s7, 0
	s_cbranch_vccnz .LBB325_40
; %bb.5:
	s_load_dwordx4 s[0:3], s[4:5], 0x20
	s_load_dwordx2 s[8:9], s[4:5], 0x30
	s_waitcnt lgkmcnt(0)
	s_cmp_eq_u64 s[0:1], 0
	s_cbranch_scc1 .LBB325_7
; %bb.6:
	s_lshl_b64 s[6:7], s[6:7], 3
	s_add_u32 s0, s0, s6
	s_addc_u32 s1, s1, s7
	s_load_dwordx2 s[0:1], s[0:1], 0x0
	s_waitcnt lgkmcnt(0)
	s_sub_u32 s6, s0, s18
	s_subb_u32 s7, s1, 0
.LBB325_7:
	s_load_dword s10, s[4:5], 0x8
	s_load_dwordx2 s[16:17], s[4:5], 0x58
	v_mul_u32_u24_e32 v1, 0xba3, v0
	v_mov_b32_e32 v2, 22
	v_mul_lo_u16_sdwa v3, v1, v2 dst_sel:DWORD dst_unused:UNUSED_PAD src0_sel:WORD_1 src1_sel:DWORD
	s_waitcnt lgkmcnt(0)
	s_cmp_eq_u32 s10, 1
	s_cselect_b64 s[0:1], -1, 0
	s_cmp_lg_u32 s10, 1
	s_cselect_b64 s[20:21], -1, 0
	s_lshl_b64 s[10:11], s[6:7], 3
	s_add_u32 s24, s2, s10
	s_addc_u32 s25, s3, s11
	s_add_u32 s2, s24, 8
	s_addc_u32 s3, s25, 0
	;; [unrolled: 2-line block ×3, first 2 shown]
	s_cmp_eq_u64 s[8:9], 0
	s_cselect_b32 s9, s3, s11
	s_cselect_b32 s8, s2, s10
	s_load_dwordx2 s[2:3], s[8:9], 0x0
	s_load_dwordx2 s[22:23], s[24:25], 0x0
	v_sub_u16_e32 v8, v0, v3
	v_mov_b32_e32 v7, 0
	s_waitcnt lgkmcnt(0)
	v_mov_b32_e32 v4, s3
	v_mov_b32_e32 v3, s2
	v_cmp_ge_i64_e32 vcc, s[22:23], v[3:4]
	s_cbranch_vccnz .LBB325_12
; %bb.8:
	v_mov_b32_e32 v3, 12
	v_mul_lo_u16_sdwa v3, v1, v3 dst_sel:DWORD dst_unused:UNUSED_PAD src0_sel:WORD_1 src1_sel:DWORD
	s_load_dwordx4 s[8:11], s[4:5], 0x38
	s_load_dwordx2 s[24:25], s[4:5], 0x48
	v_mul_lo_u16_sdwa v2, v3, v2 dst_sel:DWORD dst_unused:UNUSED_PAD src0_sel:BYTE_1 src1_sel:DWORD
	s_sub_u32 s2, s2, s18
	v_sub_u16_sdwa v1, v1, v2 dst_sel:DWORD dst_unused:UNUSED_PAD src0_sel:WORD_1 src1_sel:DWORD
	s_subb_u32 s3, s3, 0
	v_and_b32_e32 v1, 0xff, v1
	s_sub_u32 s4, s22, s18
	v_cndmask_b32_e64 v1, v8, v1, s[0:1]
	s_subb_u32 s5, s23, 0
	v_lshlrev_b32_e32 v1, 1, v1
	s_mul_i32 s0, s5, 0x3c8
	s_mul_hi_u32 s1, s4, 0x3c8
	s_waitcnt lgkmcnt(0)
	v_mov_b32_e32 v2, s25
	v_add_co_u32_e32 v1, vcc, s24, v1
	s_add_i32 s1, s1, s0
	s_mul_i32 s0, s4, 0x3c8
	v_addc_co_u32_e32 v2, vcc, 0, v2, vcc
	s_add_u32 s0, s10, s0
	v_lshlrev_b32_e32 v3, 1, v0
	s_addc_u32 s1, s11, s1
	v_add_co_u32_e32 v3, vcc, s0, v3
	s_movk_i32 s0, 0x10f
	v_mov_b32_e32 v4, s1
	v_mul_u32_u24_sdwa v5, v0, s0 dst_sel:DWORD dst_unused:UNUSED_PAD src0_sel:WORD_0 src1_sel:DWORD
	v_addc_co_u32_e32 v4, vcc, 0, v4, vcc
	v_lshrrev_b32_e32 v9, 17, v5
	v_mov_b32_e32 v5, s23
	v_add_co_u32_e32 v6, vcc, s22, v9
	v_addc_co_u32_e32 v10, vcc, 0, v5, vcc
	v_subrev_co_u32_e32 v5, vcc, s18, v6
	v_subbrev_co_u32_e32 v6, vcc, 0, v10, vcc
	v_lshlrev_b64 v[5:6], 3, v[5:6]
	v_mov_b32_e32 v10, s9
	v_add_co_u32_e32 v5, vcc, s8, v5
	v_mov_b32_e32 v7, 0
	v_addc_co_u32_e32 v6, vcc, v10, v6, vcc
	s_branch .LBB325_10
.LBB325_9:                              ;   in Loop: Header=BB325_10 Depth=1
	s_or_b64 exec, exec, s[0:1]
	s_add_u32 s4, s4, 1
	v_mov_b32_e32 v11, s3
	s_addc_u32 s5, s5, 0
	v_mov_b32_e32 v10, s2
	v_cmp_lt_i64_e32 vcc, s[4:5], v[10:11]
	v_add_co_u32_e64 v5, s[0:1], 8, v5
	v_addc_co_u32_e64 v6, s[0:1], 0, v6, s[0:1]
	s_cbranch_vccz .LBB325_12
.LBB325_10:                             ; =>This Inner Loop Header: Depth=1
	v_mov_b32_e32 v11, s5
	v_add_co_u32_e32 v10, vcc, s4, v9
	v_addc_co_u32_e32 v11, vcc, 0, v11, vcc
	v_cmp_gt_i64_e32 vcc, s[2:3], v[10:11]
	s_and_saveexec_b64 s[0:1], vcc
	s_cbranch_execz .LBB325_9
; %bb.11:                               ;   in Loop: Header=BB325_10 Depth=1
	global_load_dwordx2 v[10:11], v[5:6], off
	s_waitcnt vmcnt(0)
	v_subrev_co_u32_e32 v10, vcc, s18, v10
	v_subbrev_co_u32_e32 v12, vcc, 0, v11, vcc
	v_mad_u64_u32 v[10:11], s[8:9], v10, 44, v[1:2]
	v_mad_u64_u32 v[11:12], s[8:9], v12, 44, v[11:12]
	global_load_ushort v12, v[3:4], off
	s_nop 0
	global_load_ushort v10, v[10:11], off
	v_add_co_u32_e32 v3, vcc, 0x3c8, v3
	v_addc_co_u32_e32 v4, vcc, 0, v4, vcc
	s_waitcnt vmcnt(0)
	v_fma_mix_f32 v7, v12, v10, v7 op_sel_hi:[1,1,0]
	s_branch .LBB325_9
.LBB325_12:
	v_lshlrev_b32_e32 v1, 2, v0
	s_and_b64 vcc, exec, s[20:21]
	ds_write_b32 v1, v7
	s_waitcnt lgkmcnt(0)
	s_barrier
	s_cbranch_vccz .LBB325_24
; %bb.13:
	v_cmp_gt_u16_e32 vcc, 6, v8
	s_and_saveexec_b64 s[0:1], vcc
	s_cbranch_execz .LBB325_15
; %bb.14:
	ds_read2_b32 v[2:3], v1 offset1:16
	s_waitcnt lgkmcnt(0)
	v_add_f32_e32 v2, v3, v2
	ds_write_b32 v1, v2
.LBB325_15:
	s_or_b64 exec, exec, s[0:1]
	v_cmp_gt_u16_e32 vcc, 8, v8
	s_waitcnt lgkmcnt(0)
	s_barrier
	s_and_saveexec_b64 s[0:1], vcc
	s_cbranch_execz .LBB325_17
; %bb.16:
	ds_read2_b32 v[2:3], v1 offset1:8
	s_waitcnt lgkmcnt(0)
	v_add_f32_e32 v2, v3, v2
	ds_write_b32 v1, v2
.LBB325_17:
	s_or_b64 exec, exec, s[0:1]
	v_cmp_gt_u16_e32 vcc, 4, v8
	s_waitcnt lgkmcnt(0)
	s_barrier
	;; [unrolled: 12-line block ×3, first 2 shown]
	s_and_saveexec_b64 s[0:1], vcc
	s_cbranch_execz .LBB325_21
; %bb.20:
	ds_read2_b32 v[2:3], v1 offset1:2
	s_waitcnt lgkmcnt(0)
	v_add_f32_e32 v2, v3, v2
	ds_write_b32 v1, v2
.LBB325_21:
	s_or_b64 exec, exec, s[0:1]
	v_cmp_gt_u32_e32 vcc, 22, v0
	v_mov_b32_e32 v2, v7
	s_waitcnt lgkmcnt(0)
	s_barrier
	s_and_saveexec_b64 s[0:1], vcc
	s_cbranch_execz .LBB325_23
; %bb.22:
	s_movk_i32 s2, 0x54
	v_mad_u32_u24 v2, v0, s2, v1
	ds_read_b64 v[2:3], v2
	s_waitcnt lgkmcnt(0)
	v_add_f32_e32 v2, v2, v3
.LBB325_23:
	s_or_b64 exec, exec, s[0:1]
	s_branch .LBB325_36
.LBB325_24:
                                        ; implicit-def: $vgpr2
	s_cbranch_execz .LBB325_36
; %bb.25:
	s_movk_i32 s0, 0x84
	v_cmp_gt_u32_e32 vcc, s0, v0
	s_and_saveexec_b64 s[0:1], vcc
	s_cbranch_execz .LBB325_27
; %bb.26:
	ds_read_b32 v2, v1 offset:1408
	ds_read_b32 v3, v1
	s_waitcnt lgkmcnt(0)
	v_add_f32_e32 v2, v2, v3
	ds_write_b32 v1, v2
.LBB325_27:
	s_or_b64 exec, exec, s[0:1]
	s_movk_i32 s0, 0xb0
	v_cmp_gt_u32_e32 vcc, s0, v0
	s_waitcnt lgkmcnt(0)
	s_barrier
	s_and_saveexec_b64 s[0:1], vcc
	s_cbranch_execz .LBB325_29
; %bb.28:
	ds_read2_b32 v[2:3], v1 offset1:176
	s_waitcnt lgkmcnt(0)
	v_add_f32_e32 v2, v3, v2
	ds_write_b32 v1, v2
.LBB325_29:
	s_or_b64 exec, exec, s[0:1]
	s_movk_i32 s0, 0x58
	v_cmp_gt_u32_e32 vcc, s0, v0
	s_waitcnt lgkmcnt(0)
	s_barrier
	s_and_saveexec_b64 s[0:1], vcc
	s_cbranch_execz .LBB325_31
; %bb.30:
	ds_read2_b32 v[2:3], v1 offset1:88
	s_waitcnt lgkmcnt(0)
	v_add_f32_e32 v2, v3, v2
	ds_write_b32 v1, v2
.LBB325_31:
	s_or_b64 exec, exec, s[0:1]
	v_cmp_gt_u32_e32 vcc, 44, v0
	s_waitcnt lgkmcnt(0)
	s_barrier
	s_and_saveexec_b64 s[0:1], vcc
	s_cbranch_execz .LBB325_33
; %bb.32:
	ds_read2_b32 v[2:3], v1 offset1:44
	s_waitcnt lgkmcnt(0)
	v_add_f32_e32 v2, v3, v2
	ds_write_b32 v1, v2
.LBB325_33:
	s_or_b64 exec, exec, s[0:1]
	v_cmp_gt_u32_e32 vcc, 22, v0
	s_waitcnt lgkmcnt(0)
	s_and_saveexec_b64 s[0:1], vcc
	s_cbranch_execz .LBB325_35
; %bb.34:
	ds_read2_b32 v[2:3], v1 offset1:22
	s_waitcnt lgkmcnt(0)
	v_add_f32_e32 v7, v2, v3
.LBB325_35:
	s_or_b64 exec, exec, s[0:1]
	v_mov_b32_e32 v2, v7
.LBB325_36:
	v_cmp_gt_u32_e32 vcc, 22, v0
	s_and_saveexec_b64 s[0:1], vcc
	s_cbranch_execz .LBB325_40
; %bb.37:
	v_cmp_eq_f32_e64 s[0:1], s12, 0
	s_and_b64 vcc, exec, s[0:1]
	v_mul_f32_e32 v0, s14, v2
	s_mul_i32 s2, s7, 0x58
	s_mul_hi_u32 s3, s6, 0x58
	s_mul_i32 s4, s6, 0x58
	s_cbranch_vccz .LBB325_41
; %bb.38:
	s_add_i32 s1, s3, s2
	s_add_u32 s0, s16, s4
	s_addc_u32 s1, s17, s1
	global_store_dword v1, v0, s[0:1]
	s_cbranch_execnz .LBB325_40
.LBB325_39:
	s_add_i32 s3, s3, s2
	s_add_u32 s0, s16, s4
	s_addc_u32 s1, s17, s3
	global_load_dword v2, v1, s[0:1]
	s_waitcnt vmcnt(0)
	v_fmac_f32_e32 v0, s12, v2
	global_store_dword v1, v0, s[0:1]
.LBB325_40:
	s_endpgm
.LBB325_41:
	s_branch .LBB325_39
	.section	.rodata,"a",@progbits
	.p2align	6, 0x0
	.amdhsa_kernel _ZN9rocsparseL20bsrxmvn_17_32_kernelILj22EfllDF16_DF16_fEEvT2_20rocsparse_direction_NS_24const_host_device_scalarIT0_EES1_PKS1_PKT1_SA_S7_PKT3_PKT4_S5_PT5_21rocsparse_index_base_b
		.amdhsa_group_segment_fixed_size 1936
		.amdhsa_private_segment_fixed_size 0
		.amdhsa_kernarg_size 104
		.amdhsa_user_sgpr_count 6
		.amdhsa_user_sgpr_private_segment_buffer 1
		.amdhsa_user_sgpr_dispatch_ptr 0
		.amdhsa_user_sgpr_queue_ptr 0
		.amdhsa_user_sgpr_kernarg_segment_ptr 1
		.amdhsa_user_sgpr_dispatch_id 0
		.amdhsa_user_sgpr_flat_scratch_init 0
		.amdhsa_user_sgpr_private_segment_size 0
		.amdhsa_uses_dynamic_stack 0
		.amdhsa_system_sgpr_private_segment_wavefront_offset 0
		.amdhsa_system_sgpr_workgroup_id_x 1
		.amdhsa_system_sgpr_workgroup_id_y 0
		.amdhsa_system_sgpr_workgroup_id_z 0
		.amdhsa_system_sgpr_workgroup_info 0
		.amdhsa_system_vgpr_workitem_id 0
		.amdhsa_next_free_vgpr 13
		.amdhsa_next_free_sgpr 26
		.amdhsa_reserve_vcc 1
		.amdhsa_reserve_flat_scratch 0
		.amdhsa_float_round_mode_32 0
		.amdhsa_float_round_mode_16_64 0
		.amdhsa_float_denorm_mode_32 3
		.amdhsa_float_denorm_mode_16_64 3
		.amdhsa_dx10_clamp 1
		.amdhsa_ieee_mode 1
		.amdhsa_fp16_overflow 0
		.amdhsa_exception_fp_ieee_invalid_op 0
		.amdhsa_exception_fp_denorm_src 0
		.amdhsa_exception_fp_ieee_div_zero 0
		.amdhsa_exception_fp_ieee_overflow 0
		.amdhsa_exception_fp_ieee_underflow 0
		.amdhsa_exception_fp_ieee_inexact 0
		.amdhsa_exception_int_div_zero 0
	.end_amdhsa_kernel
	.section	.text._ZN9rocsparseL20bsrxmvn_17_32_kernelILj22EfllDF16_DF16_fEEvT2_20rocsparse_direction_NS_24const_host_device_scalarIT0_EES1_PKS1_PKT1_SA_S7_PKT3_PKT4_S5_PT5_21rocsparse_index_base_b,"axG",@progbits,_ZN9rocsparseL20bsrxmvn_17_32_kernelILj22EfllDF16_DF16_fEEvT2_20rocsparse_direction_NS_24const_host_device_scalarIT0_EES1_PKS1_PKT1_SA_S7_PKT3_PKT4_S5_PT5_21rocsparse_index_base_b,comdat
.Lfunc_end325:
	.size	_ZN9rocsparseL20bsrxmvn_17_32_kernelILj22EfllDF16_DF16_fEEvT2_20rocsparse_direction_NS_24const_host_device_scalarIT0_EES1_PKS1_PKT1_SA_S7_PKT3_PKT4_S5_PT5_21rocsparse_index_base_b, .Lfunc_end325-_ZN9rocsparseL20bsrxmvn_17_32_kernelILj22EfllDF16_DF16_fEEvT2_20rocsparse_direction_NS_24const_host_device_scalarIT0_EES1_PKS1_PKT1_SA_S7_PKT3_PKT4_S5_PT5_21rocsparse_index_base_b
                                        ; -- End function
	.set _ZN9rocsparseL20bsrxmvn_17_32_kernelILj22EfllDF16_DF16_fEEvT2_20rocsparse_direction_NS_24const_host_device_scalarIT0_EES1_PKS1_PKT1_SA_S7_PKT3_PKT4_S5_PT5_21rocsparse_index_base_b.num_vgpr, 13
	.set _ZN9rocsparseL20bsrxmvn_17_32_kernelILj22EfllDF16_DF16_fEEvT2_20rocsparse_direction_NS_24const_host_device_scalarIT0_EES1_PKS1_PKT1_SA_S7_PKT3_PKT4_S5_PT5_21rocsparse_index_base_b.num_agpr, 0
	.set _ZN9rocsparseL20bsrxmvn_17_32_kernelILj22EfllDF16_DF16_fEEvT2_20rocsparse_direction_NS_24const_host_device_scalarIT0_EES1_PKS1_PKT1_SA_S7_PKT3_PKT4_S5_PT5_21rocsparse_index_base_b.numbered_sgpr, 26
	.set _ZN9rocsparseL20bsrxmvn_17_32_kernelILj22EfllDF16_DF16_fEEvT2_20rocsparse_direction_NS_24const_host_device_scalarIT0_EES1_PKS1_PKT1_SA_S7_PKT3_PKT4_S5_PT5_21rocsparse_index_base_b.num_named_barrier, 0
	.set _ZN9rocsparseL20bsrxmvn_17_32_kernelILj22EfllDF16_DF16_fEEvT2_20rocsparse_direction_NS_24const_host_device_scalarIT0_EES1_PKS1_PKT1_SA_S7_PKT3_PKT4_S5_PT5_21rocsparse_index_base_b.private_seg_size, 0
	.set _ZN9rocsparseL20bsrxmvn_17_32_kernelILj22EfllDF16_DF16_fEEvT2_20rocsparse_direction_NS_24const_host_device_scalarIT0_EES1_PKS1_PKT1_SA_S7_PKT3_PKT4_S5_PT5_21rocsparse_index_base_b.uses_vcc, 1
	.set _ZN9rocsparseL20bsrxmvn_17_32_kernelILj22EfllDF16_DF16_fEEvT2_20rocsparse_direction_NS_24const_host_device_scalarIT0_EES1_PKS1_PKT1_SA_S7_PKT3_PKT4_S5_PT5_21rocsparse_index_base_b.uses_flat_scratch, 0
	.set _ZN9rocsparseL20bsrxmvn_17_32_kernelILj22EfllDF16_DF16_fEEvT2_20rocsparse_direction_NS_24const_host_device_scalarIT0_EES1_PKS1_PKT1_SA_S7_PKT3_PKT4_S5_PT5_21rocsparse_index_base_b.has_dyn_sized_stack, 0
	.set _ZN9rocsparseL20bsrxmvn_17_32_kernelILj22EfllDF16_DF16_fEEvT2_20rocsparse_direction_NS_24const_host_device_scalarIT0_EES1_PKS1_PKT1_SA_S7_PKT3_PKT4_S5_PT5_21rocsparse_index_base_b.has_recursion, 0
	.set _ZN9rocsparseL20bsrxmvn_17_32_kernelILj22EfllDF16_DF16_fEEvT2_20rocsparse_direction_NS_24const_host_device_scalarIT0_EES1_PKS1_PKT1_SA_S7_PKT3_PKT4_S5_PT5_21rocsparse_index_base_b.has_indirect_call, 0
	.section	.AMDGPU.csdata,"",@progbits
; Kernel info:
; codeLenInByte = 1316
; TotalNumSgprs: 30
; NumVgprs: 13
; ScratchSize: 0
; MemoryBound: 0
; FloatMode: 240
; IeeeMode: 1
; LDSByteSize: 1936 bytes/workgroup (compile time only)
; SGPRBlocks: 3
; VGPRBlocks: 3
; NumSGPRsForWavesPerEU: 30
; NumVGPRsForWavesPerEU: 13
; Occupancy: 10
; WaveLimiterHint : 1
; COMPUTE_PGM_RSRC2:SCRATCH_EN: 0
; COMPUTE_PGM_RSRC2:USER_SGPR: 6
; COMPUTE_PGM_RSRC2:TRAP_HANDLER: 0
; COMPUTE_PGM_RSRC2:TGID_X_EN: 1
; COMPUTE_PGM_RSRC2:TGID_Y_EN: 0
; COMPUTE_PGM_RSRC2:TGID_Z_EN: 0
; COMPUTE_PGM_RSRC2:TIDIG_COMP_CNT: 0
	.section	.text._ZN9rocsparseL20bsrxmvn_17_32_kernelILj23EfllDF16_DF16_fEEvT2_20rocsparse_direction_NS_24const_host_device_scalarIT0_EES1_PKS1_PKT1_SA_S7_PKT3_PKT4_S5_PT5_21rocsparse_index_base_b,"axG",@progbits,_ZN9rocsparseL20bsrxmvn_17_32_kernelILj23EfllDF16_DF16_fEEvT2_20rocsparse_direction_NS_24const_host_device_scalarIT0_EES1_PKS1_PKT1_SA_S7_PKT3_PKT4_S5_PT5_21rocsparse_index_base_b,comdat
	.globl	_ZN9rocsparseL20bsrxmvn_17_32_kernelILj23EfllDF16_DF16_fEEvT2_20rocsparse_direction_NS_24const_host_device_scalarIT0_EES1_PKS1_PKT1_SA_S7_PKT3_PKT4_S5_PT5_21rocsparse_index_base_b ; -- Begin function _ZN9rocsparseL20bsrxmvn_17_32_kernelILj23EfllDF16_DF16_fEEvT2_20rocsparse_direction_NS_24const_host_device_scalarIT0_EES1_PKS1_PKT1_SA_S7_PKT3_PKT4_S5_PT5_21rocsparse_index_base_b
	.p2align	8
	.type	_ZN9rocsparseL20bsrxmvn_17_32_kernelILj23EfllDF16_DF16_fEEvT2_20rocsparse_direction_NS_24const_host_device_scalarIT0_EES1_PKS1_PKT1_SA_S7_PKT3_PKT4_S5_PT5_21rocsparse_index_base_b,@function
_ZN9rocsparseL20bsrxmvn_17_32_kernelILj23EfllDF16_DF16_fEEvT2_20rocsparse_direction_NS_24const_host_device_scalarIT0_EES1_PKS1_PKT1_SA_S7_PKT3_PKT4_S5_PT5_21rocsparse_index_base_b: ; @_ZN9rocsparseL20bsrxmvn_17_32_kernelILj23EfllDF16_DF16_fEEvT2_20rocsparse_direction_NS_24const_host_device_scalarIT0_EES1_PKS1_PKT1_SA_S7_PKT3_PKT4_S5_PT5_21rocsparse_index_base_b
; %bb.0:
	s_load_dwordx2 s[18:19], s[4:5], 0x60
	s_load_dwordx2 s[14:15], s[4:5], 0x10
	;; [unrolled: 1-line block ×3, first 2 shown]
	s_waitcnt lgkmcnt(0)
	s_bitcmp1_b32 s19, 0
	s_cselect_b64 s[2:3], -1, 0
	s_xor_b64 s[0:1], s[2:3], -1
	s_and_b64 vcc, exec, s[2:3]
	s_cbranch_vccnz .LBB326_2
; %bb.1:
	s_load_dword s14, s[14:15], 0x0
.LBB326_2:
	s_andn2_b64 vcc, exec, s[0:1]
	s_cbranch_vccnz .LBB326_4
; %bb.3:
	s_load_dword s12, s[12:13], 0x0
.LBB326_4:
	s_waitcnt lgkmcnt(0)
	v_cmp_neq_f32_e64 s[0:1], s14, 0
	v_cmp_neq_f32_e64 s[2:3], s12, 1.0
	s_or_b64 s[0:1], s[0:1], s[2:3]
	s_andn2_b64 vcc, exec, s[0:1]
	s_mov_b32 s7, 0
	s_cbranch_vccnz .LBB326_40
; %bb.5:
	s_load_dwordx4 s[0:3], s[4:5], 0x20
	s_load_dwordx2 s[8:9], s[4:5], 0x30
	s_waitcnt lgkmcnt(0)
	s_cmp_eq_u64 s[0:1], 0
	s_cbranch_scc1 .LBB326_7
; %bb.6:
	s_lshl_b64 s[6:7], s[6:7], 3
	s_add_u32 s0, s0, s6
	s_addc_u32 s1, s1, s7
	s_load_dwordx2 s[0:1], s[0:1], 0x0
	s_waitcnt lgkmcnt(0)
	s_sub_u32 s6, s0, s18
	s_subb_u32 s7, s1, 0
.LBB326_7:
	s_load_dword s10, s[4:5], 0x8
	s_load_dwordx2 s[16:17], s[4:5], 0x58
	v_mul_u32_u24_e32 v1, 0xb22, v0
	v_mov_b32_e32 v2, 23
	v_mul_lo_u16_sdwa v2, v1, v2 dst_sel:DWORD dst_unused:UNUSED_PAD src0_sel:WORD_1 src1_sel:DWORD
	s_waitcnt lgkmcnt(0)
	s_cmp_eq_u32 s10, 1
	s_cselect_b64 s[0:1], -1, 0
	s_cmp_lg_u32 s10, 1
	s_cselect_b64 s[20:21], -1, 0
	s_lshl_b64 s[10:11], s[6:7], 3
	s_add_u32 s24, s2, s10
	s_addc_u32 s25, s3, s11
	s_add_u32 s2, s24, 8
	s_addc_u32 s3, s25, 0
	;; [unrolled: 2-line block ×3, first 2 shown]
	s_cmp_eq_u64 s[8:9], 0
	s_cselect_b32 s9, s3, s11
	s_cselect_b32 s8, s2, s10
	s_load_dwordx2 s[2:3], s[8:9], 0x0
	s_load_dwordx2 s[22:23], s[24:25], 0x0
	v_sub_u16_e32 v9, v0, v2
	s_waitcnt lgkmcnt(0)
	v_mov_b32_e32 v2, s2
	v_mov_b32_e32 v3, s3
	v_cmp_ge_i64_e32 vcc, s[22:23], v[2:3]
	v_mov_b32_e32 v2, 0
	s_cbranch_vccnz .LBB326_12
; %bb.8:
	s_load_dwordx4 s[8:11], s[4:5], 0x38
	s_load_dwordx2 s[24:25], s[4:5], 0x48
	s_mov_b32 s4, 0xffff
	s_movk_i32 s5, 0x211
	v_and_b32_sdwa v1, s4, v1 dst_sel:DWORD dst_unused:UNUSED_PAD src0_sel:DWORD src1_sel:WORD_1
	s_sub_u32 s2, s2, s18
	v_subrev_u32_e32 v2, 23, v1
	v_cmp_gt_u32_e32 vcc, s5, v0
	s_subb_u32 s3, s3, 0
	v_cndmask_b32_e32 v1, v2, v1, vcc
	s_sub_u32 s4, s22, s18
	v_cndmask_b32_e64 v1, v9, v1, s[0:1]
	v_mov_b32_e32 v2, 0
	s_subb_u32 s5, s23, 0
	v_lshlrev_b64 v[3:4], 1, v[1:2]
	s_mul_i32 s0, s5, 0x422
	s_mul_hi_u32 s1, s4, 0x422
	s_add_i32 s1, s1, s0
	s_mul_i32 s0, s4, 0x422
	s_waitcnt lgkmcnt(0)
	v_mov_b32_e32 v1, s25
	v_add_co_u32_e32 v3, vcc, s24, v3
	s_add_u32 s0, s10, s0
	v_addc_co_u32_e32 v4, vcc, v1, v4, vcc
	s_addc_u32 s1, s11, s1
	v_lshlrev_b32_e32 v1, 1, v0
	v_mov_b32_e32 v6, s1
	v_add_co_u32_e32 v5, vcc, s0, v1
	v_addc_co_u32_e32 v6, vcc, 0, v6, vcc
	s_movk_i32 s0, 0x210
	v_cmp_lt_u32_e32 vcc, s0, v0
	v_cndmask_b32_e64 v1, 0, 1, vcc
	v_mov_b32_e32 v7, s23
	v_add_co_u32_e32 v8, vcc, s22, v1
	v_addc_co_u32_e32 v10, vcc, 0, v7, vcc
	v_subrev_co_u32_e32 v7, vcc, s18, v8
	v_subbrev_co_u32_e32 v8, vcc, 0, v10, vcc
	v_lshlrev_b64 v[7:8], 3, v[7:8]
	v_mov_b32_e32 v10, s9
	v_add_co_u32_e32 v7, vcc, s8, v7
	v_addc_co_u32_e32 v8, vcc, v10, v8, vcc
	s_branch .LBB326_10
.LBB326_9:                              ;   in Loop: Header=BB326_10 Depth=1
	s_or_b64 exec, exec, s[0:1]
	s_add_u32 s4, s4, 1
	v_mov_b32_e32 v11, s3
	s_addc_u32 s5, s5, 0
	v_mov_b32_e32 v10, s2
	v_cmp_lt_i64_e32 vcc, s[4:5], v[10:11]
	v_add_co_u32_e64 v7, s[0:1], 8, v7
	v_addc_co_u32_e64 v8, s[0:1], 0, v8, s[0:1]
	s_cbranch_vccz .LBB326_12
.LBB326_10:                             ; =>This Inner Loop Header: Depth=1
	v_mov_b32_e32 v11, s5
	v_add_co_u32_e32 v10, vcc, s4, v1
	v_addc_co_u32_e32 v11, vcc, 0, v11, vcc
	v_cmp_gt_i64_e32 vcc, s[2:3], v[10:11]
	s_and_saveexec_b64 s[0:1], vcc
	s_cbranch_execz .LBB326_9
; %bb.11:                               ;   in Loop: Header=BB326_10 Depth=1
	global_load_dwordx2 v[10:11], v[7:8], off
	s_waitcnt vmcnt(0)
	v_subrev_co_u32_e32 v10, vcc, s18, v10
	v_subbrev_co_u32_e32 v12, vcc, 0, v11, vcc
	v_mad_u64_u32 v[10:11], s[8:9], v10, 46, v[3:4]
	v_mad_u64_u32 v[11:12], s[8:9], v12, 46, v[11:12]
	global_load_ushort v12, v[5:6], off
	s_nop 0
	global_load_ushort v10, v[10:11], off
	v_add_co_u32_e32 v5, vcc, 0x422, v5
	v_addc_co_u32_e32 v6, vcc, 0, v6, vcc
	s_waitcnt vmcnt(0)
	v_fma_mix_f32 v2, v12, v10, v2 op_sel_hi:[1,1,0]
	s_branch .LBB326_9
.LBB326_12:
	v_lshlrev_b32_e32 v1, 2, v0
	s_and_b64 vcc, exec, s[20:21]
	ds_write_b32 v1, v2
	s_waitcnt lgkmcnt(0)
	s_barrier
	s_cbranch_vccz .LBB326_24
; %bb.13:
	v_cmp_gt_u16_e32 vcc, 7, v9
	s_and_saveexec_b64 s[0:1], vcc
	s_cbranch_execz .LBB326_15
; %bb.14:
	ds_read2_b32 v[3:4], v1 offset1:16
	s_waitcnt lgkmcnt(0)
	v_add_f32_e32 v3, v4, v3
	ds_write_b32 v1, v3
.LBB326_15:
	s_or_b64 exec, exec, s[0:1]
	v_cmp_gt_u16_e32 vcc, 8, v9
	s_waitcnt lgkmcnt(0)
	s_barrier
	s_and_saveexec_b64 s[0:1], vcc
	s_cbranch_execz .LBB326_17
; %bb.16:
	ds_read2_b32 v[3:4], v1 offset1:8
	s_waitcnt lgkmcnt(0)
	v_add_f32_e32 v3, v4, v3
	ds_write_b32 v1, v3
.LBB326_17:
	s_or_b64 exec, exec, s[0:1]
	v_cmp_gt_u16_e32 vcc, 4, v9
	s_waitcnt lgkmcnt(0)
	s_barrier
	;; [unrolled: 12-line block ×3, first 2 shown]
	s_and_saveexec_b64 s[0:1], vcc
	s_cbranch_execz .LBB326_21
; %bb.20:
	ds_read2_b32 v[3:4], v1 offset1:2
	s_waitcnt lgkmcnt(0)
	v_add_f32_e32 v3, v4, v3
	ds_write_b32 v1, v3
.LBB326_21:
	s_or_b64 exec, exec, s[0:1]
	v_cmp_gt_u32_e32 vcc, 23, v0
	v_mov_b32_e32 v3, v2
	s_waitcnt lgkmcnt(0)
	s_barrier
	s_and_saveexec_b64 s[0:1], vcc
	s_cbranch_execz .LBB326_23
; %bb.22:
	s_movk_i32 s2, 0x58
	v_mad_u32_u24 v3, v0, s2, v1
	ds_read2_b32 v[3:4], v3 offset1:1
	s_waitcnt lgkmcnt(0)
	v_add_f32_e32 v3, v3, v4
.LBB326_23:
	s_or_b64 exec, exec, s[0:1]
	s_branch .LBB326_36
.LBB326_24:
                                        ; implicit-def: $vgpr3
	s_cbranch_execz .LBB326_36
; %bb.25:
	s_movk_i32 s0, 0xa1
	v_cmp_gt_u32_e32 vcc, s0, v0
	s_and_saveexec_b64 s[0:1], vcc
	s_cbranch_execz .LBB326_27
; %bb.26:
	ds_read_b32 v3, v1 offset:1472
	ds_read_b32 v4, v1
	s_waitcnt lgkmcnt(0)
	v_add_f32_e32 v3, v3, v4
	ds_write_b32 v1, v3
.LBB326_27:
	s_or_b64 exec, exec, s[0:1]
	s_movk_i32 s0, 0xb8
	v_cmp_gt_u32_e32 vcc, s0, v0
	s_waitcnt lgkmcnt(0)
	s_barrier
	s_and_saveexec_b64 s[0:1], vcc
	s_cbranch_execz .LBB326_29
; %bb.28:
	ds_read2_b32 v[3:4], v1 offset1:184
	s_waitcnt lgkmcnt(0)
	v_add_f32_e32 v3, v4, v3
	ds_write_b32 v1, v3
.LBB326_29:
	s_or_b64 exec, exec, s[0:1]
	s_movk_i32 s0, 0x5c
	v_cmp_gt_u32_e32 vcc, s0, v0
	s_waitcnt lgkmcnt(0)
	s_barrier
	s_and_saveexec_b64 s[0:1], vcc
	s_cbranch_execz .LBB326_31
; %bb.30:
	ds_read2_b32 v[3:4], v1 offset1:92
	s_waitcnt lgkmcnt(0)
	v_add_f32_e32 v3, v4, v3
	ds_write_b32 v1, v3
.LBB326_31:
	s_or_b64 exec, exec, s[0:1]
	v_cmp_gt_u32_e32 vcc, 46, v0
	s_waitcnt lgkmcnt(0)
	s_barrier
	s_and_saveexec_b64 s[0:1], vcc
	s_cbranch_execz .LBB326_33
; %bb.32:
	ds_read2_b32 v[3:4], v1 offset1:46
	s_waitcnt lgkmcnt(0)
	v_add_f32_e32 v3, v4, v3
	ds_write_b32 v1, v3
.LBB326_33:
	s_or_b64 exec, exec, s[0:1]
	v_cmp_gt_u32_e32 vcc, 23, v0
	s_waitcnt lgkmcnt(0)
	s_and_saveexec_b64 s[0:1], vcc
	s_cbranch_execz .LBB326_35
; %bb.34:
	ds_read2_b32 v[2:3], v1 offset1:23
	s_waitcnt lgkmcnt(0)
	v_add_f32_e32 v2, v2, v3
.LBB326_35:
	s_or_b64 exec, exec, s[0:1]
	v_mov_b32_e32 v3, v2
.LBB326_36:
	v_cmp_gt_u32_e32 vcc, 23, v0
	s_and_saveexec_b64 s[0:1], vcc
	s_cbranch_execz .LBB326_40
; %bb.37:
	v_cmp_eq_f32_e64 s[0:1], s12, 0
	s_and_b64 vcc, exec, s[0:1]
	v_mul_f32_e32 v0, s14, v3
	s_mul_i32 s2, s7, 0x5c
	s_mul_hi_u32 s3, s6, 0x5c
	s_mul_i32 s4, s6, 0x5c
	s_cbranch_vccz .LBB326_41
; %bb.38:
	s_add_i32 s1, s3, s2
	s_add_u32 s0, s16, s4
	s_addc_u32 s1, s17, s1
	global_store_dword v1, v0, s[0:1]
	s_cbranch_execnz .LBB326_40
.LBB326_39:
	s_add_i32 s3, s3, s2
	s_add_u32 s0, s16, s4
	s_addc_u32 s1, s17, s3
	global_load_dword v2, v1, s[0:1]
	s_waitcnt vmcnt(0)
	v_fmac_f32_e32 v0, s12, v2
	global_store_dword v1, v0, s[0:1]
.LBB326_40:
	s_endpgm
.LBB326_41:
	s_branch .LBB326_39
	.section	.rodata,"a",@progbits
	.p2align	6, 0x0
	.amdhsa_kernel _ZN9rocsparseL20bsrxmvn_17_32_kernelILj23EfllDF16_DF16_fEEvT2_20rocsparse_direction_NS_24const_host_device_scalarIT0_EES1_PKS1_PKT1_SA_S7_PKT3_PKT4_S5_PT5_21rocsparse_index_base_b
		.amdhsa_group_segment_fixed_size 2116
		.amdhsa_private_segment_fixed_size 0
		.amdhsa_kernarg_size 104
		.amdhsa_user_sgpr_count 6
		.amdhsa_user_sgpr_private_segment_buffer 1
		.amdhsa_user_sgpr_dispatch_ptr 0
		.amdhsa_user_sgpr_queue_ptr 0
		.amdhsa_user_sgpr_kernarg_segment_ptr 1
		.amdhsa_user_sgpr_dispatch_id 0
		.amdhsa_user_sgpr_flat_scratch_init 0
		.amdhsa_user_sgpr_private_segment_size 0
		.amdhsa_uses_dynamic_stack 0
		.amdhsa_system_sgpr_private_segment_wavefront_offset 0
		.amdhsa_system_sgpr_workgroup_id_x 1
		.amdhsa_system_sgpr_workgroup_id_y 0
		.amdhsa_system_sgpr_workgroup_id_z 0
		.amdhsa_system_sgpr_workgroup_info 0
		.amdhsa_system_vgpr_workitem_id 0
		.amdhsa_next_free_vgpr 25
		.amdhsa_next_free_sgpr 61
		.amdhsa_reserve_vcc 1
		.amdhsa_reserve_flat_scratch 0
		.amdhsa_float_round_mode_32 0
		.amdhsa_float_round_mode_16_64 0
		.amdhsa_float_denorm_mode_32 3
		.amdhsa_float_denorm_mode_16_64 3
		.amdhsa_dx10_clamp 1
		.amdhsa_ieee_mode 1
		.amdhsa_fp16_overflow 0
		.amdhsa_exception_fp_ieee_invalid_op 0
		.amdhsa_exception_fp_denorm_src 0
		.amdhsa_exception_fp_ieee_div_zero 0
		.amdhsa_exception_fp_ieee_overflow 0
		.amdhsa_exception_fp_ieee_underflow 0
		.amdhsa_exception_fp_ieee_inexact 0
		.amdhsa_exception_int_div_zero 0
	.end_amdhsa_kernel
	.section	.text._ZN9rocsparseL20bsrxmvn_17_32_kernelILj23EfllDF16_DF16_fEEvT2_20rocsparse_direction_NS_24const_host_device_scalarIT0_EES1_PKS1_PKT1_SA_S7_PKT3_PKT4_S5_PT5_21rocsparse_index_base_b,"axG",@progbits,_ZN9rocsparseL20bsrxmvn_17_32_kernelILj23EfllDF16_DF16_fEEvT2_20rocsparse_direction_NS_24const_host_device_scalarIT0_EES1_PKS1_PKT1_SA_S7_PKT3_PKT4_S5_PT5_21rocsparse_index_base_b,comdat
.Lfunc_end326:
	.size	_ZN9rocsparseL20bsrxmvn_17_32_kernelILj23EfllDF16_DF16_fEEvT2_20rocsparse_direction_NS_24const_host_device_scalarIT0_EES1_PKS1_PKT1_SA_S7_PKT3_PKT4_S5_PT5_21rocsparse_index_base_b, .Lfunc_end326-_ZN9rocsparseL20bsrxmvn_17_32_kernelILj23EfllDF16_DF16_fEEvT2_20rocsparse_direction_NS_24const_host_device_scalarIT0_EES1_PKS1_PKT1_SA_S7_PKT3_PKT4_S5_PT5_21rocsparse_index_base_b
                                        ; -- End function
	.set _ZN9rocsparseL20bsrxmvn_17_32_kernelILj23EfllDF16_DF16_fEEvT2_20rocsparse_direction_NS_24const_host_device_scalarIT0_EES1_PKS1_PKT1_SA_S7_PKT3_PKT4_S5_PT5_21rocsparse_index_base_b.num_vgpr, 13
	.set _ZN9rocsparseL20bsrxmvn_17_32_kernelILj23EfllDF16_DF16_fEEvT2_20rocsparse_direction_NS_24const_host_device_scalarIT0_EES1_PKS1_PKT1_SA_S7_PKT3_PKT4_S5_PT5_21rocsparse_index_base_b.num_agpr, 0
	.set _ZN9rocsparseL20bsrxmvn_17_32_kernelILj23EfllDF16_DF16_fEEvT2_20rocsparse_direction_NS_24const_host_device_scalarIT0_EES1_PKS1_PKT1_SA_S7_PKT3_PKT4_S5_PT5_21rocsparse_index_base_b.numbered_sgpr, 26
	.set _ZN9rocsparseL20bsrxmvn_17_32_kernelILj23EfllDF16_DF16_fEEvT2_20rocsparse_direction_NS_24const_host_device_scalarIT0_EES1_PKS1_PKT1_SA_S7_PKT3_PKT4_S5_PT5_21rocsparse_index_base_b.num_named_barrier, 0
	.set _ZN9rocsparseL20bsrxmvn_17_32_kernelILj23EfllDF16_DF16_fEEvT2_20rocsparse_direction_NS_24const_host_device_scalarIT0_EES1_PKS1_PKT1_SA_S7_PKT3_PKT4_S5_PT5_21rocsparse_index_base_b.private_seg_size, 0
	.set _ZN9rocsparseL20bsrxmvn_17_32_kernelILj23EfllDF16_DF16_fEEvT2_20rocsparse_direction_NS_24const_host_device_scalarIT0_EES1_PKS1_PKT1_SA_S7_PKT3_PKT4_S5_PT5_21rocsparse_index_base_b.uses_vcc, 1
	.set _ZN9rocsparseL20bsrxmvn_17_32_kernelILj23EfllDF16_DF16_fEEvT2_20rocsparse_direction_NS_24const_host_device_scalarIT0_EES1_PKS1_PKT1_SA_S7_PKT3_PKT4_S5_PT5_21rocsparse_index_base_b.uses_flat_scratch, 0
	.set _ZN9rocsparseL20bsrxmvn_17_32_kernelILj23EfllDF16_DF16_fEEvT2_20rocsparse_direction_NS_24const_host_device_scalarIT0_EES1_PKS1_PKT1_SA_S7_PKT3_PKT4_S5_PT5_21rocsparse_index_base_b.has_dyn_sized_stack, 0
	.set _ZN9rocsparseL20bsrxmvn_17_32_kernelILj23EfllDF16_DF16_fEEvT2_20rocsparse_direction_NS_24const_host_device_scalarIT0_EES1_PKS1_PKT1_SA_S7_PKT3_PKT4_S5_PT5_21rocsparse_index_base_b.has_recursion, 0
	.set _ZN9rocsparseL20bsrxmvn_17_32_kernelILj23EfllDF16_DF16_fEEvT2_20rocsparse_direction_NS_24const_host_device_scalarIT0_EES1_PKS1_PKT1_SA_S7_PKT3_PKT4_S5_PT5_21rocsparse_index_base_b.has_indirect_call, 0
	.section	.AMDGPU.csdata,"",@progbits
; Kernel info:
; codeLenInByte = 1316
; TotalNumSgprs: 30
; NumVgprs: 13
; ScratchSize: 0
; MemoryBound: 0
; FloatMode: 240
; IeeeMode: 1
; LDSByteSize: 2116 bytes/workgroup (compile time only)
; SGPRBlocks: 8
; VGPRBlocks: 6
; NumSGPRsForWavesPerEU: 65
; NumVGPRsForWavesPerEU: 25
; Occupancy: 9
; WaveLimiterHint : 1
; COMPUTE_PGM_RSRC2:SCRATCH_EN: 0
; COMPUTE_PGM_RSRC2:USER_SGPR: 6
; COMPUTE_PGM_RSRC2:TRAP_HANDLER: 0
; COMPUTE_PGM_RSRC2:TGID_X_EN: 1
; COMPUTE_PGM_RSRC2:TGID_Y_EN: 0
; COMPUTE_PGM_RSRC2:TGID_Z_EN: 0
; COMPUTE_PGM_RSRC2:TIDIG_COMP_CNT: 0
	.section	.text._ZN9rocsparseL20bsrxmvn_17_32_kernelILj24EfllDF16_DF16_fEEvT2_20rocsparse_direction_NS_24const_host_device_scalarIT0_EES1_PKS1_PKT1_SA_S7_PKT3_PKT4_S5_PT5_21rocsparse_index_base_b,"axG",@progbits,_ZN9rocsparseL20bsrxmvn_17_32_kernelILj24EfllDF16_DF16_fEEvT2_20rocsparse_direction_NS_24const_host_device_scalarIT0_EES1_PKS1_PKT1_SA_S7_PKT3_PKT4_S5_PT5_21rocsparse_index_base_b,comdat
	.globl	_ZN9rocsparseL20bsrxmvn_17_32_kernelILj24EfllDF16_DF16_fEEvT2_20rocsparse_direction_NS_24const_host_device_scalarIT0_EES1_PKS1_PKT1_SA_S7_PKT3_PKT4_S5_PT5_21rocsparse_index_base_b ; -- Begin function _ZN9rocsparseL20bsrxmvn_17_32_kernelILj24EfllDF16_DF16_fEEvT2_20rocsparse_direction_NS_24const_host_device_scalarIT0_EES1_PKS1_PKT1_SA_S7_PKT3_PKT4_S5_PT5_21rocsparse_index_base_b
	.p2align	8
	.type	_ZN9rocsparseL20bsrxmvn_17_32_kernelILj24EfllDF16_DF16_fEEvT2_20rocsparse_direction_NS_24const_host_device_scalarIT0_EES1_PKS1_PKT1_SA_S7_PKT3_PKT4_S5_PT5_21rocsparse_index_base_b,@function
_ZN9rocsparseL20bsrxmvn_17_32_kernelILj24EfllDF16_DF16_fEEvT2_20rocsparse_direction_NS_24const_host_device_scalarIT0_EES1_PKS1_PKT1_SA_S7_PKT3_PKT4_S5_PT5_21rocsparse_index_base_b: ; @_ZN9rocsparseL20bsrxmvn_17_32_kernelILj24EfllDF16_DF16_fEEvT2_20rocsparse_direction_NS_24const_host_device_scalarIT0_EES1_PKS1_PKT1_SA_S7_PKT3_PKT4_S5_PT5_21rocsparse_index_base_b
; %bb.0:
	s_load_dwordx2 s[18:19], s[4:5], 0x60
	s_load_dwordx2 s[14:15], s[4:5], 0x10
	;; [unrolled: 1-line block ×3, first 2 shown]
	s_waitcnt lgkmcnt(0)
	s_bitcmp1_b32 s19, 0
	s_cselect_b64 s[2:3], -1, 0
	s_xor_b64 s[0:1], s[2:3], -1
	s_and_b64 vcc, exec, s[2:3]
	s_cbranch_vccnz .LBB327_2
; %bb.1:
	s_load_dword s14, s[14:15], 0x0
.LBB327_2:
	s_andn2_b64 vcc, exec, s[0:1]
	s_cbranch_vccnz .LBB327_4
; %bb.3:
	s_load_dword s12, s[12:13], 0x0
.LBB327_4:
	s_waitcnt lgkmcnt(0)
	v_cmp_neq_f32_e64 s[0:1], s14, 0
	v_cmp_neq_f32_e64 s[2:3], s12, 1.0
	s_or_b64 s[0:1], s[0:1], s[2:3]
	s_andn2_b64 vcc, exec, s[0:1]
	s_mov_b32 s7, 0
	s_cbranch_vccnz .LBB327_40
; %bb.5:
	s_load_dwordx4 s[0:3], s[4:5], 0x20
	s_load_dwordx2 s[8:9], s[4:5], 0x30
	s_waitcnt lgkmcnt(0)
	s_cmp_eq_u64 s[0:1], 0
	s_cbranch_scc1 .LBB327_7
; %bb.6:
	s_lshl_b64 s[6:7], s[6:7], 3
	s_add_u32 s0, s0, s6
	s_addc_u32 s1, s1, s7
	s_load_dwordx2 s[0:1], s[0:1], 0x0
	s_waitcnt lgkmcnt(0)
	s_sub_u32 s6, s0, s18
	s_subb_u32 s7, s1, 0
.LBB327_7:
	s_load_dword s10, s[4:5], 0x8
	s_load_dwordx2 s[16:17], s[4:5], 0x58
	v_mul_u32_u24_e32 v1, 0xaab, v0
	v_mov_b32_e32 v2, 24
	v_mul_lo_u16_sdwa v2, v1, v2 dst_sel:DWORD dst_unused:UNUSED_PAD src0_sel:WORD_1 src1_sel:DWORD
	s_waitcnt lgkmcnt(0)
	s_cmp_eq_u32 s10, 1
	s_cselect_b64 s[0:1], -1, 0
	s_cmp_lg_u32 s10, 1
	s_cselect_b64 s[20:21], -1, 0
	s_lshl_b64 s[10:11], s[6:7], 3
	s_add_u32 s24, s2, s10
	s_addc_u32 s25, s3, s11
	s_add_u32 s2, s24, 8
	s_addc_u32 s3, s25, 0
	;; [unrolled: 2-line block ×3, first 2 shown]
	s_cmp_eq_u64 s[8:9], 0
	s_cselect_b32 s9, s3, s11
	s_cselect_b32 s8, s2, s10
	s_load_dwordx2 s[2:3], s[8:9], 0x0
	s_load_dwordx2 s[22:23], s[24:25], 0x0
	v_sub_u16_e32 v9, v0, v2
	s_waitcnt lgkmcnt(0)
	v_mov_b32_e32 v2, s2
	v_mov_b32_e32 v3, s3
	v_cmp_ge_i64_e32 vcc, s[22:23], v[2:3]
	v_mov_b32_e32 v2, 0
	s_cbranch_vccnz .LBB327_12
; %bb.8:
	s_load_dwordx4 s[8:11], s[4:5], 0x38
	s_load_dwordx2 s[24:25], s[4:5], 0x48
	s_mov_b32 s4, 0xffff
	s_movk_i32 s5, 0x240
	v_and_b32_sdwa v1, s4, v1 dst_sel:DWORD dst_unused:UNUSED_PAD src0_sel:DWORD src1_sel:WORD_1
	s_sub_u32 s2, s2, s18
	v_subrev_u32_e32 v2, 24, v1
	v_cmp_gt_u32_e32 vcc, s5, v0
	s_subb_u32 s3, s3, 0
	v_cndmask_b32_e32 v1, v2, v1, vcc
	s_sub_u32 s4, s22, s18
	v_cndmask_b32_e64 v1, v9, v1, s[0:1]
	v_mov_b32_e32 v2, 0
	s_subb_u32 s5, s23, 0
	v_lshlrev_b64 v[3:4], 1, v[1:2]
	s_mul_i32 s0, s5, 0x480
	s_mul_hi_u32 s1, s4, 0x480
	s_add_i32 s1, s1, s0
	s_mul_i32 s0, s4, 0x480
	s_waitcnt lgkmcnt(0)
	v_mov_b32_e32 v1, s25
	v_add_co_u32_e32 v3, vcc, s24, v3
	s_add_u32 s0, s10, s0
	v_addc_co_u32_e32 v4, vcc, v1, v4, vcc
	s_addc_u32 s1, s11, s1
	v_lshlrev_b32_e32 v1, 1, v0
	v_mov_b32_e32 v6, s1
	v_add_co_u32_e32 v5, vcc, s0, v1
	v_addc_co_u32_e32 v6, vcc, 0, v6, vcc
	s_movk_i32 s0, 0x23f
	v_cmp_lt_u32_e32 vcc, s0, v0
	v_cndmask_b32_e64 v1, 0, 1, vcc
	v_mov_b32_e32 v7, s23
	v_add_co_u32_e32 v8, vcc, s22, v1
	v_addc_co_u32_e32 v10, vcc, 0, v7, vcc
	v_subrev_co_u32_e32 v7, vcc, s18, v8
	v_subbrev_co_u32_e32 v8, vcc, 0, v10, vcc
	v_lshlrev_b64 v[7:8], 3, v[7:8]
	v_mov_b32_e32 v10, s9
	v_add_co_u32_e32 v7, vcc, s8, v7
	v_addc_co_u32_e32 v8, vcc, v10, v8, vcc
	s_branch .LBB327_10
.LBB327_9:                              ;   in Loop: Header=BB327_10 Depth=1
	s_or_b64 exec, exec, s[0:1]
	s_add_u32 s4, s4, 1
	v_mov_b32_e32 v11, s3
	s_addc_u32 s5, s5, 0
	v_mov_b32_e32 v10, s2
	v_cmp_lt_i64_e32 vcc, s[4:5], v[10:11]
	v_add_co_u32_e64 v7, s[0:1], 8, v7
	v_addc_co_u32_e64 v8, s[0:1], 0, v8, s[0:1]
	s_cbranch_vccz .LBB327_12
.LBB327_10:                             ; =>This Inner Loop Header: Depth=1
	v_mov_b32_e32 v11, s5
	v_add_co_u32_e32 v10, vcc, s4, v1
	v_addc_co_u32_e32 v11, vcc, 0, v11, vcc
	v_cmp_gt_i64_e32 vcc, s[2:3], v[10:11]
	s_and_saveexec_b64 s[0:1], vcc
	s_cbranch_execz .LBB327_9
; %bb.11:                               ;   in Loop: Header=BB327_10 Depth=1
	global_load_dwordx2 v[10:11], v[7:8], off
	s_waitcnt vmcnt(0)
	v_subrev_co_u32_e32 v10, vcc, s18, v10
	v_subbrev_co_u32_e32 v12, vcc, 0, v11, vcc
	v_mad_u64_u32 v[10:11], s[8:9], v10, 48, v[3:4]
	v_mad_u64_u32 v[11:12], s[8:9], v12, 48, v[11:12]
	global_load_ushort v12, v[5:6], off
	s_nop 0
	global_load_ushort v10, v[10:11], off
	v_add_co_u32_e32 v5, vcc, 0x480, v5
	v_addc_co_u32_e32 v6, vcc, 0, v6, vcc
	s_waitcnt vmcnt(0)
	v_fma_mix_f32 v2, v12, v10, v2 op_sel_hi:[1,1,0]
	s_branch .LBB327_9
.LBB327_12:
	v_lshlrev_b32_e32 v1, 2, v0
	s_and_b64 vcc, exec, s[20:21]
	ds_write_b32 v1, v2
	s_waitcnt lgkmcnt(0)
	s_barrier
	s_cbranch_vccz .LBB327_24
; %bb.13:
	v_cmp_gt_u16_e32 vcc, 8, v9
	s_and_saveexec_b64 s[0:1], vcc
	s_cbranch_execz .LBB327_15
; %bb.14:
	ds_read2_b32 v[3:4], v1 offset1:16
	s_waitcnt lgkmcnt(0)
	v_add_f32_e32 v3, v4, v3
	ds_write_b32 v1, v3
.LBB327_15:
	s_or_b64 exec, exec, s[0:1]
	s_waitcnt lgkmcnt(0)
	s_barrier
	s_and_saveexec_b64 s[0:1], vcc
	s_cbranch_execz .LBB327_17
; %bb.16:
	ds_read2_b32 v[3:4], v1 offset1:8
	s_waitcnt lgkmcnt(0)
	v_add_f32_e32 v3, v4, v3
	ds_write_b32 v1, v3
.LBB327_17:
	s_or_b64 exec, exec, s[0:1]
	v_cmp_gt_u16_e32 vcc, 4, v9
	s_waitcnt lgkmcnt(0)
	s_barrier
	s_and_saveexec_b64 s[0:1], vcc
	s_cbranch_execz .LBB327_19
; %bb.18:
	ds_read2_b32 v[3:4], v1 offset1:4
	s_waitcnt lgkmcnt(0)
	v_add_f32_e32 v3, v4, v3
	ds_write_b32 v1, v3
.LBB327_19:
	s_or_b64 exec, exec, s[0:1]
	v_cmp_gt_u16_e32 vcc, 2, v9
	s_waitcnt lgkmcnt(0)
	s_barrier
	s_and_saveexec_b64 s[0:1], vcc
	s_cbranch_execz .LBB327_21
; %bb.20:
	ds_read2_b32 v[3:4], v1 offset1:2
	s_waitcnt lgkmcnt(0)
	v_add_f32_e32 v3, v4, v3
	ds_write_b32 v1, v3
.LBB327_21:
	s_or_b64 exec, exec, s[0:1]
	v_cmp_gt_u32_e32 vcc, 24, v0
	v_mov_b32_e32 v3, v2
	s_waitcnt lgkmcnt(0)
	s_barrier
	s_and_saveexec_b64 s[0:1], vcc
	s_cbranch_execz .LBB327_23
; %bb.22:
	s_movk_i32 s2, 0x5c
	v_mad_u32_u24 v3, v0, s2, v1
	ds_read_b64 v[3:4], v3
	s_waitcnt lgkmcnt(0)
	v_add_f32_e32 v3, v3, v4
.LBB327_23:
	s_or_b64 exec, exec, s[0:1]
	s_branch .LBB327_36
.LBB327_24:
                                        ; implicit-def: $vgpr3
	s_cbranch_execz .LBB327_36
; %bb.25:
	s_movk_i32 s0, 0xc0
	v_cmp_gt_u32_e32 vcc, s0, v0
	s_and_saveexec_b64 s[0:1], vcc
	s_cbranch_execz .LBB327_27
; %bb.26:
	ds_read2st64_b32 v[3:4], v1 offset1:6
	s_waitcnt lgkmcnt(0)
	v_add_f32_e32 v3, v4, v3
	ds_write_b32 v1, v3
.LBB327_27:
	s_or_b64 exec, exec, s[0:1]
	s_waitcnt lgkmcnt(0)
	s_barrier
	s_and_saveexec_b64 s[0:1], vcc
	s_cbranch_execz .LBB327_29
; %bb.28:
	ds_read2st64_b32 v[3:4], v1 offset1:3
	s_waitcnt lgkmcnt(0)
	v_add_f32_e32 v3, v4, v3
	ds_write_b32 v1, v3
.LBB327_29:
	s_or_b64 exec, exec, s[0:1]
	s_movk_i32 s0, 0x60
	v_cmp_gt_u32_e32 vcc, s0, v0
	s_waitcnt lgkmcnt(0)
	s_barrier
	s_and_saveexec_b64 s[0:1], vcc
	s_cbranch_execz .LBB327_31
; %bb.30:
	ds_read2_b32 v[3:4], v1 offset1:96
	s_waitcnt lgkmcnt(0)
	v_add_f32_e32 v3, v4, v3
	ds_write_b32 v1, v3
.LBB327_31:
	s_or_b64 exec, exec, s[0:1]
	v_cmp_gt_u32_e32 vcc, 48, v0
	s_waitcnt lgkmcnt(0)
	s_barrier
	s_and_saveexec_b64 s[0:1], vcc
	s_cbranch_execz .LBB327_33
; %bb.32:
	ds_read2_b32 v[3:4], v1 offset1:48
	s_waitcnt lgkmcnt(0)
	v_add_f32_e32 v3, v4, v3
	ds_write_b32 v1, v3
.LBB327_33:
	s_or_b64 exec, exec, s[0:1]
	v_cmp_gt_u32_e32 vcc, 24, v0
	s_waitcnt lgkmcnt(0)
	s_and_saveexec_b64 s[0:1], vcc
	s_cbranch_execz .LBB327_35
; %bb.34:
	ds_read2_b32 v[2:3], v1 offset1:24
	s_waitcnt lgkmcnt(0)
	v_add_f32_e32 v2, v2, v3
.LBB327_35:
	s_or_b64 exec, exec, s[0:1]
	v_mov_b32_e32 v3, v2
.LBB327_36:
	v_cmp_gt_u32_e32 vcc, 24, v0
	s_and_saveexec_b64 s[0:1], vcc
	s_cbranch_execz .LBB327_40
; %bb.37:
	v_cmp_eq_f32_e64 s[0:1], s12, 0
	s_and_b64 vcc, exec, s[0:1]
	v_mul_f32_e32 v0, s14, v3
	s_mul_i32 s2, s7, 0x60
	s_mul_hi_u32 s3, s6, 0x60
	s_mul_i32 s4, s6, 0x60
	s_cbranch_vccz .LBB327_41
; %bb.38:
	s_add_i32 s1, s3, s2
	s_add_u32 s0, s16, s4
	s_addc_u32 s1, s17, s1
	global_store_dword v1, v0, s[0:1]
	s_cbranch_execnz .LBB327_40
.LBB327_39:
	s_add_i32 s3, s3, s2
	s_add_u32 s0, s16, s4
	s_addc_u32 s1, s17, s3
	global_load_dword v2, v1, s[0:1]
	s_waitcnt vmcnt(0)
	v_fmac_f32_e32 v0, s12, v2
	global_store_dword v1, v0, s[0:1]
.LBB327_40:
	s_endpgm
.LBB327_41:
	s_branch .LBB327_39
	.section	.rodata,"a",@progbits
	.p2align	6, 0x0
	.amdhsa_kernel _ZN9rocsparseL20bsrxmvn_17_32_kernelILj24EfllDF16_DF16_fEEvT2_20rocsparse_direction_NS_24const_host_device_scalarIT0_EES1_PKS1_PKT1_SA_S7_PKT3_PKT4_S5_PT5_21rocsparse_index_base_b
		.amdhsa_group_segment_fixed_size 2304
		.amdhsa_private_segment_fixed_size 0
		.amdhsa_kernarg_size 104
		.amdhsa_user_sgpr_count 6
		.amdhsa_user_sgpr_private_segment_buffer 1
		.amdhsa_user_sgpr_dispatch_ptr 0
		.amdhsa_user_sgpr_queue_ptr 0
		.amdhsa_user_sgpr_kernarg_segment_ptr 1
		.amdhsa_user_sgpr_dispatch_id 0
		.amdhsa_user_sgpr_flat_scratch_init 0
		.amdhsa_user_sgpr_private_segment_size 0
		.amdhsa_uses_dynamic_stack 0
		.amdhsa_system_sgpr_private_segment_wavefront_offset 0
		.amdhsa_system_sgpr_workgroup_id_x 1
		.amdhsa_system_sgpr_workgroup_id_y 0
		.amdhsa_system_sgpr_workgroup_id_z 0
		.amdhsa_system_sgpr_workgroup_info 0
		.amdhsa_system_vgpr_workitem_id 0
		.amdhsa_next_free_vgpr 25
		.amdhsa_next_free_sgpr 61
		.amdhsa_reserve_vcc 1
		.amdhsa_reserve_flat_scratch 0
		.amdhsa_float_round_mode_32 0
		.amdhsa_float_round_mode_16_64 0
		.amdhsa_float_denorm_mode_32 3
		.amdhsa_float_denorm_mode_16_64 3
		.amdhsa_dx10_clamp 1
		.amdhsa_ieee_mode 1
		.amdhsa_fp16_overflow 0
		.amdhsa_exception_fp_ieee_invalid_op 0
		.amdhsa_exception_fp_denorm_src 0
		.amdhsa_exception_fp_ieee_div_zero 0
		.amdhsa_exception_fp_ieee_overflow 0
		.amdhsa_exception_fp_ieee_underflow 0
		.amdhsa_exception_fp_ieee_inexact 0
		.amdhsa_exception_int_div_zero 0
	.end_amdhsa_kernel
	.section	.text._ZN9rocsparseL20bsrxmvn_17_32_kernelILj24EfllDF16_DF16_fEEvT2_20rocsparse_direction_NS_24const_host_device_scalarIT0_EES1_PKS1_PKT1_SA_S7_PKT3_PKT4_S5_PT5_21rocsparse_index_base_b,"axG",@progbits,_ZN9rocsparseL20bsrxmvn_17_32_kernelILj24EfllDF16_DF16_fEEvT2_20rocsparse_direction_NS_24const_host_device_scalarIT0_EES1_PKS1_PKT1_SA_S7_PKT3_PKT4_S5_PT5_21rocsparse_index_base_b,comdat
.Lfunc_end327:
	.size	_ZN9rocsparseL20bsrxmvn_17_32_kernelILj24EfllDF16_DF16_fEEvT2_20rocsparse_direction_NS_24const_host_device_scalarIT0_EES1_PKS1_PKT1_SA_S7_PKT3_PKT4_S5_PT5_21rocsparse_index_base_b, .Lfunc_end327-_ZN9rocsparseL20bsrxmvn_17_32_kernelILj24EfllDF16_DF16_fEEvT2_20rocsparse_direction_NS_24const_host_device_scalarIT0_EES1_PKS1_PKT1_SA_S7_PKT3_PKT4_S5_PT5_21rocsparse_index_base_b
                                        ; -- End function
	.set _ZN9rocsparseL20bsrxmvn_17_32_kernelILj24EfllDF16_DF16_fEEvT2_20rocsparse_direction_NS_24const_host_device_scalarIT0_EES1_PKS1_PKT1_SA_S7_PKT3_PKT4_S5_PT5_21rocsparse_index_base_b.num_vgpr, 13
	.set _ZN9rocsparseL20bsrxmvn_17_32_kernelILj24EfllDF16_DF16_fEEvT2_20rocsparse_direction_NS_24const_host_device_scalarIT0_EES1_PKS1_PKT1_SA_S7_PKT3_PKT4_S5_PT5_21rocsparse_index_base_b.num_agpr, 0
	.set _ZN9rocsparseL20bsrxmvn_17_32_kernelILj24EfllDF16_DF16_fEEvT2_20rocsparse_direction_NS_24const_host_device_scalarIT0_EES1_PKS1_PKT1_SA_S7_PKT3_PKT4_S5_PT5_21rocsparse_index_base_b.numbered_sgpr, 26
	.set _ZN9rocsparseL20bsrxmvn_17_32_kernelILj24EfllDF16_DF16_fEEvT2_20rocsparse_direction_NS_24const_host_device_scalarIT0_EES1_PKS1_PKT1_SA_S7_PKT3_PKT4_S5_PT5_21rocsparse_index_base_b.num_named_barrier, 0
	.set _ZN9rocsparseL20bsrxmvn_17_32_kernelILj24EfllDF16_DF16_fEEvT2_20rocsparse_direction_NS_24const_host_device_scalarIT0_EES1_PKS1_PKT1_SA_S7_PKT3_PKT4_S5_PT5_21rocsparse_index_base_b.private_seg_size, 0
	.set _ZN9rocsparseL20bsrxmvn_17_32_kernelILj24EfllDF16_DF16_fEEvT2_20rocsparse_direction_NS_24const_host_device_scalarIT0_EES1_PKS1_PKT1_SA_S7_PKT3_PKT4_S5_PT5_21rocsparse_index_base_b.uses_vcc, 1
	.set _ZN9rocsparseL20bsrxmvn_17_32_kernelILj24EfllDF16_DF16_fEEvT2_20rocsparse_direction_NS_24const_host_device_scalarIT0_EES1_PKS1_PKT1_SA_S7_PKT3_PKT4_S5_PT5_21rocsparse_index_base_b.uses_flat_scratch, 0
	.set _ZN9rocsparseL20bsrxmvn_17_32_kernelILj24EfllDF16_DF16_fEEvT2_20rocsparse_direction_NS_24const_host_device_scalarIT0_EES1_PKS1_PKT1_SA_S7_PKT3_PKT4_S5_PT5_21rocsparse_index_base_b.has_dyn_sized_stack, 0
	.set _ZN9rocsparseL20bsrxmvn_17_32_kernelILj24EfllDF16_DF16_fEEvT2_20rocsparse_direction_NS_24const_host_device_scalarIT0_EES1_PKS1_PKT1_SA_S7_PKT3_PKT4_S5_PT5_21rocsparse_index_base_b.has_recursion, 0
	.set _ZN9rocsparseL20bsrxmvn_17_32_kernelILj24EfllDF16_DF16_fEEvT2_20rocsparse_direction_NS_24const_host_device_scalarIT0_EES1_PKS1_PKT1_SA_S7_PKT3_PKT4_S5_PT5_21rocsparse_index_base_b.has_indirect_call, 0
	.section	.AMDGPU.csdata,"",@progbits
; Kernel info:
; codeLenInByte = 1296
; TotalNumSgprs: 30
; NumVgprs: 13
; ScratchSize: 0
; MemoryBound: 0
; FloatMode: 240
; IeeeMode: 1
; LDSByteSize: 2304 bytes/workgroup (compile time only)
; SGPRBlocks: 8
; VGPRBlocks: 6
; NumSGPRsForWavesPerEU: 65
; NumVGPRsForWavesPerEU: 25
; Occupancy: 9
; WaveLimiterHint : 1
; COMPUTE_PGM_RSRC2:SCRATCH_EN: 0
; COMPUTE_PGM_RSRC2:USER_SGPR: 6
; COMPUTE_PGM_RSRC2:TRAP_HANDLER: 0
; COMPUTE_PGM_RSRC2:TGID_X_EN: 1
; COMPUTE_PGM_RSRC2:TGID_Y_EN: 0
; COMPUTE_PGM_RSRC2:TGID_Z_EN: 0
; COMPUTE_PGM_RSRC2:TIDIG_COMP_CNT: 0
	.section	.text._ZN9rocsparseL20bsrxmvn_17_32_kernelILj25EfllDF16_DF16_fEEvT2_20rocsparse_direction_NS_24const_host_device_scalarIT0_EES1_PKS1_PKT1_SA_S7_PKT3_PKT4_S5_PT5_21rocsparse_index_base_b,"axG",@progbits,_ZN9rocsparseL20bsrxmvn_17_32_kernelILj25EfllDF16_DF16_fEEvT2_20rocsparse_direction_NS_24const_host_device_scalarIT0_EES1_PKS1_PKT1_SA_S7_PKT3_PKT4_S5_PT5_21rocsparse_index_base_b,comdat
	.globl	_ZN9rocsparseL20bsrxmvn_17_32_kernelILj25EfllDF16_DF16_fEEvT2_20rocsparse_direction_NS_24const_host_device_scalarIT0_EES1_PKS1_PKT1_SA_S7_PKT3_PKT4_S5_PT5_21rocsparse_index_base_b ; -- Begin function _ZN9rocsparseL20bsrxmvn_17_32_kernelILj25EfllDF16_DF16_fEEvT2_20rocsparse_direction_NS_24const_host_device_scalarIT0_EES1_PKS1_PKT1_SA_S7_PKT3_PKT4_S5_PT5_21rocsparse_index_base_b
	.p2align	8
	.type	_ZN9rocsparseL20bsrxmvn_17_32_kernelILj25EfllDF16_DF16_fEEvT2_20rocsparse_direction_NS_24const_host_device_scalarIT0_EES1_PKS1_PKT1_SA_S7_PKT3_PKT4_S5_PT5_21rocsparse_index_base_b,@function
_ZN9rocsparseL20bsrxmvn_17_32_kernelILj25EfllDF16_DF16_fEEvT2_20rocsparse_direction_NS_24const_host_device_scalarIT0_EES1_PKS1_PKT1_SA_S7_PKT3_PKT4_S5_PT5_21rocsparse_index_base_b: ; @_ZN9rocsparseL20bsrxmvn_17_32_kernelILj25EfllDF16_DF16_fEEvT2_20rocsparse_direction_NS_24const_host_device_scalarIT0_EES1_PKS1_PKT1_SA_S7_PKT3_PKT4_S5_PT5_21rocsparse_index_base_b
; %bb.0:
	s_load_dwordx2 s[18:19], s[4:5], 0x60
	s_load_dwordx2 s[14:15], s[4:5], 0x10
	;; [unrolled: 1-line block ×3, first 2 shown]
	s_waitcnt lgkmcnt(0)
	s_bitcmp1_b32 s19, 0
	s_cselect_b64 s[2:3], -1, 0
	s_xor_b64 s[0:1], s[2:3], -1
	s_and_b64 vcc, exec, s[2:3]
	s_cbranch_vccnz .LBB328_2
; %bb.1:
	s_load_dword s14, s[14:15], 0x0
.LBB328_2:
	s_andn2_b64 vcc, exec, s[0:1]
	s_cbranch_vccnz .LBB328_4
; %bb.3:
	s_load_dword s12, s[12:13], 0x0
.LBB328_4:
	s_waitcnt lgkmcnt(0)
	v_cmp_neq_f32_e64 s[0:1], s14, 0
	v_cmp_neq_f32_e64 s[2:3], s12, 1.0
	s_or_b64 s[0:1], s[0:1], s[2:3]
	s_andn2_b64 vcc, exec, s[0:1]
	s_mov_b32 s7, 0
	s_cbranch_vccnz .LBB328_40
; %bb.5:
	s_load_dwordx4 s[0:3], s[4:5], 0x20
	s_load_dwordx2 s[8:9], s[4:5], 0x30
	s_waitcnt lgkmcnt(0)
	s_cmp_eq_u64 s[0:1], 0
	s_cbranch_scc1 .LBB328_7
; %bb.6:
	s_lshl_b64 s[6:7], s[6:7], 3
	s_add_u32 s0, s0, s6
	s_addc_u32 s1, s1, s7
	s_load_dwordx2 s[0:1], s[0:1], 0x0
	s_waitcnt lgkmcnt(0)
	s_sub_u32 s6, s0, s18
	s_subb_u32 s7, s1, 0
.LBB328_7:
	s_load_dword s10, s[4:5], 0x8
	s_load_dwordx2 s[16:17], s[4:5], 0x58
	v_mul_u32_u24_e32 v1, 0xa3e, v0
	v_mov_b32_e32 v2, 25
	v_mul_lo_u16_sdwa v2, v1, v2 dst_sel:DWORD dst_unused:UNUSED_PAD src0_sel:WORD_1 src1_sel:DWORD
	s_waitcnt lgkmcnt(0)
	s_cmp_eq_u32 s10, 1
	s_cselect_b64 s[0:1], -1, 0
	s_cmp_lg_u32 s10, 1
	s_cselect_b64 s[20:21], -1, 0
	s_lshl_b64 s[10:11], s[6:7], 3
	s_add_u32 s24, s2, s10
	s_addc_u32 s25, s3, s11
	s_add_u32 s2, s24, 8
	s_addc_u32 s3, s25, 0
	s_add_u32 s10, s8, s10
	s_addc_u32 s11, s9, s11
	s_cmp_eq_u64 s[8:9], 0
	s_cselect_b32 s9, s3, s11
	s_cselect_b32 s8, s2, s10
	s_load_dwordx2 s[2:3], s[8:9], 0x0
	s_load_dwordx2 s[22:23], s[24:25], 0x0
	v_sub_u16_e32 v11, v0, v2
	s_waitcnt lgkmcnt(0)
	v_mov_b32_e32 v2, s2
	v_mov_b32_e32 v3, s3
	v_cmp_ge_i64_e32 vcc, s[22:23], v[2:3]
	v_mov_b32_e32 v2, 0
	s_cbranch_vccnz .LBB328_12
; %bb.8:
	s_load_dwordx4 s[8:11], s[4:5], 0x38
	s_load_dwordx2 s[24:25], s[4:5], 0x48
	s_mov_b32 s4, 0xffff
	s_movk_i32 s5, 0x271
	v_and_b32_sdwa v1, s4, v1 dst_sel:DWORD dst_unused:UNUSED_PAD src0_sel:DWORD src1_sel:WORD_1
	s_sub_u32 s2, s2, s18
	v_subrev_u32_e32 v2, 25, v1
	v_cmp_gt_u32_e32 vcc, s5, v0
	s_subb_u32 s3, s3, 0
	v_cndmask_b32_e32 v1, v2, v1, vcc
	s_sub_u32 s4, s22, s18
	v_cndmask_b32_e64 v1, v11, v1, s[0:1]
	v_mov_b32_e32 v2, 0
	s_subb_u32 s5, s23, 0
	v_lshlrev_b64 v[3:4], 1, v[1:2]
	s_mul_i32 s0, s5, 0x4e2
	s_mul_hi_u32 s1, s4, 0x4e2
	s_add_i32 s1, s1, s0
	s_mul_i32 s0, s4, 0x4e2
	s_waitcnt lgkmcnt(0)
	v_mov_b32_e32 v1, s25
	v_add_co_u32_e32 v3, vcc, s24, v3
	s_add_u32 s0, s10, s0
	v_addc_co_u32_e32 v4, vcc, v1, v4, vcc
	s_addc_u32 s1, s11, s1
	v_lshlrev_b32_e32 v1, 1, v0
	v_mov_b32_e32 v6, s1
	v_add_co_u32_e32 v5, vcc, s0, v1
	v_addc_co_u32_e32 v6, vcc, 0, v6, vcc
	s_movk_i32 s0, 0x270
	v_cmp_lt_u32_e32 vcc, s0, v0
	v_cndmask_b32_e64 v1, 0, 1, vcc
	v_mov_b32_e32 v7, s23
	v_add_co_u32_e32 v8, vcc, s22, v1
	v_addc_co_u32_e32 v9, vcc, 0, v7, vcc
	v_subrev_co_u32_e32 v7, vcc, s18, v8
	v_subbrev_co_u32_e32 v8, vcc, 0, v9, vcc
	v_lshlrev_b64 v[7:8], 3, v[7:8]
	v_mov_b32_e32 v9, s9
	v_add_co_u32_e32 v7, vcc, s8, v7
	v_addc_co_u32_e32 v8, vcc, v9, v8, vcc
	v_mov_b32_e32 v10, s3
	v_mov_b32_e32 v9, s2
	s_branch .LBB328_10
.LBB328_9:                              ;   in Loop: Header=BB328_10 Depth=1
	s_or_b64 exec, exec, s[0:1]
	s_add_u32 s4, s4, 1
	s_addc_u32 s5, s5, 0
	v_cmp_lt_i64_e32 vcc, s[4:5], v[9:10]
	v_add_co_u32_e64 v7, s[0:1], 8, v7
	v_addc_co_u32_e64 v8, s[0:1], 0, v8, s[0:1]
	s_cbranch_vccz .LBB328_12
.LBB328_10:                             ; =>This Inner Loop Header: Depth=1
	v_mov_b32_e32 v13, s5
	v_add_co_u32_e32 v12, vcc, s4, v1
	v_addc_co_u32_e32 v13, vcc, 0, v13, vcc
	v_cmp_gt_i64_e32 vcc, s[2:3], v[12:13]
	s_and_saveexec_b64 s[0:1], vcc
	s_cbranch_execz .LBB328_9
; %bb.11:                               ;   in Loop: Header=BB328_10 Depth=1
	global_load_dwordx2 v[12:13], v[7:8], off
	s_waitcnt vmcnt(0)
	v_subrev_co_u32_e32 v12, vcc, s18, v12
	v_subbrev_co_u32_e32 v14, vcc, 0, v13, vcc
	v_mad_u64_u32 v[12:13], s[8:9], v12, 50, v[3:4]
	v_mad_u64_u32 v[13:14], s[8:9], v14, 50, v[13:14]
	global_load_ushort v14, v[5:6], off
	s_nop 0
	global_load_ushort v12, v[12:13], off
	v_add_co_u32_e32 v5, vcc, 0x4e2, v5
	v_addc_co_u32_e32 v6, vcc, 0, v6, vcc
	s_waitcnt vmcnt(0)
	v_fma_mix_f32 v2, v14, v12, v2 op_sel_hi:[1,1,0]
	s_branch .LBB328_9
.LBB328_12:
	v_lshlrev_b32_e32 v1, 2, v0
	s_and_b64 vcc, exec, s[20:21]
	ds_write_b32 v1, v2
	s_waitcnt lgkmcnt(0)
	s_barrier
	s_cbranch_vccz .LBB328_24
; %bb.13:
	v_cmp_gt_u16_e32 vcc, 9, v11
	s_and_saveexec_b64 s[0:1], vcc
	s_cbranch_execz .LBB328_15
; %bb.14:
	ds_read2_b32 v[3:4], v1 offset1:16
	s_waitcnt lgkmcnt(0)
	v_add_f32_e32 v3, v4, v3
	ds_write_b32 v1, v3
.LBB328_15:
	s_or_b64 exec, exec, s[0:1]
	v_cmp_gt_u16_e32 vcc, 8, v11
	s_waitcnt lgkmcnt(0)
	s_barrier
	s_and_saveexec_b64 s[0:1], vcc
	s_cbranch_execz .LBB328_17
; %bb.16:
	ds_read2_b32 v[3:4], v1 offset1:8
	s_waitcnt lgkmcnt(0)
	v_add_f32_e32 v3, v4, v3
	ds_write_b32 v1, v3
.LBB328_17:
	s_or_b64 exec, exec, s[0:1]
	v_cmp_gt_u16_e32 vcc, 4, v11
	s_waitcnt lgkmcnt(0)
	s_barrier
	s_and_saveexec_b64 s[0:1], vcc
	s_cbranch_execz .LBB328_19
; %bb.18:
	ds_read2_b32 v[3:4], v1 offset1:4
	s_waitcnt lgkmcnt(0)
	v_add_f32_e32 v3, v4, v3
	ds_write_b32 v1, v3
.LBB328_19:
	s_or_b64 exec, exec, s[0:1]
	v_cmp_gt_u16_e32 vcc, 2, v11
	s_waitcnt lgkmcnt(0)
	s_barrier
	s_and_saveexec_b64 s[0:1], vcc
	s_cbranch_execz .LBB328_21
; %bb.20:
	ds_read2_b32 v[3:4], v1 offset1:2
	s_waitcnt lgkmcnt(0)
	v_add_f32_e32 v3, v4, v3
	ds_write_b32 v1, v3
.LBB328_21:
	s_or_b64 exec, exec, s[0:1]
	v_cmp_gt_u32_e32 vcc, 25, v0
	v_mov_b32_e32 v3, v2
	s_waitcnt lgkmcnt(0)
	s_barrier
	s_and_saveexec_b64 s[0:1], vcc
	s_cbranch_execz .LBB328_23
; %bb.22:
	s_movk_i32 s2, 0x60
	v_mad_u32_u24 v3, v0, s2, v1
	ds_read2_b32 v[3:4], v3 offset1:1
	s_waitcnt lgkmcnt(0)
	v_add_f32_e32 v3, v3, v4
.LBB328_23:
	s_or_b64 exec, exec, s[0:1]
	s_branch .LBB328_36
.LBB328_24:
                                        ; implicit-def: $vgpr3
	s_cbranch_execz .LBB328_36
; %bb.25:
	s_movk_i32 s0, 0xe1
	v_cmp_gt_u32_e32 vcc, s0, v0
	s_and_saveexec_b64 s[0:1], vcc
	s_cbranch_execz .LBB328_27
; %bb.26:
	ds_read_b32 v3, v1 offset:1600
	ds_read_b32 v4, v1
	s_waitcnt lgkmcnt(0)
	v_add_f32_e32 v3, v3, v4
	ds_write_b32 v1, v3
.LBB328_27:
	s_or_b64 exec, exec, s[0:1]
	s_movk_i32 s0, 0xc8
	v_cmp_gt_u32_e32 vcc, s0, v0
	s_waitcnt lgkmcnt(0)
	s_barrier
	s_and_saveexec_b64 s[0:1], vcc
	s_cbranch_execz .LBB328_29
; %bb.28:
	ds_read2_b32 v[3:4], v1 offset1:200
	s_waitcnt lgkmcnt(0)
	v_add_f32_e32 v3, v4, v3
	ds_write_b32 v1, v3
.LBB328_29:
	s_or_b64 exec, exec, s[0:1]
	s_movk_i32 s0, 0x64
	v_cmp_gt_u32_e32 vcc, s0, v0
	s_waitcnt lgkmcnt(0)
	s_barrier
	s_and_saveexec_b64 s[0:1], vcc
	s_cbranch_execz .LBB328_31
; %bb.30:
	ds_read2_b32 v[3:4], v1 offset1:100
	s_waitcnt lgkmcnt(0)
	v_add_f32_e32 v3, v4, v3
	ds_write_b32 v1, v3
.LBB328_31:
	s_or_b64 exec, exec, s[0:1]
	v_cmp_gt_u32_e32 vcc, 50, v0
	s_waitcnt lgkmcnt(0)
	s_barrier
	s_and_saveexec_b64 s[0:1], vcc
	s_cbranch_execz .LBB328_33
; %bb.32:
	ds_read2_b32 v[3:4], v1 offset1:50
	s_waitcnt lgkmcnt(0)
	v_add_f32_e32 v3, v4, v3
	ds_write_b32 v1, v3
.LBB328_33:
	s_or_b64 exec, exec, s[0:1]
	v_cmp_gt_u32_e32 vcc, 25, v0
	s_waitcnt lgkmcnt(0)
	s_and_saveexec_b64 s[0:1], vcc
	s_cbranch_execz .LBB328_35
; %bb.34:
	ds_read2_b32 v[2:3], v1 offset1:25
	s_waitcnt lgkmcnt(0)
	v_add_f32_e32 v2, v2, v3
.LBB328_35:
	s_or_b64 exec, exec, s[0:1]
	v_mov_b32_e32 v3, v2
.LBB328_36:
	v_cmp_gt_u32_e32 vcc, 25, v0
	s_and_saveexec_b64 s[0:1], vcc
	s_cbranch_execz .LBB328_40
; %bb.37:
	v_cmp_eq_f32_e64 s[0:1], s12, 0
	s_and_b64 vcc, exec, s[0:1]
	v_mul_f32_e32 v0, s14, v3
	s_mul_i32 s2, s7, 0x64
	s_mul_hi_u32 s3, s6, 0x64
	s_mul_i32 s4, s6, 0x64
	s_cbranch_vccz .LBB328_41
; %bb.38:
	s_add_i32 s1, s3, s2
	s_add_u32 s0, s16, s4
	s_addc_u32 s1, s17, s1
	global_store_dword v1, v0, s[0:1]
	s_cbranch_execnz .LBB328_40
.LBB328_39:
	s_add_i32 s3, s3, s2
	s_add_u32 s0, s16, s4
	s_addc_u32 s1, s17, s3
	global_load_dword v2, v1, s[0:1]
	s_waitcnt vmcnt(0)
	v_fmac_f32_e32 v0, s12, v2
	global_store_dword v1, v0, s[0:1]
.LBB328_40:
	s_endpgm
.LBB328_41:
	s_branch .LBB328_39
	.section	.rodata,"a",@progbits
	.p2align	6, 0x0
	.amdhsa_kernel _ZN9rocsparseL20bsrxmvn_17_32_kernelILj25EfllDF16_DF16_fEEvT2_20rocsparse_direction_NS_24const_host_device_scalarIT0_EES1_PKS1_PKT1_SA_S7_PKT3_PKT4_S5_PT5_21rocsparse_index_base_b
		.amdhsa_group_segment_fixed_size 2500
		.amdhsa_private_segment_fixed_size 0
		.amdhsa_kernarg_size 104
		.amdhsa_user_sgpr_count 6
		.amdhsa_user_sgpr_private_segment_buffer 1
		.amdhsa_user_sgpr_dispatch_ptr 0
		.amdhsa_user_sgpr_queue_ptr 0
		.amdhsa_user_sgpr_kernarg_segment_ptr 1
		.amdhsa_user_sgpr_dispatch_id 0
		.amdhsa_user_sgpr_flat_scratch_init 0
		.amdhsa_user_sgpr_private_segment_size 0
		.amdhsa_uses_dynamic_stack 0
		.amdhsa_system_sgpr_private_segment_wavefront_offset 0
		.amdhsa_system_sgpr_workgroup_id_x 1
		.amdhsa_system_sgpr_workgroup_id_y 0
		.amdhsa_system_sgpr_workgroup_id_z 0
		.amdhsa_system_sgpr_workgroup_info 0
		.amdhsa_system_vgpr_workitem_id 0
		.amdhsa_next_free_vgpr 15
		.amdhsa_next_free_sgpr 26
		.amdhsa_reserve_vcc 1
		.amdhsa_reserve_flat_scratch 0
		.amdhsa_float_round_mode_32 0
		.amdhsa_float_round_mode_16_64 0
		.amdhsa_float_denorm_mode_32 3
		.amdhsa_float_denorm_mode_16_64 3
		.amdhsa_dx10_clamp 1
		.amdhsa_ieee_mode 1
		.amdhsa_fp16_overflow 0
		.amdhsa_exception_fp_ieee_invalid_op 0
		.amdhsa_exception_fp_denorm_src 0
		.amdhsa_exception_fp_ieee_div_zero 0
		.amdhsa_exception_fp_ieee_overflow 0
		.amdhsa_exception_fp_ieee_underflow 0
		.amdhsa_exception_fp_ieee_inexact 0
		.amdhsa_exception_int_div_zero 0
	.end_amdhsa_kernel
	.section	.text._ZN9rocsparseL20bsrxmvn_17_32_kernelILj25EfllDF16_DF16_fEEvT2_20rocsparse_direction_NS_24const_host_device_scalarIT0_EES1_PKS1_PKT1_SA_S7_PKT3_PKT4_S5_PT5_21rocsparse_index_base_b,"axG",@progbits,_ZN9rocsparseL20bsrxmvn_17_32_kernelILj25EfllDF16_DF16_fEEvT2_20rocsparse_direction_NS_24const_host_device_scalarIT0_EES1_PKS1_PKT1_SA_S7_PKT3_PKT4_S5_PT5_21rocsparse_index_base_b,comdat
.Lfunc_end328:
	.size	_ZN9rocsparseL20bsrxmvn_17_32_kernelILj25EfllDF16_DF16_fEEvT2_20rocsparse_direction_NS_24const_host_device_scalarIT0_EES1_PKS1_PKT1_SA_S7_PKT3_PKT4_S5_PT5_21rocsparse_index_base_b, .Lfunc_end328-_ZN9rocsparseL20bsrxmvn_17_32_kernelILj25EfllDF16_DF16_fEEvT2_20rocsparse_direction_NS_24const_host_device_scalarIT0_EES1_PKS1_PKT1_SA_S7_PKT3_PKT4_S5_PT5_21rocsparse_index_base_b
                                        ; -- End function
	.set _ZN9rocsparseL20bsrxmvn_17_32_kernelILj25EfllDF16_DF16_fEEvT2_20rocsparse_direction_NS_24const_host_device_scalarIT0_EES1_PKS1_PKT1_SA_S7_PKT3_PKT4_S5_PT5_21rocsparse_index_base_b.num_vgpr, 15
	.set _ZN9rocsparseL20bsrxmvn_17_32_kernelILj25EfllDF16_DF16_fEEvT2_20rocsparse_direction_NS_24const_host_device_scalarIT0_EES1_PKS1_PKT1_SA_S7_PKT3_PKT4_S5_PT5_21rocsparse_index_base_b.num_agpr, 0
	.set _ZN9rocsparseL20bsrxmvn_17_32_kernelILj25EfllDF16_DF16_fEEvT2_20rocsparse_direction_NS_24const_host_device_scalarIT0_EES1_PKS1_PKT1_SA_S7_PKT3_PKT4_S5_PT5_21rocsparse_index_base_b.numbered_sgpr, 26
	.set _ZN9rocsparseL20bsrxmvn_17_32_kernelILj25EfllDF16_DF16_fEEvT2_20rocsparse_direction_NS_24const_host_device_scalarIT0_EES1_PKS1_PKT1_SA_S7_PKT3_PKT4_S5_PT5_21rocsparse_index_base_b.num_named_barrier, 0
	.set _ZN9rocsparseL20bsrxmvn_17_32_kernelILj25EfllDF16_DF16_fEEvT2_20rocsparse_direction_NS_24const_host_device_scalarIT0_EES1_PKS1_PKT1_SA_S7_PKT3_PKT4_S5_PT5_21rocsparse_index_base_b.private_seg_size, 0
	.set _ZN9rocsparseL20bsrxmvn_17_32_kernelILj25EfllDF16_DF16_fEEvT2_20rocsparse_direction_NS_24const_host_device_scalarIT0_EES1_PKS1_PKT1_SA_S7_PKT3_PKT4_S5_PT5_21rocsparse_index_base_b.uses_vcc, 1
	.set _ZN9rocsparseL20bsrxmvn_17_32_kernelILj25EfllDF16_DF16_fEEvT2_20rocsparse_direction_NS_24const_host_device_scalarIT0_EES1_PKS1_PKT1_SA_S7_PKT3_PKT4_S5_PT5_21rocsparse_index_base_b.uses_flat_scratch, 0
	.set _ZN9rocsparseL20bsrxmvn_17_32_kernelILj25EfllDF16_DF16_fEEvT2_20rocsparse_direction_NS_24const_host_device_scalarIT0_EES1_PKS1_PKT1_SA_S7_PKT3_PKT4_S5_PT5_21rocsparse_index_base_b.has_dyn_sized_stack, 0
	.set _ZN9rocsparseL20bsrxmvn_17_32_kernelILj25EfllDF16_DF16_fEEvT2_20rocsparse_direction_NS_24const_host_device_scalarIT0_EES1_PKS1_PKT1_SA_S7_PKT3_PKT4_S5_PT5_21rocsparse_index_base_b.has_recursion, 0
	.set _ZN9rocsparseL20bsrxmvn_17_32_kernelILj25EfllDF16_DF16_fEEvT2_20rocsparse_direction_NS_24const_host_device_scalarIT0_EES1_PKS1_PKT1_SA_S7_PKT3_PKT4_S5_PT5_21rocsparse_index_base_b.has_indirect_call, 0
	.section	.AMDGPU.csdata,"",@progbits
; Kernel info:
; codeLenInByte = 1316
; TotalNumSgprs: 30
; NumVgprs: 15
; ScratchSize: 0
; MemoryBound: 0
; FloatMode: 240
; IeeeMode: 1
; LDSByteSize: 2500 bytes/workgroup (compile time only)
; SGPRBlocks: 3
; VGPRBlocks: 3
; NumSGPRsForWavesPerEU: 30
; NumVGPRsForWavesPerEU: 15
; Occupancy: 10
; WaveLimiterHint : 1
; COMPUTE_PGM_RSRC2:SCRATCH_EN: 0
; COMPUTE_PGM_RSRC2:USER_SGPR: 6
; COMPUTE_PGM_RSRC2:TRAP_HANDLER: 0
; COMPUTE_PGM_RSRC2:TGID_X_EN: 1
; COMPUTE_PGM_RSRC2:TGID_Y_EN: 0
; COMPUTE_PGM_RSRC2:TGID_Z_EN: 0
; COMPUTE_PGM_RSRC2:TIDIG_COMP_CNT: 0
	.section	.text._ZN9rocsparseL20bsrxmvn_17_32_kernelILj26EfllDF16_DF16_fEEvT2_20rocsparse_direction_NS_24const_host_device_scalarIT0_EES1_PKS1_PKT1_SA_S7_PKT3_PKT4_S5_PT5_21rocsparse_index_base_b,"axG",@progbits,_ZN9rocsparseL20bsrxmvn_17_32_kernelILj26EfllDF16_DF16_fEEvT2_20rocsparse_direction_NS_24const_host_device_scalarIT0_EES1_PKS1_PKT1_SA_S7_PKT3_PKT4_S5_PT5_21rocsparse_index_base_b,comdat
	.globl	_ZN9rocsparseL20bsrxmvn_17_32_kernelILj26EfllDF16_DF16_fEEvT2_20rocsparse_direction_NS_24const_host_device_scalarIT0_EES1_PKS1_PKT1_SA_S7_PKT3_PKT4_S5_PT5_21rocsparse_index_base_b ; -- Begin function _ZN9rocsparseL20bsrxmvn_17_32_kernelILj26EfllDF16_DF16_fEEvT2_20rocsparse_direction_NS_24const_host_device_scalarIT0_EES1_PKS1_PKT1_SA_S7_PKT3_PKT4_S5_PT5_21rocsparse_index_base_b
	.p2align	8
	.type	_ZN9rocsparseL20bsrxmvn_17_32_kernelILj26EfllDF16_DF16_fEEvT2_20rocsparse_direction_NS_24const_host_device_scalarIT0_EES1_PKS1_PKT1_SA_S7_PKT3_PKT4_S5_PT5_21rocsparse_index_base_b,@function
_ZN9rocsparseL20bsrxmvn_17_32_kernelILj26EfllDF16_DF16_fEEvT2_20rocsparse_direction_NS_24const_host_device_scalarIT0_EES1_PKS1_PKT1_SA_S7_PKT3_PKT4_S5_PT5_21rocsparse_index_base_b: ; @_ZN9rocsparseL20bsrxmvn_17_32_kernelILj26EfllDF16_DF16_fEEvT2_20rocsparse_direction_NS_24const_host_device_scalarIT0_EES1_PKS1_PKT1_SA_S7_PKT3_PKT4_S5_PT5_21rocsparse_index_base_b
; %bb.0:
	s_load_dwordx2 s[18:19], s[4:5], 0x60
	s_load_dwordx2 s[14:15], s[4:5], 0x10
	;; [unrolled: 1-line block ×3, first 2 shown]
	s_waitcnt lgkmcnt(0)
	s_bitcmp1_b32 s19, 0
	s_cselect_b64 s[2:3], -1, 0
	s_xor_b64 s[0:1], s[2:3], -1
	s_and_b64 vcc, exec, s[2:3]
	s_cbranch_vccnz .LBB329_2
; %bb.1:
	s_load_dword s14, s[14:15], 0x0
.LBB329_2:
	s_andn2_b64 vcc, exec, s[0:1]
	s_cbranch_vccnz .LBB329_4
; %bb.3:
	s_load_dword s12, s[12:13], 0x0
.LBB329_4:
	s_waitcnt lgkmcnt(0)
	v_cmp_neq_f32_e64 s[0:1], s14, 0
	v_cmp_neq_f32_e64 s[2:3], s12, 1.0
	s_or_b64 s[0:1], s[0:1], s[2:3]
	s_andn2_b64 vcc, exec, s[0:1]
	s_mov_b32 s7, 0
	s_cbranch_vccnz .LBB329_40
; %bb.5:
	s_load_dwordx4 s[0:3], s[4:5], 0x20
	s_load_dwordx2 s[8:9], s[4:5], 0x30
	s_waitcnt lgkmcnt(0)
	s_cmp_eq_u64 s[0:1], 0
	s_cbranch_scc1 .LBB329_7
; %bb.6:
	s_lshl_b64 s[6:7], s[6:7], 3
	s_add_u32 s0, s0, s6
	s_addc_u32 s1, s1, s7
	s_load_dwordx2 s[0:1], s[0:1], 0x0
	s_waitcnt lgkmcnt(0)
	s_sub_u32 s6, s0, s18
	s_subb_u32 s7, s1, 0
.LBB329_7:
	s_load_dword s10, s[4:5], 0x8
	s_load_dwordx2 s[16:17], s[4:5], 0x58
	v_mul_u32_u24_e32 v1, 0x9d9, v0
	v_mov_b32_e32 v2, 26
	v_mul_lo_u16_sdwa v2, v1, v2 dst_sel:DWORD dst_unused:UNUSED_PAD src0_sel:WORD_1 src1_sel:DWORD
	s_waitcnt lgkmcnt(0)
	s_cmp_eq_u32 s10, 1
	s_cselect_b64 s[0:1], -1, 0
	s_cmp_lg_u32 s10, 1
	s_cselect_b64 s[20:21], -1, 0
	s_lshl_b64 s[10:11], s[6:7], 3
	s_add_u32 s24, s2, s10
	s_addc_u32 s25, s3, s11
	s_add_u32 s2, s24, 8
	s_addc_u32 s3, s25, 0
	;; [unrolled: 2-line block ×3, first 2 shown]
	s_cmp_eq_u64 s[8:9], 0
	s_cselect_b32 s9, s3, s11
	s_cselect_b32 s8, s2, s10
	s_load_dwordx2 s[2:3], s[8:9], 0x0
	s_load_dwordx2 s[22:23], s[24:25], 0x0
	v_sub_u16_e32 v11, v0, v2
	s_waitcnt lgkmcnt(0)
	v_mov_b32_e32 v2, s2
	v_mov_b32_e32 v3, s3
	v_cmp_ge_i64_e32 vcc, s[22:23], v[2:3]
	v_mov_b32_e32 v2, 0
	s_cbranch_vccnz .LBB329_12
; %bb.8:
	s_load_dwordx4 s[8:11], s[4:5], 0x38
	s_load_dwordx2 s[24:25], s[4:5], 0x48
	s_mov_b32 s4, 0xffff
	s_movk_i32 s5, 0x2a4
	v_and_b32_sdwa v1, s4, v1 dst_sel:DWORD dst_unused:UNUSED_PAD src0_sel:DWORD src1_sel:WORD_1
	s_sub_u32 s2, s2, s18
	v_subrev_u32_e32 v2, 26, v1
	v_cmp_gt_u32_e32 vcc, s5, v0
	s_subb_u32 s3, s3, 0
	v_cndmask_b32_e32 v1, v2, v1, vcc
	s_sub_u32 s4, s22, s18
	v_cndmask_b32_e64 v1, v11, v1, s[0:1]
	v_mov_b32_e32 v2, 0
	s_subb_u32 s5, s23, 0
	v_lshlrev_b64 v[3:4], 1, v[1:2]
	s_mul_i32 s0, s5, 0x548
	s_mul_hi_u32 s1, s4, 0x548
	s_add_i32 s1, s1, s0
	s_mul_i32 s0, s4, 0x548
	s_waitcnt lgkmcnt(0)
	v_mov_b32_e32 v1, s25
	v_add_co_u32_e32 v3, vcc, s24, v3
	s_add_u32 s0, s10, s0
	v_addc_co_u32_e32 v4, vcc, v1, v4, vcc
	s_addc_u32 s1, s11, s1
	v_lshlrev_b32_e32 v1, 1, v0
	v_mov_b32_e32 v6, s1
	v_add_co_u32_e32 v5, vcc, s0, v1
	v_addc_co_u32_e32 v6, vcc, 0, v6, vcc
	s_movk_i32 s0, 0x2a3
	v_cmp_lt_u32_e32 vcc, s0, v0
	v_cndmask_b32_e64 v1, 0, 1, vcc
	v_mov_b32_e32 v7, s23
	v_add_co_u32_e32 v8, vcc, s22, v1
	v_addc_co_u32_e32 v9, vcc, 0, v7, vcc
	v_subrev_co_u32_e32 v7, vcc, s18, v8
	v_subbrev_co_u32_e32 v8, vcc, 0, v9, vcc
	v_lshlrev_b64 v[7:8], 3, v[7:8]
	v_mov_b32_e32 v9, s9
	v_add_co_u32_e32 v7, vcc, s8, v7
	v_addc_co_u32_e32 v8, vcc, v9, v8, vcc
	v_mov_b32_e32 v10, s3
	v_mov_b32_e32 v9, s2
	s_branch .LBB329_10
.LBB329_9:                              ;   in Loop: Header=BB329_10 Depth=1
	s_or_b64 exec, exec, s[0:1]
	s_add_u32 s4, s4, 1
	s_addc_u32 s5, s5, 0
	v_cmp_lt_i64_e32 vcc, s[4:5], v[9:10]
	v_add_co_u32_e64 v7, s[0:1], 8, v7
	v_addc_co_u32_e64 v8, s[0:1], 0, v8, s[0:1]
	s_cbranch_vccz .LBB329_12
.LBB329_10:                             ; =>This Inner Loop Header: Depth=1
	v_mov_b32_e32 v13, s5
	v_add_co_u32_e32 v12, vcc, s4, v1
	v_addc_co_u32_e32 v13, vcc, 0, v13, vcc
	v_cmp_gt_i64_e32 vcc, s[2:3], v[12:13]
	s_and_saveexec_b64 s[0:1], vcc
	s_cbranch_execz .LBB329_9
; %bb.11:                               ;   in Loop: Header=BB329_10 Depth=1
	global_load_dwordx2 v[12:13], v[7:8], off
	s_waitcnt vmcnt(0)
	v_subrev_co_u32_e32 v12, vcc, s18, v12
	v_subbrev_co_u32_e32 v14, vcc, 0, v13, vcc
	v_mad_u64_u32 v[12:13], s[8:9], v12, 52, v[3:4]
	v_mad_u64_u32 v[13:14], s[8:9], v14, 52, v[13:14]
	global_load_ushort v14, v[5:6], off
	s_nop 0
	global_load_ushort v12, v[12:13], off
	v_add_co_u32_e32 v5, vcc, 0x548, v5
	v_addc_co_u32_e32 v6, vcc, 0, v6, vcc
	s_waitcnt vmcnt(0)
	v_fma_mix_f32 v2, v14, v12, v2 op_sel_hi:[1,1,0]
	s_branch .LBB329_9
.LBB329_12:
	v_lshlrev_b32_e32 v1, 2, v0
	s_and_b64 vcc, exec, s[20:21]
	ds_write_b32 v1, v2
	s_waitcnt lgkmcnt(0)
	s_barrier
	s_cbranch_vccz .LBB329_24
; %bb.13:
	v_cmp_gt_u16_e32 vcc, 10, v11
	s_and_saveexec_b64 s[0:1], vcc
	s_cbranch_execz .LBB329_15
; %bb.14:
	ds_read2_b32 v[3:4], v1 offset1:16
	s_waitcnt lgkmcnt(0)
	v_add_f32_e32 v3, v4, v3
	ds_write_b32 v1, v3
.LBB329_15:
	s_or_b64 exec, exec, s[0:1]
	v_cmp_gt_u16_e32 vcc, 8, v11
	s_waitcnt lgkmcnt(0)
	s_barrier
	s_and_saveexec_b64 s[0:1], vcc
	s_cbranch_execz .LBB329_17
; %bb.16:
	ds_read2_b32 v[3:4], v1 offset1:8
	s_waitcnt lgkmcnt(0)
	v_add_f32_e32 v3, v4, v3
	ds_write_b32 v1, v3
.LBB329_17:
	s_or_b64 exec, exec, s[0:1]
	v_cmp_gt_u16_e32 vcc, 4, v11
	s_waitcnt lgkmcnt(0)
	s_barrier
	;; [unrolled: 12-line block ×3, first 2 shown]
	s_and_saveexec_b64 s[0:1], vcc
	s_cbranch_execz .LBB329_21
; %bb.20:
	ds_read2_b32 v[3:4], v1 offset1:2
	s_waitcnt lgkmcnt(0)
	v_add_f32_e32 v3, v4, v3
	ds_write_b32 v1, v3
.LBB329_21:
	s_or_b64 exec, exec, s[0:1]
	v_cmp_gt_u32_e32 vcc, 26, v0
	v_mov_b32_e32 v3, v2
	s_waitcnt lgkmcnt(0)
	s_barrier
	s_and_saveexec_b64 s[0:1], vcc
	s_cbranch_execz .LBB329_23
; %bb.22:
	s_movk_i32 s2, 0x64
	v_mad_u32_u24 v3, v0, s2, v1
	ds_read_b64 v[3:4], v3
	s_waitcnt lgkmcnt(0)
	v_add_f32_e32 v3, v3, v4
.LBB329_23:
	s_or_b64 exec, exec, s[0:1]
	s_branch .LBB329_36
.LBB329_24:
                                        ; implicit-def: $vgpr3
	s_cbranch_execz .LBB329_36
; %bb.25:
	s_movk_i32 s0, 0x104
	v_cmp_gt_u32_e32 vcc, s0, v0
	s_and_saveexec_b64 s[0:1], vcc
	s_cbranch_execz .LBB329_27
; %bb.26:
	ds_read_b32 v3, v1 offset:1664
	ds_read_b32 v4, v1
	s_waitcnt lgkmcnt(0)
	v_add_f32_e32 v3, v3, v4
	ds_write_b32 v1, v3
.LBB329_27:
	s_or_b64 exec, exec, s[0:1]
	s_movk_i32 s0, 0xd0
	v_cmp_gt_u32_e32 vcc, s0, v0
	s_waitcnt lgkmcnt(0)
	s_barrier
	s_and_saveexec_b64 s[0:1], vcc
	s_cbranch_execz .LBB329_29
; %bb.28:
	ds_read2_b32 v[3:4], v1 offset1:208
	s_waitcnt lgkmcnt(0)
	v_add_f32_e32 v3, v4, v3
	ds_write_b32 v1, v3
.LBB329_29:
	s_or_b64 exec, exec, s[0:1]
	s_movk_i32 s0, 0x68
	v_cmp_gt_u32_e32 vcc, s0, v0
	s_waitcnt lgkmcnt(0)
	s_barrier
	s_and_saveexec_b64 s[0:1], vcc
	s_cbranch_execz .LBB329_31
; %bb.30:
	ds_read2_b32 v[3:4], v1 offset1:104
	s_waitcnt lgkmcnt(0)
	v_add_f32_e32 v3, v4, v3
	ds_write_b32 v1, v3
.LBB329_31:
	s_or_b64 exec, exec, s[0:1]
	v_cmp_gt_u32_e32 vcc, 52, v0
	s_waitcnt lgkmcnt(0)
	s_barrier
	s_and_saveexec_b64 s[0:1], vcc
	s_cbranch_execz .LBB329_33
; %bb.32:
	ds_read2_b32 v[3:4], v1 offset1:52
	s_waitcnt lgkmcnt(0)
	v_add_f32_e32 v3, v4, v3
	ds_write_b32 v1, v3
.LBB329_33:
	s_or_b64 exec, exec, s[0:1]
	v_cmp_gt_u32_e32 vcc, 26, v0
	s_waitcnt lgkmcnt(0)
	s_and_saveexec_b64 s[0:1], vcc
	s_cbranch_execz .LBB329_35
; %bb.34:
	ds_read2_b32 v[2:3], v1 offset1:26
	s_waitcnt lgkmcnt(0)
	v_add_f32_e32 v2, v2, v3
.LBB329_35:
	s_or_b64 exec, exec, s[0:1]
	v_mov_b32_e32 v3, v2
.LBB329_36:
	v_cmp_gt_u32_e32 vcc, 26, v0
	s_and_saveexec_b64 s[0:1], vcc
	s_cbranch_execz .LBB329_40
; %bb.37:
	v_cmp_eq_f32_e64 s[0:1], s12, 0
	s_and_b64 vcc, exec, s[0:1]
	v_mul_f32_e32 v0, s14, v3
	s_mul_i32 s2, s7, 0x68
	s_mul_hi_u32 s3, s6, 0x68
	s_mul_i32 s4, s6, 0x68
	s_cbranch_vccz .LBB329_41
; %bb.38:
	s_add_i32 s1, s3, s2
	s_add_u32 s0, s16, s4
	s_addc_u32 s1, s17, s1
	global_store_dword v1, v0, s[0:1]
	s_cbranch_execnz .LBB329_40
.LBB329_39:
	s_add_i32 s3, s3, s2
	s_add_u32 s0, s16, s4
	s_addc_u32 s1, s17, s3
	global_load_dword v2, v1, s[0:1]
	s_waitcnt vmcnt(0)
	v_fmac_f32_e32 v0, s12, v2
	global_store_dword v1, v0, s[0:1]
.LBB329_40:
	s_endpgm
.LBB329_41:
	s_branch .LBB329_39
	.section	.rodata,"a",@progbits
	.p2align	6, 0x0
	.amdhsa_kernel _ZN9rocsparseL20bsrxmvn_17_32_kernelILj26EfllDF16_DF16_fEEvT2_20rocsparse_direction_NS_24const_host_device_scalarIT0_EES1_PKS1_PKT1_SA_S7_PKT3_PKT4_S5_PT5_21rocsparse_index_base_b
		.amdhsa_group_segment_fixed_size 2704
		.amdhsa_private_segment_fixed_size 0
		.amdhsa_kernarg_size 104
		.amdhsa_user_sgpr_count 6
		.amdhsa_user_sgpr_private_segment_buffer 1
		.amdhsa_user_sgpr_dispatch_ptr 0
		.amdhsa_user_sgpr_queue_ptr 0
		.amdhsa_user_sgpr_kernarg_segment_ptr 1
		.amdhsa_user_sgpr_dispatch_id 0
		.amdhsa_user_sgpr_flat_scratch_init 0
		.amdhsa_user_sgpr_private_segment_size 0
		.amdhsa_uses_dynamic_stack 0
		.amdhsa_system_sgpr_private_segment_wavefront_offset 0
		.amdhsa_system_sgpr_workgroup_id_x 1
		.amdhsa_system_sgpr_workgroup_id_y 0
		.amdhsa_system_sgpr_workgroup_id_z 0
		.amdhsa_system_sgpr_workgroup_info 0
		.amdhsa_system_vgpr_workitem_id 0
		.amdhsa_next_free_vgpr 25
		.amdhsa_next_free_sgpr 61
		.amdhsa_reserve_vcc 1
		.amdhsa_reserve_flat_scratch 0
		.amdhsa_float_round_mode_32 0
		.amdhsa_float_round_mode_16_64 0
		.amdhsa_float_denorm_mode_32 3
		.amdhsa_float_denorm_mode_16_64 3
		.amdhsa_dx10_clamp 1
		.amdhsa_ieee_mode 1
		.amdhsa_fp16_overflow 0
		.amdhsa_exception_fp_ieee_invalid_op 0
		.amdhsa_exception_fp_denorm_src 0
		.amdhsa_exception_fp_ieee_div_zero 0
		.amdhsa_exception_fp_ieee_overflow 0
		.amdhsa_exception_fp_ieee_underflow 0
		.amdhsa_exception_fp_ieee_inexact 0
		.amdhsa_exception_int_div_zero 0
	.end_amdhsa_kernel
	.section	.text._ZN9rocsparseL20bsrxmvn_17_32_kernelILj26EfllDF16_DF16_fEEvT2_20rocsparse_direction_NS_24const_host_device_scalarIT0_EES1_PKS1_PKT1_SA_S7_PKT3_PKT4_S5_PT5_21rocsparse_index_base_b,"axG",@progbits,_ZN9rocsparseL20bsrxmvn_17_32_kernelILj26EfllDF16_DF16_fEEvT2_20rocsparse_direction_NS_24const_host_device_scalarIT0_EES1_PKS1_PKT1_SA_S7_PKT3_PKT4_S5_PT5_21rocsparse_index_base_b,comdat
.Lfunc_end329:
	.size	_ZN9rocsparseL20bsrxmvn_17_32_kernelILj26EfllDF16_DF16_fEEvT2_20rocsparse_direction_NS_24const_host_device_scalarIT0_EES1_PKS1_PKT1_SA_S7_PKT3_PKT4_S5_PT5_21rocsparse_index_base_b, .Lfunc_end329-_ZN9rocsparseL20bsrxmvn_17_32_kernelILj26EfllDF16_DF16_fEEvT2_20rocsparse_direction_NS_24const_host_device_scalarIT0_EES1_PKS1_PKT1_SA_S7_PKT3_PKT4_S5_PT5_21rocsparse_index_base_b
                                        ; -- End function
	.set _ZN9rocsparseL20bsrxmvn_17_32_kernelILj26EfllDF16_DF16_fEEvT2_20rocsparse_direction_NS_24const_host_device_scalarIT0_EES1_PKS1_PKT1_SA_S7_PKT3_PKT4_S5_PT5_21rocsparse_index_base_b.num_vgpr, 15
	.set _ZN9rocsparseL20bsrxmvn_17_32_kernelILj26EfllDF16_DF16_fEEvT2_20rocsparse_direction_NS_24const_host_device_scalarIT0_EES1_PKS1_PKT1_SA_S7_PKT3_PKT4_S5_PT5_21rocsparse_index_base_b.num_agpr, 0
	.set _ZN9rocsparseL20bsrxmvn_17_32_kernelILj26EfllDF16_DF16_fEEvT2_20rocsparse_direction_NS_24const_host_device_scalarIT0_EES1_PKS1_PKT1_SA_S7_PKT3_PKT4_S5_PT5_21rocsparse_index_base_b.numbered_sgpr, 26
	.set _ZN9rocsparseL20bsrxmvn_17_32_kernelILj26EfllDF16_DF16_fEEvT2_20rocsparse_direction_NS_24const_host_device_scalarIT0_EES1_PKS1_PKT1_SA_S7_PKT3_PKT4_S5_PT5_21rocsparse_index_base_b.num_named_barrier, 0
	.set _ZN9rocsparseL20bsrxmvn_17_32_kernelILj26EfllDF16_DF16_fEEvT2_20rocsparse_direction_NS_24const_host_device_scalarIT0_EES1_PKS1_PKT1_SA_S7_PKT3_PKT4_S5_PT5_21rocsparse_index_base_b.private_seg_size, 0
	.set _ZN9rocsparseL20bsrxmvn_17_32_kernelILj26EfllDF16_DF16_fEEvT2_20rocsparse_direction_NS_24const_host_device_scalarIT0_EES1_PKS1_PKT1_SA_S7_PKT3_PKT4_S5_PT5_21rocsparse_index_base_b.uses_vcc, 1
	.set _ZN9rocsparseL20bsrxmvn_17_32_kernelILj26EfllDF16_DF16_fEEvT2_20rocsparse_direction_NS_24const_host_device_scalarIT0_EES1_PKS1_PKT1_SA_S7_PKT3_PKT4_S5_PT5_21rocsparse_index_base_b.uses_flat_scratch, 0
	.set _ZN9rocsparseL20bsrxmvn_17_32_kernelILj26EfllDF16_DF16_fEEvT2_20rocsparse_direction_NS_24const_host_device_scalarIT0_EES1_PKS1_PKT1_SA_S7_PKT3_PKT4_S5_PT5_21rocsparse_index_base_b.has_dyn_sized_stack, 0
	.set _ZN9rocsparseL20bsrxmvn_17_32_kernelILj26EfllDF16_DF16_fEEvT2_20rocsparse_direction_NS_24const_host_device_scalarIT0_EES1_PKS1_PKT1_SA_S7_PKT3_PKT4_S5_PT5_21rocsparse_index_base_b.has_recursion, 0
	.set _ZN9rocsparseL20bsrxmvn_17_32_kernelILj26EfllDF16_DF16_fEEvT2_20rocsparse_direction_NS_24const_host_device_scalarIT0_EES1_PKS1_PKT1_SA_S7_PKT3_PKT4_S5_PT5_21rocsparse_index_base_b.has_indirect_call, 0
	.section	.AMDGPU.csdata,"",@progbits
; Kernel info:
; codeLenInByte = 1316
; TotalNumSgprs: 30
; NumVgprs: 15
; ScratchSize: 0
; MemoryBound: 0
; FloatMode: 240
; IeeeMode: 1
; LDSByteSize: 2704 bytes/workgroup (compile time only)
; SGPRBlocks: 8
; VGPRBlocks: 6
; NumSGPRsForWavesPerEU: 65
; NumVGPRsForWavesPerEU: 25
; Occupancy: 9
; WaveLimiterHint : 1
; COMPUTE_PGM_RSRC2:SCRATCH_EN: 0
; COMPUTE_PGM_RSRC2:USER_SGPR: 6
; COMPUTE_PGM_RSRC2:TRAP_HANDLER: 0
; COMPUTE_PGM_RSRC2:TGID_X_EN: 1
; COMPUTE_PGM_RSRC2:TGID_Y_EN: 0
; COMPUTE_PGM_RSRC2:TGID_Z_EN: 0
; COMPUTE_PGM_RSRC2:TIDIG_COMP_CNT: 0
	.section	.text._ZN9rocsparseL20bsrxmvn_17_32_kernelILj27EfllDF16_DF16_fEEvT2_20rocsparse_direction_NS_24const_host_device_scalarIT0_EES1_PKS1_PKT1_SA_S7_PKT3_PKT4_S5_PT5_21rocsparse_index_base_b,"axG",@progbits,_ZN9rocsparseL20bsrxmvn_17_32_kernelILj27EfllDF16_DF16_fEEvT2_20rocsparse_direction_NS_24const_host_device_scalarIT0_EES1_PKS1_PKT1_SA_S7_PKT3_PKT4_S5_PT5_21rocsparse_index_base_b,comdat
	.globl	_ZN9rocsparseL20bsrxmvn_17_32_kernelILj27EfllDF16_DF16_fEEvT2_20rocsparse_direction_NS_24const_host_device_scalarIT0_EES1_PKS1_PKT1_SA_S7_PKT3_PKT4_S5_PT5_21rocsparse_index_base_b ; -- Begin function _ZN9rocsparseL20bsrxmvn_17_32_kernelILj27EfllDF16_DF16_fEEvT2_20rocsparse_direction_NS_24const_host_device_scalarIT0_EES1_PKS1_PKT1_SA_S7_PKT3_PKT4_S5_PT5_21rocsparse_index_base_b
	.p2align	8
	.type	_ZN9rocsparseL20bsrxmvn_17_32_kernelILj27EfllDF16_DF16_fEEvT2_20rocsparse_direction_NS_24const_host_device_scalarIT0_EES1_PKS1_PKT1_SA_S7_PKT3_PKT4_S5_PT5_21rocsparse_index_base_b,@function
_ZN9rocsparseL20bsrxmvn_17_32_kernelILj27EfllDF16_DF16_fEEvT2_20rocsparse_direction_NS_24const_host_device_scalarIT0_EES1_PKS1_PKT1_SA_S7_PKT3_PKT4_S5_PT5_21rocsparse_index_base_b: ; @_ZN9rocsparseL20bsrxmvn_17_32_kernelILj27EfllDF16_DF16_fEEvT2_20rocsparse_direction_NS_24const_host_device_scalarIT0_EES1_PKS1_PKT1_SA_S7_PKT3_PKT4_S5_PT5_21rocsparse_index_base_b
; %bb.0:
	s_load_dwordx2 s[18:19], s[4:5], 0x60
	s_load_dwordx2 s[14:15], s[4:5], 0x10
	;; [unrolled: 1-line block ×3, first 2 shown]
	s_waitcnt lgkmcnt(0)
	s_bitcmp1_b32 s19, 0
	s_cselect_b64 s[2:3], -1, 0
	s_xor_b64 s[0:1], s[2:3], -1
	s_and_b64 vcc, exec, s[2:3]
	s_cbranch_vccnz .LBB330_2
; %bb.1:
	s_load_dword s14, s[14:15], 0x0
.LBB330_2:
	s_andn2_b64 vcc, exec, s[0:1]
	s_cbranch_vccnz .LBB330_4
; %bb.3:
	s_load_dword s12, s[12:13], 0x0
.LBB330_4:
	s_waitcnt lgkmcnt(0)
	v_cmp_neq_f32_e64 s[0:1], s14, 0
	v_cmp_neq_f32_e64 s[2:3], s12, 1.0
	s_or_b64 s[0:1], s[0:1], s[2:3]
	s_andn2_b64 vcc, exec, s[0:1]
	s_mov_b32 s7, 0
	s_cbranch_vccnz .LBB330_40
; %bb.5:
	s_load_dwordx4 s[0:3], s[4:5], 0x20
	s_load_dwordx2 s[8:9], s[4:5], 0x30
	s_waitcnt lgkmcnt(0)
	s_cmp_eq_u64 s[0:1], 0
	s_cbranch_scc1 .LBB330_7
; %bb.6:
	s_lshl_b64 s[6:7], s[6:7], 3
	s_add_u32 s0, s0, s6
	s_addc_u32 s1, s1, s7
	s_load_dwordx2 s[0:1], s[0:1], 0x0
	s_waitcnt lgkmcnt(0)
	s_sub_u32 s6, s0, s18
	s_subb_u32 s7, s1, 0
.LBB330_7:
	s_load_dword s10, s[4:5], 0x8
	s_load_dwordx2 s[16:17], s[4:5], 0x58
	v_mul_u32_u24_e32 v1, 0x97c, v0
	v_mov_b32_e32 v2, 27
	v_mul_lo_u16_sdwa v2, v1, v2 dst_sel:DWORD dst_unused:UNUSED_PAD src0_sel:WORD_1 src1_sel:DWORD
	s_waitcnt lgkmcnt(0)
	s_cmp_eq_u32 s10, 1
	s_cselect_b64 s[0:1], -1, 0
	s_cmp_lg_u32 s10, 1
	s_cselect_b64 s[20:21], -1, 0
	s_lshl_b64 s[10:11], s[6:7], 3
	s_add_u32 s24, s2, s10
	s_addc_u32 s25, s3, s11
	s_add_u32 s2, s24, 8
	s_addc_u32 s3, s25, 0
	;; [unrolled: 2-line block ×3, first 2 shown]
	s_cmp_eq_u64 s[8:9], 0
	s_cselect_b32 s9, s3, s11
	s_cselect_b32 s8, s2, s10
	s_load_dwordx2 s[2:3], s[8:9], 0x0
	s_load_dwordx2 s[22:23], s[24:25], 0x0
	v_sub_u16_e32 v11, v0, v2
	s_waitcnt lgkmcnt(0)
	v_mov_b32_e32 v2, s2
	v_mov_b32_e32 v3, s3
	v_cmp_ge_i64_e32 vcc, s[22:23], v[2:3]
	v_mov_b32_e32 v2, 0
	s_cbranch_vccnz .LBB330_12
; %bb.8:
	s_load_dwordx4 s[8:11], s[4:5], 0x38
	s_load_dwordx2 s[24:25], s[4:5], 0x48
	s_mov_b32 s4, 0xffff
	s_movk_i32 s5, 0x2d9
	v_and_b32_sdwa v1, s4, v1 dst_sel:DWORD dst_unused:UNUSED_PAD src0_sel:DWORD src1_sel:WORD_1
	s_sub_u32 s2, s2, s18
	v_subrev_u32_e32 v2, 27, v1
	v_cmp_gt_u32_e32 vcc, s5, v0
	s_subb_u32 s3, s3, 0
	v_cndmask_b32_e32 v1, v2, v1, vcc
	s_sub_u32 s4, s22, s18
	v_cndmask_b32_e64 v1, v11, v1, s[0:1]
	v_mov_b32_e32 v2, 0
	s_subb_u32 s5, s23, 0
	v_lshlrev_b64 v[3:4], 1, v[1:2]
	s_mul_i32 s0, s5, 0x5b2
	s_mul_hi_u32 s1, s4, 0x5b2
	s_add_i32 s1, s1, s0
	s_mul_i32 s0, s4, 0x5b2
	s_waitcnt lgkmcnt(0)
	v_mov_b32_e32 v1, s25
	v_add_co_u32_e32 v3, vcc, s24, v3
	s_add_u32 s0, s10, s0
	v_addc_co_u32_e32 v4, vcc, v1, v4, vcc
	s_addc_u32 s1, s11, s1
	v_lshlrev_b32_e32 v1, 1, v0
	v_mov_b32_e32 v6, s1
	v_add_co_u32_e32 v5, vcc, s0, v1
	v_addc_co_u32_e32 v6, vcc, 0, v6, vcc
	s_movk_i32 s0, 0x2d8
	v_cmp_lt_u32_e32 vcc, s0, v0
	v_cndmask_b32_e64 v1, 0, 1, vcc
	v_mov_b32_e32 v7, s23
	v_add_co_u32_e32 v8, vcc, s22, v1
	v_addc_co_u32_e32 v9, vcc, 0, v7, vcc
	v_subrev_co_u32_e32 v7, vcc, s18, v8
	v_subbrev_co_u32_e32 v8, vcc, 0, v9, vcc
	v_lshlrev_b64 v[7:8], 3, v[7:8]
	v_mov_b32_e32 v9, s9
	v_add_co_u32_e32 v7, vcc, s8, v7
	v_addc_co_u32_e32 v8, vcc, v9, v8, vcc
	v_mov_b32_e32 v10, s3
	v_mov_b32_e32 v9, s2
	s_branch .LBB330_10
.LBB330_9:                              ;   in Loop: Header=BB330_10 Depth=1
	s_or_b64 exec, exec, s[0:1]
	s_add_u32 s4, s4, 1
	s_addc_u32 s5, s5, 0
	v_cmp_lt_i64_e32 vcc, s[4:5], v[9:10]
	v_add_co_u32_e64 v7, s[0:1], 8, v7
	v_addc_co_u32_e64 v8, s[0:1], 0, v8, s[0:1]
	s_cbranch_vccz .LBB330_12
.LBB330_10:                             ; =>This Inner Loop Header: Depth=1
	v_mov_b32_e32 v13, s5
	v_add_co_u32_e32 v12, vcc, s4, v1
	v_addc_co_u32_e32 v13, vcc, 0, v13, vcc
	v_cmp_gt_i64_e32 vcc, s[2:3], v[12:13]
	s_and_saveexec_b64 s[0:1], vcc
	s_cbranch_execz .LBB330_9
; %bb.11:                               ;   in Loop: Header=BB330_10 Depth=1
	global_load_dwordx2 v[12:13], v[7:8], off
	s_waitcnt vmcnt(0)
	v_subrev_co_u32_e32 v12, vcc, s18, v12
	v_subbrev_co_u32_e32 v14, vcc, 0, v13, vcc
	v_mad_u64_u32 v[12:13], s[8:9], v12, 54, v[3:4]
	v_mad_u64_u32 v[13:14], s[8:9], v14, 54, v[13:14]
	global_load_ushort v14, v[5:6], off
	s_nop 0
	global_load_ushort v12, v[12:13], off
	v_add_co_u32_e32 v5, vcc, 0x5b2, v5
	v_addc_co_u32_e32 v6, vcc, 0, v6, vcc
	s_waitcnt vmcnt(0)
	v_fma_mix_f32 v2, v14, v12, v2 op_sel_hi:[1,1,0]
	s_branch .LBB330_9
.LBB330_12:
	v_lshlrev_b32_e32 v1, 2, v0
	s_and_b64 vcc, exec, s[20:21]
	ds_write_b32 v1, v2
	s_waitcnt lgkmcnt(0)
	s_barrier
	s_cbranch_vccz .LBB330_24
; %bb.13:
	v_cmp_gt_u16_e32 vcc, 11, v11
	s_and_saveexec_b64 s[0:1], vcc
	s_cbranch_execz .LBB330_15
; %bb.14:
	ds_read2_b32 v[3:4], v1 offset1:16
	s_waitcnt lgkmcnt(0)
	v_add_f32_e32 v3, v4, v3
	ds_write_b32 v1, v3
.LBB330_15:
	s_or_b64 exec, exec, s[0:1]
	v_cmp_gt_u16_e32 vcc, 8, v11
	s_waitcnt lgkmcnt(0)
	s_barrier
	s_and_saveexec_b64 s[0:1], vcc
	s_cbranch_execz .LBB330_17
; %bb.16:
	ds_read2_b32 v[3:4], v1 offset1:8
	s_waitcnt lgkmcnt(0)
	v_add_f32_e32 v3, v4, v3
	ds_write_b32 v1, v3
.LBB330_17:
	s_or_b64 exec, exec, s[0:1]
	v_cmp_gt_u16_e32 vcc, 4, v11
	s_waitcnt lgkmcnt(0)
	s_barrier
	;; [unrolled: 12-line block ×3, first 2 shown]
	s_and_saveexec_b64 s[0:1], vcc
	s_cbranch_execz .LBB330_21
; %bb.20:
	ds_read2_b32 v[3:4], v1 offset1:2
	s_waitcnt lgkmcnt(0)
	v_add_f32_e32 v3, v4, v3
	ds_write_b32 v1, v3
.LBB330_21:
	s_or_b64 exec, exec, s[0:1]
	v_cmp_gt_u32_e32 vcc, 27, v0
	v_mov_b32_e32 v3, v2
	s_waitcnt lgkmcnt(0)
	s_barrier
	s_and_saveexec_b64 s[0:1], vcc
	s_cbranch_execz .LBB330_23
; %bb.22:
	s_movk_i32 s2, 0x68
	v_mad_u32_u24 v3, v0, s2, v1
	ds_read2_b32 v[3:4], v3 offset1:1
	s_waitcnt lgkmcnt(0)
	v_add_f32_e32 v3, v3, v4
.LBB330_23:
	s_or_b64 exec, exec, s[0:1]
	s_branch .LBB330_36
.LBB330_24:
                                        ; implicit-def: $vgpr3
	s_cbranch_execz .LBB330_36
; %bb.25:
	s_movk_i32 s0, 0x129
	v_cmp_gt_u32_e32 vcc, s0, v0
	s_and_saveexec_b64 s[0:1], vcc
	s_cbranch_execz .LBB330_27
; %bb.26:
	ds_read_b32 v3, v1 offset:1728
	ds_read_b32 v4, v1
	s_waitcnt lgkmcnt(0)
	v_add_f32_e32 v3, v3, v4
	ds_write_b32 v1, v3
.LBB330_27:
	s_or_b64 exec, exec, s[0:1]
	s_movk_i32 s0, 0xd8
	v_cmp_gt_u32_e32 vcc, s0, v0
	s_waitcnt lgkmcnt(0)
	s_barrier
	s_and_saveexec_b64 s[0:1], vcc
	s_cbranch_execz .LBB330_29
; %bb.28:
	ds_read2_b32 v[3:4], v1 offset1:216
	s_waitcnt lgkmcnt(0)
	v_add_f32_e32 v3, v4, v3
	ds_write_b32 v1, v3
.LBB330_29:
	s_or_b64 exec, exec, s[0:1]
	s_movk_i32 s0, 0x6c
	v_cmp_gt_u32_e32 vcc, s0, v0
	s_waitcnt lgkmcnt(0)
	s_barrier
	s_and_saveexec_b64 s[0:1], vcc
	s_cbranch_execz .LBB330_31
; %bb.30:
	ds_read2_b32 v[3:4], v1 offset1:108
	s_waitcnt lgkmcnt(0)
	v_add_f32_e32 v3, v4, v3
	ds_write_b32 v1, v3
.LBB330_31:
	s_or_b64 exec, exec, s[0:1]
	v_cmp_gt_u32_e32 vcc, 54, v0
	s_waitcnt lgkmcnt(0)
	s_barrier
	s_and_saveexec_b64 s[0:1], vcc
	s_cbranch_execz .LBB330_33
; %bb.32:
	ds_read2_b32 v[3:4], v1 offset1:54
	s_waitcnt lgkmcnt(0)
	v_add_f32_e32 v3, v4, v3
	ds_write_b32 v1, v3
.LBB330_33:
	s_or_b64 exec, exec, s[0:1]
	v_cmp_gt_u32_e32 vcc, 27, v0
	s_waitcnt lgkmcnt(0)
	s_and_saveexec_b64 s[0:1], vcc
	s_cbranch_execz .LBB330_35
; %bb.34:
	ds_read2_b32 v[2:3], v1 offset1:27
	s_waitcnt lgkmcnt(0)
	v_add_f32_e32 v2, v2, v3
.LBB330_35:
	s_or_b64 exec, exec, s[0:1]
	v_mov_b32_e32 v3, v2
.LBB330_36:
	v_cmp_gt_u32_e32 vcc, 27, v0
	s_and_saveexec_b64 s[0:1], vcc
	s_cbranch_execz .LBB330_40
; %bb.37:
	v_cmp_eq_f32_e64 s[0:1], s12, 0
	s_and_b64 vcc, exec, s[0:1]
	v_mul_f32_e32 v0, s14, v3
	s_mul_i32 s2, s7, 0x6c
	s_mul_hi_u32 s3, s6, 0x6c
	s_mul_i32 s4, s6, 0x6c
	s_cbranch_vccz .LBB330_41
; %bb.38:
	s_add_i32 s1, s3, s2
	s_add_u32 s0, s16, s4
	s_addc_u32 s1, s17, s1
	global_store_dword v1, v0, s[0:1]
	s_cbranch_execnz .LBB330_40
.LBB330_39:
	s_add_i32 s3, s3, s2
	s_add_u32 s0, s16, s4
	s_addc_u32 s1, s17, s3
	global_load_dword v2, v1, s[0:1]
	s_waitcnt vmcnt(0)
	v_fmac_f32_e32 v0, s12, v2
	global_store_dword v1, v0, s[0:1]
.LBB330_40:
	s_endpgm
.LBB330_41:
	s_branch .LBB330_39
	.section	.rodata,"a",@progbits
	.p2align	6, 0x0
	.amdhsa_kernel _ZN9rocsparseL20bsrxmvn_17_32_kernelILj27EfllDF16_DF16_fEEvT2_20rocsparse_direction_NS_24const_host_device_scalarIT0_EES1_PKS1_PKT1_SA_S7_PKT3_PKT4_S5_PT5_21rocsparse_index_base_b
		.amdhsa_group_segment_fixed_size 2916
		.amdhsa_private_segment_fixed_size 0
		.amdhsa_kernarg_size 104
		.amdhsa_user_sgpr_count 6
		.amdhsa_user_sgpr_private_segment_buffer 1
		.amdhsa_user_sgpr_dispatch_ptr 0
		.amdhsa_user_sgpr_queue_ptr 0
		.amdhsa_user_sgpr_kernarg_segment_ptr 1
		.amdhsa_user_sgpr_dispatch_id 0
		.amdhsa_user_sgpr_flat_scratch_init 0
		.amdhsa_user_sgpr_private_segment_size 0
		.amdhsa_uses_dynamic_stack 0
		.amdhsa_system_sgpr_private_segment_wavefront_offset 0
		.amdhsa_system_sgpr_workgroup_id_x 1
		.amdhsa_system_sgpr_workgroup_id_y 0
		.amdhsa_system_sgpr_workgroup_id_z 0
		.amdhsa_system_sgpr_workgroup_info 0
		.amdhsa_system_vgpr_workitem_id 0
		.amdhsa_next_free_vgpr 25
		.amdhsa_next_free_sgpr 61
		.amdhsa_reserve_vcc 1
		.amdhsa_reserve_flat_scratch 0
		.amdhsa_float_round_mode_32 0
		.amdhsa_float_round_mode_16_64 0
		.amdhsa_float_denorm_mode_32 3
		.amdhsa_float_denorm_mode_16_64 3
		.amdhsa_dx10_clamp 1
		.amdhsa_ieee_mode 1
		.amdhsa_fp16_overflow 0
		.amdhsa_exception_fp_ieee_invalid_op 0
		.amdhsa_exception_fp_denorm_src 0
		.amdhsa_exception_fp_ieee_div_zero 0
		.amdhsa_exception_fp_ieee_overflow 0
		.amdhsa_exception_fp_ieee_underflow 0
		.amdhsa_exception_fp_ieee_inexact 0
		.amdhsa_exception_int_div_zero 0
	.end_amdhsa_kernel
	.section	.text._ZN9rocsparseL20bsrxmvn_17_32_kernelILj27EfllDF16_DF16_fEEvT2_20rocsparse_direction_NS_24const_host_device_scalarIT0_EES1_PKS1_PKT1_SA_S7_PKT3_PKT4_S5_PT5_21rocsparse_index_base_b,"axG",@progbits,_ZN9rocsparseL20bsrxmvn_17_32_kernelILj27EfllDF16_DF16_fEEvT2_20rocsparse_direction_NS_24const_host_device_scalarIT0_EES1_PKS1_PKT1_SA_S7_PKT3_PKT4_S5_PT5_21rocsparse_index_base_b,comdat
.Lfunc_end330:
	.size	_ZN9rocsparseL20bsrxmvn_17_32_kernelILj27EfllDF16_DF16_fEEvT2_20rocsparse_direction_NS_24const_host_device_scalarIT0_EES1_PKS1_PKT1_SA_S7_PKT3_PKT4_S5_PT5_21rocsparse_index_base_b, .Lfunc_end330-_ZN9rocsparseL20bsrxmvn_17_32_kernelILj27EfllDF16_DF16_fEEvT2_20rocsparse_direction_NS_24const_host_device_scalarIT0_EES1_PKS1_PKT1_SA_S7_PKT3_PKT4_S5_PT5_21rocsparse_index_base_b
                                        ; -- End function
	.set _ZN9rocsparseL20bsrxmvn_17_32_kernelILj27EfllDF16_DF16_fEEvT2_20rocsparse_direction_NS_24const_host_device_scalarIT0_EES1_PKS1_PKT1_SA_S7_PKT3_PKT4_S5_PT5_21rocsparse_index_base_b.num_vgpr, 15
	.set _ZN9rocsparseL20bsrxmvn_17_32_kernelILj27EfllDF16_DF16_fEEvT2_20rocsparse_direction_NS_24const_host_device_scalarIT0_EES1_PKS1_PKT1_SA_S7_PKT3_PKT4_S5_PT5_21rocsparse_index_base_b.num_agpr, 0
	.set _ZN9rocsparseL20bsrxmvn_17_32_kernelILj27EfllDF16_DF16_fEEvT2_20rocsparse_direction_NS_24const_host_device_scalarIT0_EES1_PKS1_PKT1_SA_S7_PKT3_PKT4_S5_PT5_21rocsparse_index_base_b.numbered_sgpr, 26
	.set _ZN9rocsparseL20bsrxmvn_17_32_kernelILj27EfllDF16_DF16_fEEvT2_20rocsparse_direction_NS_24const_host_device_scalarIT0_EES1_PKS1_PKT1_SA_S7_PKT3_PKT4_S5_PT5_21rocsparse_index_base_b.num_named_barrier, 0
	.set _ZN9rocsparseL20bsrxmvn_17_32_kernelILj27EfllDF16_DF16_fEEvT2_20rocsparse_direction_NS_24const_host_device_scalarIT0_EES1_PKS1_PKT1_SA_S7_PKT3_PKT4_S5_PT5_21rocsparse_index_base_b.private_seg_size, 0
	.set _ZN9rocsparseL20bsrxmvn_17_32_kernelILj27EfllDF16_DF16_fEEvT2_20rocsparse_direction_NS_24const_host_device_scalarIT0_EES1_PKS1_PKT1_SA_S7_PKT3_PKT4_S5_PT5_21rocsparse_index_base_b.uses_vcc, 1
	.set _ZN9rocsparseL20bsrxmvn_17_32_kernelILj27EfllDF16_DF16_fEEvT2_20rocsparse_direction_NS_24const_host_device_scalarIT0_EES1_PKS1_PKT1_SA_S7_PKT3_PKT4_S5_PT5_21rocsparse_index_base_b.uses_flat_scratch, 0
	.set _ZN9rocsparseL20bsrxmvn_17_32_kernelILj27EfllDF16_DF16_fEEvT2_20rocsparse_direction_NS_24const_host_device_scalarIT0_EES1_PKS1_PKT1_SA_S7_PKT3_PKT4_S5_PT5_21rocsparse_index_base_b.has_dyn_sized_stack, 0
	.set _ZN9rocsparseL20bsrxmvn_17_32_kernelILj27EfllDF16_DF16_fEEvT2_20rocsparse_direction_NS_24const_host_device_scalarIT0_EES1_PKS1_PKT1_SA_S7_PKT3_PKT4_S5_PT5_21rocsparse_index_base_b.has_recursion, 0
	.set _ZN9rocsparseL20bsrxmvn_17_32_kernelILj27EfllDF16_DF16_fEEvT2_20rocsparse_direction_NS_24const_host_device_scalarIT0_EES1_PKS1_PKT1_SA_S7_PKT3_PKT4_S5_PT5_21rocsparse_index_base_b.has_indirect_call, 0
	.section	.AMDGPU.csdata,"",@progbits
; Kernel info:
; codeLenInByte = 1316
; TotalNumSgprs: 30
; NumVgprs: 15
; ScratchSize: 0
; MemoryBound: 0
; FloatMode: 240
; IeeeMode: 1
; LDSByteSize: 2916 bytes/workgroup (compile time only)
; SGPRBlocks: 8
; VGPRBlocks: 6
; NumSGPRsForWavesPerEU: 65
; NumVGPRsForWavesPerEU: 25
; Occupancy: 9
; WaveLimiterHint : 1
; COMPUTE_PGM_RSRC2:SCRATCH_EN: 0
; COMPUTE_PGM_RSRC2:USER_SGPR: 6
; COMPUTE_PGM_RSRC2:TRAP_HANDLER: 0
; COMPUTE_PGM_RSRC2:TGID_X_EN: 1
; COMPUTE_PGM_RSRC2:TGID_Y_EN: 0
; COMPUTE_PGM_RSRC2:TGID_Z_EN: 0
; COMPUTE_PGM_RSRC2:TIDIG_COMP_CNT: 0
	.section	.text._ZN9rocsparseL20bsrxmvn_17_32_kernelILj28EfllDF16_DF16_fEEvT2_20rocsparse_direction_NS_24const_host_device_scalarIT0_EES1_PKS1_PKT1_SA_S7_PKT3_PKT4_S5_PT5_21rocsparse_index_base_b,"axG",@progbits,_ZN9rocsparseL20bsrxmvn_17_32_kernelILj28EfllDF16_DF16_fEEvT2_20rocsparse_direction_NS_24const_host_device_scalarIT0_EES1_PKS1_PKT1_SA_S7_PKT3_PKT4_S5_PT5_21rocsparse_index_base_b,comdat
	.globl	_ZN9rocsparseL20bsrxmvn_17_32_kernelILj28EfllDF16_DF16_fEEvT2_20rocsparse_direction_NS_24const_host_device_scalarIT0_EES1_PKS1_PKT1_SA_S7_PKT3_PKT4_S5_PT5_21rocsparse_index_base_b ; -- Begin function _ZN9rocsparseL20bsrxmvn_17_32_kernelILj28EfllDF16_DF16_fEEvT2_20rocsparse_direction_NS_24const_host_device_scalarIT0_EES1_PKS1_PKT1_SA_S7_PKT3_PKT4_S5_PT5_21rocsparse_index_base_b
	.p2align	8
	.type	_ZN9rocsparseL20bsrxmvn_17_32_kernelILj28EfllDF16_DF16_fEEvT2_20rocsparse_direction_NS_24const_host_device_scalarIT0_EES1_PKS1_PKT1_SA_S7_PKT3_PKT4_S5_PT5_21rocsparse_index_base_b,@function
_ZN9rocsparseL20bsrxmvn_17_32_kernelILj28EfllDF16_DF16_fEEvT2_20rocsparse_direction_NS_24const_host_device_scalarIT0_EES1_PKS1_PKT1_SA_S7_PKT3_PKT4_S5_PT5_21rocsparse_index_base_b: ; @_ZN9rocsparseL20bsrxmvn_17_32_kernelILj28EfllDF16_DF16_fEEvT2_20rocsparse_direction_NS_24const_host_device_scalarIT0_EES1_PKS1_PKT1_SA_S7_PKT3_PKT4_S5_PT5_21rocsparse_index_base_b
; %bb.0:
	s_load_dwordx2 s[18:19], s[4:5], 0x60
	s_load_dwordx2 s[14:15], s[4:5], 0x10
	s_load_dwordx2 s[12:13], s[4:5], 0x50
	s_waitcnt lgkmcnt(0)
	s_bitcmp1_b32 s19, 0
	s_cselect_b64 s[2:3], -1, 0
	s_xor_b64 s[0:1], s[2:3], -1
	s_and_b64 vcc, exec, s[2:3]
	s_cbranch_vccnz .LBB331_2
; %bb.1:
	s_load_dword s14, s[14:15], 0x0
.LBB331_2:
	s_andn2_b64 vcc, exec, s[0:1]
	s_cbranch_vccnz .LBB331_4
; %bb.3:
	s_load_dword s12, s[12:13], 0x0
.LBB331_4:
	s_waitcnt lgkmcnt(0)
	v_cmp_neq_f32_e64 s[0:1], s14, 0
	v_cmp_neq_f32_e64 s[2:3], s12, 1.0
	s_or_b64 s[0:1], s[0:1], s[2:3]
	s_andn2_b64 vcc, exec, s[0:1]
	s_mov_b32 s7, 0
	s_cbranch_vccnz .LBB331_40
; %bb.5:
	s_load_dwordx4 s[0:3], s[4:5], 0x20
	s_load_dwordx2 s[8:9], s[4:5], 0x30
	s_waitcnt lgkmcnt(0)
	s_cmp_eq_u64 s[0:1], 0
	s_cbranch_scc1 .LBB331_7
; %bb.6:
	s_lshl_b64 s[6:7], s[6:7], 3
	s_add_u32 s0, s0, s6
	s_addc_u32 s1, s1, s7
	s_load_dwordx2 s[0:1], s[0:1], 0x0
	s_waitcnt lgkmcnt(0)
	s_sub_u32 s6, s0, s18
	s_subb_u32 s7, s1, 0
.LBB331_7:
	s_load_dword s10, s[4:5], 0x8
	s_load_dwordx2 s[16:17], s[4:5], 0x58
	v_mul_u32_u24_e32 v1, 0x925, v0
	v_mov_b32_e32 v2, 28
	v_mul_lo_u16_sdwa v2, v1, v2 dst_sel:DWORD dst_unused:UNUSED_PAD src0_sel:WORD_1 src1_sel:DWORD
	s_waitcnt lgkmcnt(0)
	s_cmp_eq_u32 s10, 1
	s_cselect_b64 s[0:1], -1, 0
	s_cmp_lg_u32 s10, 1
	s_cselect_b64 s[20:21], -1, 0
	s_lshl_b64 s[10:11], s[6:7], 3
	s_add_u32 s24, s2, s10
	s_addc_u32 s25, s3, s11
	s_add_u32 s2, s24, 8
	s_addc_u32 s3, s25, 0
	;; [unrolled: 2-line block ×3, first 2 shown]
	s_cmp_eq_u64 s[8:9], 0
	s_cselect_b32 s9, s3, s11
	s_cselect_b32 s8, s2, s10
	s_load_dwordx2 s[2:3], s[8:9], 0x0
	s_load_dwordx2 s[22:23], s[24:25], 0x0
	v_sub_u16_e32 v11, v0, v2
	s_waitcnt lgkmcnt(0)
	v_mov_b32_e32 v2, s2
	v_mov_b32_e32 v3, s3
	v_cmp_ge_i64_e32 vcc, s[22:23], v[2:3]
	v_mov_b32_e32 v2, 0
	s_cbranch_vccnz .LBB331_12
; %bb.8:
	s_load_dwordx4 s[8:11], s[4:5], 0x38
	s_load_dwordx2 s[24:25], s[4:5], 0x48
	s_mov_b32 s4, 0xffff
	s_movk_i32 s5, 0x310
	v_and_b32_sdwa v1, s4, v1 dst_sel:DWORD dst_unused:UNUSED_PAD src0_sel:DWORD src1_sel:WORD_1
	s_sub_u32 s2, s2, s18
	v_subrev_u32_e32 v2, 28, v1
	v_cmp_gt_u32_e32 vcc, s5, v0
	s_subb_u32 s3, s3, 0
	v_cndmask_b32_e32 v1, v2, v1, vcc
	s_sub_u32 s4, s22, s18
	v_cndmask_b32_e64 v1, v11, v1, s[0:1]
	v_mov_b32_e32 v2, 0
	s_subb_u32 s5, s23, 0
	v_lshlrev_b64 v[3:4], 1, v[1:2]
	s_mul_i32 s0, s5, 0x620
	s_mul_hi_u32 s1, s4, 0x620
	s_add_i32 s1, s1, s0
	s_mul_i32 s0, s4, 0x620
	s_waitcnt lgkmcnt(0)
	v_mov_b32_e32 v1, s25
	v_add_co_u32_e32 v3, vcc, s24, v3
	s_add_u32 s0, s10, s0
	v_addc_co_u32_e32 v4, vcc, v1, v4, vcc
	s_addc_u32 s1, s11, s1
	v_lshlrev_b32_e32 v1, 1, v0
	v_mov_b32_e32 v6, s1
	v_add_co_u32_e32 v5, vcc, s0, v1
	v_addc_co_u32_e32 v6, vcc, 0, v6, vcc
	s_movk_i32 s0, 0x30f
	v_cmp_lt_u32_e32 vcc, s0, v0
	v_cndmask_b32_e64 v1, 0, 1, vcc
	v_mov_b32_e32 v7, s23
	v_add_co_u32_e32 v8, vcc, s22, v1
	v_addc_co_u32_e32 v9, vcc, 0, v7, vcc
	v_subrev_co_u32_e32 v7, vcc, s18, v8
	v_subbrev_co_u32_e32 v8, vcc, 0, v9, vcc
	v_lshlrev_b64 v[7:8], 3, v[7:8]
	v_mov_b32_e32 v9, s9
	v_add_co_u32_e32 v7, vcc, s8, v7
	v_addc_co_u32_e32 v8, vcc, v9, v8, vcc
	v_mov_b32_e32 v10, s3
	v_mov_b32_e32 v9, s2
	s_branch .LBB331_10
.LBB331_9:                              ;   in Loop: Header=BB331_10 Depth=1
	s_or_b64 exec, exec, s[0:1]
	s_add_u32 s4, s4, 1
	s_addc_u32 s5, s5, 0
	v_cmp_lt_i64_e32 vcc, s[4:5], v[9:10]
	v_add_co_u32_e64 v7, s[0:1], 8, v7
	v_addc_co_u32_e64 v8, s[0:1], 0, v8, s[0:1]
	s_cbranch_vccz .LBB331_12
.LBB331_10:                             ; =>This Inner Loop Header: Depth=1
	v_mov_b32_e32 v13, s5
	v_add_co_u32_e32 v12, vcc, s4, v1
	v_addc_co_u32_e32 v13, vcc, 0, v13, vcc
	v_cmp_gt_i64_e32 vcc, s[2:3], v[12:13]
	s_and_saveexec_b64 s[0:1], vcc
	s_cbranch_execz .LBB331_9
; %bb.11:                               ;   in Loop: Header=BB331_10 Depth=1
	global_load_dwordx2 v[12:13], v[7:8], off
	s_waitcnt vmcnt(0)
	v_subrev_co_u32_e32 v12, vcc, s18, v12
	v_subbrev_co_u32_e32 v14, vcc, 0, v13, vcc
	v_mad_u64_u32 v[12:13], s[8:9], v12, 56, v[3:4]
	v_mad_u64_u32 v[13:14], s[8:9], v14, 56, v[13:14]
	global_load_ushort v14, v[5:6], off
	s_nop 0
	global_load_ushort v12, v[12:13], off
	v_add_co_u32_e32 v5, vcc, 0x620, v5
	v_addc_co_u32_e32 v6, vcc, 0, v6, vcc
	s_waitcnt vmcnt(0)
	v_fma_mix_f32 v2, v14, v12, v2 op_sel_hi:[1,1,0]
	s_branch .LBB331_9
.LBB331_12:
	v_lshlrev_b32_e32 v1, 2, v0
	s_and_b64 vcc, exec, s[20:21]
	ds_write_b32 v1, v2
	s_waitcnt lgkmcnt(0)
	s_barrier
	s_cbranch_vccz .LBB331_24
; %bb.13:
	v_cmp_gt_u16_e32 vcc, 12, v11
	s_and_saveexec_b64 s[0:1], vcc
	s_cbranch_execz .LBB331_15
; %bb.14:
	ds_read2_b32 v[3:4], v1 offset1:16
	s_waitcnt lgkmcnt(0)
	v_add_f32_e32 v3, v4, v3
	ds_write_b32 v1, v3
.LBB331_15:
	s_or_b64 exec, exec, s[0:1]
	v_cmp_gt_u16_e32 vcc, 8, v11
	s_waitcnt lgkmcnt(0)
	s_barrier
	s_and_saveexec_b64 s[0:1], vcc
	s_cbranch_execz .LBB331_17
; %bb.16:
	ds_read2_b32 v[3:4], v1 offset1:8
	s_waitcnt lgkmcnt(0)
	v_add_f32_e32 v3, v4, v3
	ds_write_b32 v1, v3
.LBB331_17:
	s_or_b64 exec, exec, s[0:1]
	v_cmp_gt_u16_e32 vcc, 4, v11
	s_waitcnt lgkmcnt(0)
	s_barrier
	;; [unrolled: 12-line block ×3, first 2 shown]
	s_and_saveexec_b64 s[0:1], vcc
	s_cbranch_execz .LBB331_21
; %bb.20:
	ds_read2_b32 v[3:4], v1 offset1:2
	s_waitcnt lgkmcnt(0)
	v_add_f32_e32 v3, v4, v3
	ds_write_b32 v1, v3
.LBB331_21:
	s_or_b64 exec, exec, s[0:1]
	v_cmp_gt_u32_e32 vcc, 28, v0
	v_mov_b32_e32 v3, v2
	s_waitcnt lgkmcnt(0)
	s_barrier
	s_and_saveexec_b64 s[0:1], vcc
	s_cbranch_execz .LBB331_23
; %bb.22:
	s_movk_i32 s2, 0x6c
	v_mad_u32_u24 v3, v0, s2, v1
	ds_read_b64 v[3:4], v3
	s_waitcnt lgkmcnt(0)
	v_add_f32_e32 v3, v3, v4
.LBB331_23:
	s_or_b64 exec, exec, s[0:1]
	s_branch .LBB331_36
.LBB331_24:
                                        ; implicit-def: $vgpr3
	s_cbranch_execz .LBB331_36
; %bb.25:
	s_movk_i32 s0, 0x150
	v_cmp_gt_u32_e32 vcc, s0, v0
	s_and_saveexec_b64 s[0:1], vcc
	s_cbranch_execz .LBB331_27
; %bb.26:
	ds_read2st64_b32 v[3:4], v1 offset1:7
	s_waitcnt lgkmcnt(0)
	v_add_f32_e32 v3, v4, v3
	ds_write_b32 v1, v3
.LBB331_27:
	s_or_b64 exec, exec, s[0:1]
	s_movk_i32 s0, 0xe0
	v_cmp_gt_u32_e32 vcc, s0, v0
	s_waitcnt lgkmcnt(0)
	s_barrier
	s_and_saveexec_b64 s[0:1], vcc
	s_cbranch_execz .LBB331_29
; %bb.28:
	ds_read2_b32 v[3:4], v1 offset1:224
	s_waitcnt lgkmcnt(0)
	v_add_f32_e32 v3, v4, v3
	ds_write_b32 v1, v3
.LBB331_29:
	s_or_b64 exec, exec, s[0:1]
	s_movk_i32 s0, 0x70
	v_cmp_gt_u32_e32 vcc, s0, v0
	s_waitcnt lgkmcnt(0)
	s_barrier
	s_and_saveexec_b64 s[0:1], vcc
	s_cbranch_execz .LBB331_31
; %bb.30:
	ds_read2_b32 v[3:4], v1 offset1:112
	s_waitcnt lgkmcnt(0)
	v_add_f32_e32 v3, v4, v3
	ds_write_b32 v1, v3
.LBB331_31:
	s_or_b64 exec, exec, s[0:1]
	v_cmp_gt_u32_e32 vcc, 56, v0
	s_waitcnt lgkmcnt(0)
	s_barrier
	s_and_saveexec_b64 s[0:1], vcc
	s_cbranch_execz .LBB331_33
; %bb.32:
	ds_read2_b32 v[3:4], v1 offset1:56
	s_waitcnt lgkmcnt(0)
	v_add_f32_e32 v3, v4, v3
	ds_write_b32 v1, v3
.LBB331_33:
	s_or_b64 exec, exec, s[0:1]
	v_cmp_gt_u32_e32 vcc, 28, v0
	s_waitcnt lgkmcnt(0)
	s_and_saveexec_b64 s[0:1], vcc
	s_cbranch_execz .LBB331_35
; %bb.34:
	ds_read2_b32 v[2:3], v1 offset1:28
	s_waitcnt lgkmcnt(0)
	v_add_f32_e32 v2, v2, v3
.LBB331_35:
	s_or_b64 exec, exec, s[0:1]
	v_mov_b32_e32 v3, v2
.LBB331_36:
	v_cmp_gt_u32_e32 vcc, 28, v0
	s_and_saveexec_b64 s[0:1], vcc
	s_cbranch_execz .LBB331_40
; %bb.37:
	v_cmp_eq_f32_e64 s[0:1], s12, 0
	s_and_b64 vcc, exec, s[0:1]
	v_mul_f32_e32 v0, s14, v3
	s_mul_i32 s2, s7, 0x70
	s_mul_hi_u32 s3, s6, 0x70
	s_mul_i32 s4, s6, 0x70
	s_cbranch_vccz .LBB331_41
; %bb.38:
	s_add_i32 s1, s3, s2
	s_add_u32 s0, s16, s4
	s_addc_u32 s1, s17, s1
	global_store_dword v1, v0, s[0:1]
	s_cbranch_execnz .LBB331_40
.LBB331_39:
	s_add_i32 s3, s3, s2
	s_add_u32 s0, s16, s4
	s_addc_u32 s1, s17, s3
	global_load_dword v2, v1, s[0:1]
	s_waitcnt vmcnt(0)
	v_fmac_f32_e32 v0, s12, v2
	global_store_dword v1, v0, s[0:1]
.LBB331_40:
	s_endpgm
.LBB331_41:
	s_branch .LBB331_39
	.section	.rodata,"a",@progbits
	.p2align	6, 0x0
	.amdhsa_kernel _ZN9rocsparseL20bsrxmvn_17_32_kernelILj28EfllDF16_DF16_fEEvT2_20rocsparse_direction_NS_24const_host_device_scalarIT0_EES1_PKS1_PKT1_SA_S7_PKT3_PKT4_S5_PT5_21rocsparse_index_base_b
		.amdhsa_group_segment_fixed_size 3136
		.amdhsa_private_segment_fixed_size 0
		.amdhsa_kernarg_size 104
		.amdhsa_user_sgpr_count 6
		.amdhsa_user_sgpr_private_segment_buffer 1
		.amdhsa_user_sgpr_dispatch_ptr 0
		.amdhsa_user_sgpr_queue_ptr 0
		.amdhsa_user_sgpr_kernarg_segment_ptr 1
		.amdhsa_user_sgpr_dispatch_id 0
		.amdhsa_user_sgpr_flat_scratch_init 0
		.amdhsa_user_sgpr_private_segment_size 0
		.amdhsa_uses_dynamic_stack 0
		.amdhsa_system_sgpr_private_segment_wavefront_offset 0
		.amdhsa_system_sgpr_workgroup_id_x 1
		.amdhsa_system_sgpr_workgroup_id_y 0
		.amdhsa_system_sgpr_workgroup_id_z 0
		.amdhsa_system_sgpr_workgroup_info 0
		.amdhsa_system_vgpr_workitem_id 0
		.amdhsa_next_free_vgpr 15
		.amdhsa_next_free_sgpr 26
		.amdhsa_reserve_vcc 1
		.amdhsa_reserve_flat_scratch 0
		.amdhsa_float_round_mode_32 0
		.amdhsa_float_round_mode_16_64 0
		.amdhsa_float_denorm_mode_32 3
		.amdhsa_float_denorm_mode_16_64 3
		.amdhsa_dx10_clamp 1
		.amdhsa_ieee_mode 1
		.amdhsa_fp16_overflow 0
		.amdhsa_exception_fp_ieee_invalid_op 0
		.amdhsa_exception_fp_denorm_src 0
		.amdhsa_exception_fp_ieee_div_zero 0
		.amdhsa_exception_fp_ieee_overflow 0
		.amdhsa_exception_fp_ieee_underflow 0
		.amdhsa_exception_fp_ieee_inexact 0
		.amdhsa_exception_int_div_zero 0
	.end_amdhsa_kernel
	.section	.text._ZN9rocsparseL20bsrxmvn_17_32_kernelILj28EfllDF16_DF16_fEEvT2_20rocsparse_direction_NS_24const_host_device_scalarIT0_EES1_PKS1_PKT1_SA_S7_PKT3_PKT4_S5_PT5_21rocsparse_index_base_b,"axG",@progbits,_ZN9rocsparseL20bsrxmvn_17_32_kernelILj28EfllDF16_DF16_fEEvT2_20rocsparse_direction_NS_24const_host_device_scalarIT0_EES1_PKS1_PKT1_SA_S7_PKT3_PKT4_S5_PT5_21rocsparse_index_base_b,comdat
.Lfunc_end331:
	.size	_ZN9rocsparseL20bsrxmvn_17_32_kernelILj28EfllDF16_DF16_fEEvT2_20rocsparse_direction_NS_24const_host_device_scalarIT0_EES1_PKS1_PKT1_SA_S7_PKT3_PKT4_S5_PT5_21rocsparse_index_base_b, .Lfunc_end331-_ZN9rocsparseL20bsrxmvn_17_32_kernelILj28EfllDF16_DF16_fEEvT2_20rocsparse_direction_NS_24const_host_device_scalarIT0_EES1_PKS1_PKT1_SA_S7_PKT3_PKT4_S5_PT5_21rocsparse_index_base_b
                                        ; -- End function
	.set _ZN9rocsparseL20bsrxmvn_17_32_kernelILj28EfllDF16_DF16_fEEvT2_20rocsparse_direction_NS_24const_host_device_scalarIT0_EES1_PKS1_PKT1_SA_S7_PKT3_PKT4_S5_PT5_21rocsparse_index_base_b.num_vgpr, 15
	.set _ZN9rocsparseL20bsrxmvn_17_32_kernelILj28EfllDF16_DF16_fEEvT2_20rocsparse_direction_NS_24const_host_device_scalarIT0_EES1_PKS1_PKT1_SA_S7_PKT3_PKT4_S5_PT5_21rocsparse_index_base_b.num_agpr, 0
	.set _ZN9rocsparseL20bsrxmvn_17_32_kernelILj28EfllDF16_DF16_fEEvT2_20rocsparse_direction_NS_24const_host_device_scalarIT0_EES1_PKS1_PKT1_SA_S7_PKT3_PKT4_S5_PT5_21rocsparse_index_base_b.numbered_sgpr, 26
	.set _ZN9rocsparseL20bsrxmvn_17_32_kernelILj28EfllDF16_DF16_fEEvT2_20rocsparse_direction_NS_24const_host_device_scalarIT0_EES1_PKS1_PKT1_SA_S7_PKT3_PKT4_S5_PT5_21rocsparse_index_base_b.num_named_barrier, 0
	.set _ZN9rocsparseL20bsrxmvn_17_32_kernelILj28EfllDF16_DF16_fEEvT2_20rocsparse_direction_NS_24const_host_device_scalarIT0_EES1_PKS1_PKT1_SA_S7_PKT3_PKT4_S5_PT5_21rocsparse_index_base_b.private_seg_size, 0
	.set _ZN9rocsparseL20bsrxmvn_17_32_kernelILj28EfllDF16_DF16_fEEvT2_20rocsparse_direction_NS_24const_host_device_scalarIT0_EES1_PKS1_PKT1_SA_S7_PKT3_PKT4_S5_PT5_21rocsparse_index_base_b.uses_vcc, 1
	.set _ZN9rocsparseL20bsrxmvn_17_32_kernelILj28EfllDF16_DF16_fEEvT2_20rocsparse_direction_NS_24const_host_device_scalarIT0_EES1_PKS1_PKT1_SA_S7_PKT3_PKT4_S5_PT5_21rocsparse_index_base_b.uses_flat_scratch, 0
	.set _ZN9rocsparseL20bsrxmvn_17_32_kernelILj28EfllDF16_DF16_fEEvT2_20rocsparse_direction_NS_24const_host_device_scalarIT0_EES1_PKS1_PKT1_SA_S7_PKT3_PKT4_S5_PT5_21rocsparse_index_base_b.has_dyn_sized_stack, 0
	.set _ZN9rocsparseL20bsrxmvn_17_32_kernelILj28EfllDF16_DF16_fEEvT2_20rocsparse_direction_NS_24const_host_device_scalarIT0_EES1_PKS1_PKT1_SA_S7_PKT3_PKT4_S5_PT5_21rocsparse_index_base_b.has_recursion, 0
	.set _ZN9rocsparseL20bsrxmvn_17_32_kernelILj28EfllDF16_DF16_fEEvT2_20rocsparse_direction_NS_24const_host_device_scalarIT0_EES1_PKS1_PKT1_SA_S7_PKT3_PKT4_S5_PT5_21rocsparse_index_base_b.has_indirect_call, 0
	.section	.AMDGPU.csdata,"",@progbits
; Kernel info:
; codeLenInByte = 1308
; TotalNumSgprs: 30
; NumVgprs: 15
; ScratchSize: 0
; MemoryBound: 0
; FloatMode: 240
; IeeeMode: 1
; LDSByteSize: 3136 bytes/workgroup (compile time only)
; SGPRBlocks: 3
; VGPRBlocks: 3
; NumSGPRsForWavesPerEU: 30
; NumVGPRsForWavesPerEU: 15
; Occupancy: 10
; WaveLimiterHint : 1
; COMPUTE_PGM_RSRC2:SCRATCH_EN: 0
; COMPUTE_PGM_RSRC2:USER_SGPR: 6
; COMPUTE_PGM_RSRC2:TRAP_HANDLER: 0
; COMPUTE_PGM_RSRC2:TGID_X_EN: 1
; COMPUTE_PGM_RSRC2:TGID_Y_EN: 0
; COMPUTE_PGM_RSRC2:TGID_Z_EN: 0
; COMPUTE_PGM_RSRC2:TIDIG_COMP_CNT: 0
	.section	.text._ZN9rocsparseL20bsrxmvn_17_32_kernelILj29EfllDF16_DF16_fEEvT2_20rocsparse_direction_NS_24const_host_device_scalarIT0_EES1_PKS1_PKT1_SA_S7_PKT3_PKT4_S5_PT5_21rocsparse_index_base_b,"axG",@progbits,_ZN9rocsparseL20bsrxmvn_17_32_kernelILj29EfllDF16_DF16_fEEvT2_20rocsparse_direction_NS_24const_host_device_scalarIT0_EES1_PKS1_PKT1_SA_S7_PKT3_PKT4_S5_PT5_21rocsparse_index_base_b,comdat
	.globl	_ZN9rocsparseL20bsrxmvn_17_32_kernelILj29EfllDF16_DF16_fEEvT2_20rocsparse_direction_NS_24const_host_device_scalarIT0_EES1_PKS1_PKT1_SA_S7_PKT3_PKT4_S5_PT5_21rocsparse_index_base_b ; -- Begin function _ZN9rocsparseL20bsrxmvn_17_32_kernelILj29EfllDF16_DF16_fEEvT2_20rocsparse_direction_NS_24const_host_device_scalarIT0_EES1_PKS1_PKT1_SA_S7_PKT3_PKT4_S5_PT5_21rocsparse_index_base_b
	.p2align	8
	.type	_ZN9rocsparseL20bsrxmvn_17_32_kernelILj29EfllDF16_DF16_fEEvT2_20rocsparse_direction_NS_24const_host_device_scalarIT0_EES1_PKS1_PKT1_SA_S7_PKT3_PKT4_S5_PT5_21rocsparse_index_base_b,@function
_ZN9rocsparseL20bsrxmvn_17_32_kernelILj29EfllDF16_DF16_fEEvT2_20rocsparse_direction_NS_24const_host_device_scalarIT0_EES1_PKS1_PKT1_SA_S7_PKT3_PKT4_S5_PT5_21rocsparse_index_base_b: ; @_ZN9rocsparseL20bsrxmvn_17_32_kernelILj29EfllDF16_DF16_fEEvT2_20rocsparse_direction_NS_24const_host_device_scalarIT0_EES1_PKS1_PKT1_SA_S7_PKT3_PKT4_S5_PT5_21rocsparse_index_base_b
; %bb.0:
	s_load_dwordx2 s[18:19], s[4:5], 0x60
	s_load_dwordx2 s[14:15], s[4:5], 0x10
	;; [unrolled: 1-line block ×3, first 2 shown]
	s_waitcnt lgkmcnt(0)
	s_bitcmp1_b32 s19, 0
	s_cselect_b64 s[2:3], -1, 0
	s_xor_b64 s[0:1], s[2:3], -1
	s_and_b64 vcc, exec, s[2:3]
	s_cbranch_vccnz .LBB332_2
; %bb.1:
	s_load_dword s14, s[14:15], 0x0
.LBB332_2:
	s_andn2_b64 vcc, exec, s[0:1]
	s_cbranch_vccnz .LBB332_4
; %bb.3:
	s_load_dword s12, s[12:13], 0x0
.LBB332_4:
	s_waitcnt lgkmcnt(0)
	v_cmp_neq_f32_e64 s[0:1], s14, 0
	v_cmp_neq_f32_e64 s[2:3], s12, 1.0
	s_or_b64 s[0:1], s[0:1], s[2:3]
	s_andn2_b64 vcc, exec, s[0:1]
	s_mov_b32 s7, 0
	s_cbranch_vccnz .LBB332_40
; %bb.5:
	s_load_dwordx4 s[0:3], s[4:5], 0x20
	s_load_dwordx2 s[8:9], s[4:5], 0x30
	s_waitcnt lgkmcnt(0)
	s_cmp_eq_u64 s[0:1], 0
	s_cbranch_scc1 .LBB332_7
; %bb.6:
	s_lshl_b64 s[6:7], s[6:7], 3
	s_add_u32 s0, s0, s6
	s_addc_u32 s1, s1, s7
	s_load_dwordx2 s[0:1], s[0:1], 0x0
	s_waitcnt lgkmcnt(0)
	s_sub_u32 s6, s0, s18
	s_subb_u32 s7, s1, 0
.LBB332_7:
	s_load_dword s10, s[4:5], 0x8
	s_load_dwordx2 s[16:17], s[4:5], 0x58
	v_mul_u32_u24_e32 v1, 0x8d4, v0
	v_mov_b32_e32 v2, 29
	v_mul_lo_u16_sdwa v2, v1, v2 dst_sel:DWORD dst_unused:UNUSED_PAD src0_sel:WORD_1 src1_sel:DWORD
	s_waitcnt lgkmcnt(0)
	s_cmp_eq_u32 s10, 1
	s_cselect_b64 s[0:1], -1, 0
	s_cmp_lg_u32 s10, 1
	s_cselect_b64 s[20:21], -1, 0
	s_lshl_b64 s[10:11], s[6:7], 3
	s_add_u32 s24, s2, s10
	s_addc_u32 s25, s3, s11
	s_add_u32 s2, s24, 8
	s_addc_u32 s3, s25, 0
	s_add_u32 s10, s8, s10
	s_addc_u32 s11, s9, s11
	s_cmp_eq_u64 s[8:9], 0
	s_cselect_b32 s9, s3, s11
	s_cselect_b32 s8, s2, s10
	s_load_dwordx2 s[2:3], s[8:9], 0x0
	s_load_dwordx2 s[22:23], s[24:25], 0x0
	v_sub_u16_e32 v11, v0, v2
	s_waitcnt lgkmcnt(0)
	v_mov_b32_e32 v2, s2
	v_mov_b32_e32 v3, s3
	v_cmp_ge_i64_e32 vcc, s[22:23], v[2:3]
	v_mov_b32_e32 v2, 0
	s_cbranch_vccnz .LBB332_12
; %bb.8:
	s_load_dwordx4 s[8:11], s[4:5], 0x38
	s_load_dwordx2 s[24:25], s[4:5], 0x48
	s_mov_b32 s4, 0xffff
	s_movk_i32 s5, 0x349
	v_and_b32_sdwa v1, s4, v1 dst_sel:DWORD dst_unused:UNUSED_PAD src0_sel:DWORD src1_sel:WORD_1
	s_sub_u32 s2, s2, s18
	v_subrev_u32_e32 v2, 29, v1
	v_cmp_gt_u32_e32 vcc, s5, v0
	s_subb_u32 s3, s3, 0
	v_cndmask_b32_e32 v1, v2, v1, vcc
	s_sub_u32 s4, s22, s18
	v_cndmask_b32_e64 v1, v11, v1, s[0:1]
	v_mov_b32_e32 v2, 0
	s_subb_u32 s5, s23, 0
	v_lshlrev_b64 v[3:4], 1, v[1:2]
	s_mul_i32 s0, s5, 0x692
	s_mul_hi_u32 s1, s4, 0x692
	s_add_i32 s1, s1, s0
	s_mul_i32 s0, s4, 0x692
	s_waitcnt lgkmcnt(0)
	v_mov_b32_e32 v1, s25
	v_add_co_u32_e32 v3, vcc, s24, v3
	s_add_u32 s0, s10, s0
	v_addc_co_u32_e32 v4, vcc, v1, v4, vcc
	s_addc_u32 s1, s11, s1
	v_lshlrev_b32_e32 v1, 1, v0
	v_mov_b32_e32 v6, s1
	v_add_co_u32_e32 v5, vcc, s0, v1
	v_addc_co_u32_e32 v6, vcc, 0, v6, vcc
	s_movk_i32 s0, 0x348
	v_cmp_lt_u32_e32 vcc, s0, v0
	v_cndmask_b32_e64 v1, 0, 1, vcc
	v_mov_b32_e32 v7, s23
	v_add_co_u32_e32 v8, vcc, s22, v1
	v_addc_co_u32_e32 v9, vcc, 0, v7, vcc
	v_subrev_co_u32_e32 v7, vcc, s18, v8
	v_subbrev_co_u32_e32 v8, vcc, 0, v9, vcc
	v_lshlrev_b64 v[7:8], 3, v[7:8]
	v_mov_b32_e32 v9, s9
	v_add_co_u32_e32 v7, vcc, s8, v7
	v_addc_co_u32_e32 v8, vcc, v9, v8, vcc
	v_mov_b32_e32 v10, s3
	v_mov_b32_e32 v9, s2
	s_branch .LBB332_10
.LBB332_9:                              ;   in Loop: Header=BB332_10 Depth=1
	s_or_b64 exec, exec, s[0:1]
	s_add_u32 s4, s4, 1
	s_addc_u32 s5, s5, 0
	v_cmp_lt_i64_e32 vcc, s[4:5], v[9:10]
	v_add_co_u32_e64 v7, s[0:1], 8, v7
	v_addc_co_u32_e64 v8, s[0:1], 0, v8, s[0:1]
	s_cbranch_vccz .LBB332_12
.LBB332_10:                             ; =>This Inner Loop Header: Depth=1
	v_mov_b32_e32 v13, s5
	v_add_co_u32_e32 v12, vcc, s4, v1
	v_addc_co_u32_e32 v13, vcc, 0, v13, vcc
	v_cmp_gt_i64_e32 vcc, s[2:3], v[12:13]
	s_and_saveexec_b64 s[0:1], vcc
	s_cbranch_execz .LBB332_9
; %bb.11:                               ;   in Loop: Header=BB332_10 Depth=1
	global_load_dwordx2 v[12:13], v[7:8], off
	s_waitcnt vmcnt(0)
	v_subrev_co_u32_e32 v12, vcc, s18, v12
	v_subbrev_co_u32_e32 v14, vcc, 0, v13, vcc
	v_mad_u64_u32 v[12:13], s[8:9], v12, 58, v[3:4]
	v_mad_u64_u32 v[13:14], s[8:9], v14, 58, v[13:14]
	global_load_ushort v14, v[5:6], off
	s_nop 0
	global_load_ushort v12, v[12:13], off
	v_add_co_u32_e32 v5, vcc, 0x692, v5
	v_addc_co_u32_e32 v6, vcc, 0, v6, vcc
	s_waitcnt vmcnt(0)
	v_fma_mix_f32 v2, v14, v12, v2 op_sel_hi:[1,1,0]
	s_branch .LBB332_9
.LBB332_12:
	v_lshlrev_b32_e32 v1, 2, v0
	s_and_b64 vcc, exec, s[20:21]
	ds_write_b32 v1, v2
	s_waitcnt lgkmcnt(0)
	s_barrier
	s_cbranch_vccz .LBB332_24
; %bb.13:
	v_cmp_gt_u16_e32 vcc, 13, v11
	s_and_saveexec_b64 s[0:1], vcc
	s_cbranch_execz .LBB332_15
; %bb.14:
	ds_read2_b32 v[3:4], v1 offset1:16
	s_waitcnt lgkmcnt(0)
	v_add_f32_e32 v3, v4, v3
	ds_write_b32 v1, v3
.LBB332_15:
	s_or_b64 exec, exec, s[0:1]
	v_cmp_gt_u16_e32 vcc, 8, v11
	s_waitcnt lgkmcnt(0)
	s_barrier
	s_and_saveexec_b64 s[0:1], vcc
	s_cbranch_execz .LBB332_17
; %bb.16:
	ds_read2_b32 v[3:4], v1 offset1:8
	s_waitcnt lgkmcnt(0)
	v_add_f32_e32 v3, v4, v3
	ds_write_b32 v1, v3
.LBB332_17:
	s_or_b64 exec, exec, s[0:1]
	v_cmp_gt_u16_e32 vcc, 4, v11
	s_waitcnt lgkmcnt(0)
	s_barrier
	;; [unrolled: 12-line block ×3, first 2 shown]
	s_and_saveexec_b64 s[0:1], vcc
	s_cbranch_execz .LBB332_21
; %bb.20:
	ds_read2_b32 v[3:4], v1 offset1:2
	s_waitcnt lgkmcnt(0)
	v_add_f32_e32 v3, v4, v3
	ds_write_b32 v1, v3
.LBB332_21:
	s_or_b64 exec, exec, s[0:1]
	v_cmp_gt_u32_e32 vcc, 29, v0
	v_mov_b32_e32 v3, v2
	s_waitcnt lgkmcnt(0)
	s_barrier
	s_and_saveexec_b64 s[0:1], vcc
	s_cbranch_execz .LBB332_23
; %bb.22:
	s_movk_i32 s2, 0x70
	v_mad_u32_u24 v3, v0, s2, v1
	ds_read2_b32 v[3:4], v3 offset1:1
	s_waitcnt lgkmcnt(0)
	v_add_f32_e32 v3, v3, v4
.LBB332_23:
	s_or_b64 exec, exec, s[0:1]
	s_branch .LBB332_36
.LBB332_24:
                                        ; implicit-def: $vgpr3
	s_cbranch_execz .LBB332_36
; %bb.25:
	s_movk_i32 s0, 0x179
	v_cmp_gt_u32_e32 vcc, s0, v0
	s_and_saveexec_b64 s[0:1], vcc
	s_cbranch_execz .LBB332_27
; %bb.26:
	ds_read_b32 v3, v1 offset:1856
	ds_read_b32 v4, v1
	s_waitcnt lgkmcnt(0)
	v_add_f32_e32 v3, v3, v4
	ds_write_b32 v1, v3
.LBB332_27:
	s_or_b64 exec, exec, s[0:1]
	s_movk_i32 s0, 0xe8
	v_cmp_gt_u32_e32 vcc, s0, v0
	s_waitcnt lgkmcnt(0)
	s_barrier
	s_and_saveexec_b64 s[0:1], vcc
	s_cbranch_execz .LBB332_29
; %bb.28:
	ds_read2_b32 v[3:4], v1 offset1:232
	s_waitcnt lgkmcnt(0)
	v_add_f32_e32 v3, v4, v3
	ds_write_b32 v1, v3
.LBB332_29:
	s_or_b64 exec, exec, s[0:1]
	s_movk_i32 s0, 0x74
	v_cmp_gt_u32_e32 vcc, s0, v0
	s_waitcnt lgkmcnt(0)
	s_barrier
	s_and_saveexec_b64 s[0:1], vcc
	s_cbranch_execz .LBB332_31
; %bb.30:
	ds_read2_b32 v[3:4], v1 offset1:116
	s_waitcnt lgkmcnt(0)
	v_add_f32_e32 v3, v4, v3
	ds_write_b32 v1, v3
.LBB332_31:
	s_or_b64 exec, exec, s[0:1]
	v_cmp_gt_u32_e32 vcc, 58, v0
	s_waitcnt lgkmcnt(0)
	s_barrier
	s_and_saveexec_b64 s[0:1], vcc
	s_cbranch_execz .LBB332_33
; %bb.32:
	ds_read2_b32 v[3:4], v1 offset1:58
	s_waitcnt lgkmcnt(0)
	v_add_f32_e32 v3, v4, v3
	ds_write_b32 v1, v3
.LBB332_33:
	s_or_b64 exec, exec, s[0:1]
	v_cmp_gt_u32_e32 vcc, 29, v0
	s_waitcnt lgkmcnt(0)
	s_and_saveexec_b64 s[0:1], vcc
	s_cbranch_execz .LBB332_35
; %bb.34:
	ds_read2_b32 v[2:3], v1 offset1:29
	s_waitcnt lgkmcnt(0)
	v_add_f32_e32 v2, v2, v3
.LBB332_35:
	s_or_b64 exec, exec, s[0:1]
	v_mov_b32_e32 v3, v2
.LBB332_36:
	v_cmp_gt_u32_e32 vcc, 29, v0
	s_and_saveexec_b64 s[0:1], vcc
	s_cbranch_execz .LBB332_40
; %bb.37:
	v_cmp_eq_f32_e64 s[0:1], s12, 0
	s_and_b64 vcc, exec, s[0:1]
	v_mul_f32_e32 v0, s14, v3
	s_mul_i32 s2, s7, 0x74
	s_mul_hi_u32 s3, s6, 0x74
	s_mul_i32 s4, s6, 0x74
	s_cbranch_vccz .LBB332_41
; %bb.38:
	s_add_i32 s1, s3, s2
	s_add_u32 s0, s16, s4
	s_addc_u32 s1, s17, s1
	global_store_dword v1, v0, s[0:1]
	s_cbranch_execnz .LBB332_40
.LBB332_39:
	s_add_i32 s3, s3, s2
	s_add_u32 s0, s16, s4
	s_addc_u32 s1, s17, s3
	global_load_dword v2, v1, s[0:1]
	s_waitcnt vmcnt(0)
	v_fmac_f32_e32 v0, s12, v2
	global_store_dword v1, v0, s[0:1]
.LBB332_40:
	s_endpgm
.LBB332_41:
	s_branch .LBB332_39
	.section	.rodata,"a",@progbits
	.p2align	6, 0x0
	.amdhsa_kernel _ZN9rocsparseL20bsrxmvn_17_32_kernelILj29EfllDF16_DF16_fEEvT2_20rocsparse_direction_NS_24const_host_device_scalarIT0_EES1_PKS1_PKT1_SA_S7_PKT3_PKT4_S5_PT5_21rocsparse_index_base_b
		.amdhsa_group_segment_fixed_size 3364
		.amdhsa_private_segment_fixed_size 0
		.amdhsa_kernarg_size 104
		.amdhsa_user_sgpr_count 6
		.amdhsa_user_sgpr_private_segment_buffer 1
		.amdhsa_user_sgpr_dispatch_ptr 0
		.amdhsa_user_sgpr_queue_ptr 0
		.amdhsa_user_sgpr_kernarg_segment_ptr 1
		.amdhsa_user_sgpr_dispatch_id 0
		.amdhsa_user_sgpr_flat_scratch_init 0
		.amdhsa_user_sgpr_private_segment_size 0
		.amdhsa_uses_dynamic_stack 0
		.amdhsa_system_sgpr_private_segment_wavefront_offset 0
		.amdhsa_system_sgpr_workgroup_id_x 1
		.amdhsa_system_sgpr_workgroup_id_y 0
		.amdhsa_system_sgpr_workgroup_id_z 0
		.amdhsa_system_sgpr_workgroup_info 0
		.amdhsa_system_vgpr_workitem_id 0
		.amdhsa_next_free_vgpr 33
		.amdhsa_next_free_sgpr 77
		.amdhsa_reserve_vcc 1
		.amdhsa_reserve_flat_scratch 0
		.amdhsa_float_round_mode_32 0
		.amdhsa_float_round_mode_16_64 0
		.amdhsa_float_denorm_mode_32 3
		.amdhsa_float_denorm_mode_16_64 3
		.amdhsa_dx10_clamp 1
		.amdhsa_ieee_mode 1
		.amdhsa_fp16_overflow 0
		.amdhsa_exception_fp_ieee_invalid_op 0
		.amdhsa_exception_fp_denorm_src 0
		.amdhsa_exception_fp_ieee_div_zero 0
		.amdhsa_exception_fp_ieee_overflow 0
		.amdhsa_exception_fp_ieee_underflow 0
		.amdhsa_exception_fp_ieee_inexact 0
		.amdhsa_exception_int_div_zero 0
	.end_amdhsa_kernel
	.section	.text._ZN9rocsparseL20bsrxmvn_17_32_kernelILj29EfllDF16_DF16_fEEvT2_20rocsparse_direction_NS_24const_host_device_scalarIT0_EES1_PKS1_PKT1_SA_S7_PKT3_PKT4_S5_PT5_21rocsparse_index_base_b,"axG",@progbits,_ZN9rocsparseL20bsrxmvn_17_32_kernelILj29EfllDF16_DF16_fEEvT2_20rocsparse_direction_NS_24const_host_device_scalarIT0_EES1_PKS1_PKT1_SA_S7_PKT3_PKT4_S5_PT5_21rocsparse_index_base_b,comdat
.Lfunc_end332:
	.size	_ZN9rocsparseL20bsrxmvn_17_32_kernelILj29EfllDF16_DF16_fEEvT2_20rocsparse_direction_NS_24const_host_device_scalarIT0_EES1_PKS1_PKT1_SA_S7_PKT3_PKT4_S5_PT5_21rocsparse_index_base_b, .Lfunc_end332-_ZN9rocsparseL20bsrxmvn_17_32_kernelILj29EfllDF16_DF16_fEEvT2_20rocsparse_direction_NS_24const_host_device_scalarIT0_EES1_PKS1_PKT1_SA_S7_PKT3_PKT4_S5_PT5_21rocsparse_index_base_b
                                        ; -- End function
	.set _ZN9rocsparseL20bsrxmvn_17_32_kernelILj29EfllDF16_DF16_fEEvT2_20rocsparse_direction_NS_24const_host_device_scalarIT0_EES1_PKS1_PKT1_SA_S7_PKT3_PKT4_S5_PT5_21rocsparse_index_base_b.num_vgpr, 15
	.set _ZN9rocsparseL20bsrxmvn_17_32_kernelILj29EfllDF16_DF16_fEEvT2_20rocsparse_direction_NS_24const_host_device_scalarIT0_EES1_PKS1_PKT1_SA_S7_PKT3_PKT4_S5_PT5_21rocsparse_index_base_b.num_agpr, 0
	.set _ZN9rocsparseL20bsrxmvn_17_32_kernelILj29EfllDF16_DF16_fEEvT2_20rocsparse_direction_NS_24const_host_device_scalarIT0_EES1_PKS1_PKT1_SA_S7_PKT3_PKT4_S5_PT5_21rocsparse_index_base_b.numbered_sgpr, 26
	.set _ZN9rocsparseL20bsrxmvn_17_32_kernelILj29EfllDF16_DF16_fEEvT2_20rocsparse_direction_NS_24const_host_device_scalarIT0_EES1_PKS1_PKT1_SA_S7_PKT3_PKT4_S5_PT5_21rocsparse_index_base_b.num_named_barrier, 0
	.set _ZN9rocsparseL20bsrxmvn_17_32_kernelILj29EfllDF16_DF16_fEEvT2_20rocsparse_direction_NS_24const_host_device_scalarIT0_EES1_PKS1_PKT1_SA_S7_PKT3_PKT4_S5_PT5_21rocsparse_index_base_b.private_seg_size, 0
	.set _ZN9rocsparseL20bsrxmvn_17_32_kernelILj29EfllDF16_DF16_fEEvT2_20rocsparse_direction_NS_24const_host_device_scalarIT0_EES1_PKS1_PKT1_SA_S7_PKT3_PKT4_S5_PT5_21rocsparse_index_base_b.uses_vcc, 1
	.set _ZN9rocsparseL20bsrxmvn_17_32_kernelILj29EfllDF16_DF16_fEEvT2_20rocsparse_direction_NS_24const_host_device_scalarIT0_EES1_PKS1_PKT1_SA_S7_PKT3_PKT4_S5_PT5_21rocsparse_index_base_b.uses_flat_scratch, 0
	.set _ZN9rocsparseL20bsrxmvn_17_32_kernelILj29EfllDF16_DF16_fEEvT2_20rocsparse_direction_NS_24const_host_device_scalarIT0_EES1_PKS1_PKT1_SA_S7_PKT3_PKT4_S5_PT5_21rocsparse_index_base_b.has_dyn_sized_stack, 0
	.set _ZN9rocsparseL20bsrxmvn_17_32_kernelILj29EfllDF16_DF16_fEEvT2_20rocsparse_direction_NS_24const_host_device_scalarIT0_EES1_PKS1_PKT1_SA_S7_PKT3_PKT4_S5_PT5_21rocsparse_index_base_b.has_recursion, 0
	.set _ZN9rocsparseL20bsrxmvn_17_32_kernelILj29EfllDF16_DF16_fEEvT2_20rocsparse_direction_NS_24const_host_device_scalarIT0_EES1_PKS1_PKT1_SA_S7_PKT3_PKT4_S5_PT5_21rocsparse_index_base_b.has_indirect_call, 0
	.section	.AMDGPU.csdata,"",@progbits
; Kernel info:
; codeLenInByte = 1316
; TotalNumSgprs: 30
; NumVgprs: 15
; ScratchSize: 0
; MemoryBound: 0
; FloatMode: 240
; IeeeMode: 1
; LDSByteSize: 3364 bytes/workgroup (compile time only)
; SGPRBlocks: 10
; VGPRBlocks: 8
; NumSGPRsForWavesPerEU: 81
; NumVGPRsForWavesPerEU: 33
; Occupancy: 7
; WaveLimiterHint : 1
; COMPUTE_PGM_RSRC2:SCRATCH_EN: 0
; COMPUTE_PGM_RSRC2:USER_SGPR: 6
; COMPUTE_PGM_RSRC2:TRAP_HANDLER: 0
; COMPUTE_PGM_RSRC2:TGID_X_EN: 1
; COMPUTE_PGM_RSRC2:TGID_Y_EN: 0
; COMPUTE_PGM_RSRC2:TGID_Z_EN: 0
; COMPUTE_PGM_RSRC2:TIDIG_COMP_CNT: 0
	.section	.text._ZN9rocsparseL20bsrxmvn_17_32_kernelILj30EfllDF16_DF16_fEEvT2_20rocsparse_direction_NS_24const_host_device_scalarIT0_EES1_PKS1_PKT1_SA_S7_PKT3_PKT4_S5_PT5_21rocsparse_index_base_b,"axG",@progbits,_ZN9rocsparseL20bsrxmvn_17_32_kernelILj30EfllDF16_DF16_fEEvT2_20rocsparse_direction_NS_24const_host_device_scalarIT0_EES1_PKS1_PKT1_SA_S7_PKT3_PKT4_S5_PT5_21rocsparse_index_base_b,comdat
	.globl	_ZN9rocsparseL20bsrxmvn_17_32_kernelILj30EfllDF16_DF16_fEEvT2_20rocsparse_direction_NS_24const_host_device_scalarIT0_EES1_PKS1_PKT1_SA_S7_PKT3_PKT4_S5_PT5_21rocsparse_index_base_b ; -- Begin function _ZN9rocsparseL20bsrxmvn_17_32_kernelILj30EfllDF16_DF16_fEEvT2_20rocsparse_direction_NS_24const_host_device_scalarIT0_EES1_PKS1_PKT1_SA_S7_PKT3_PKT4_S5_PT5_21rocsparse_index_base_b
	.p2align	8
	.type	_ZN9rocsparseL20bsrxmvn_17_32_kernelILj30EfllDF16_DF16_fEEvT2_20rocsparse_direction_NS_24const_host_device_scalarIT0_EES1_PKS1_PKT1_SA_S7_PKT3_PKT4_S5_PT5_21rocsparse_index_base_b,@function
_ZN9rocsparseL20bsrxmvn_17_32_kernelILj30EfllDF16_DF16_fEEvT2_20rocsparse_direction_NS_24const_host_device_scalarIT0_EES1_PKS1_PKT1_SA_S7_PKT3_PKT4_S5_PT5_21rocsparse_index_base_b: ; @_ZN9rocsparseL20bsrxmvn_17_32_kernelILj30EfllDF16_DF16_fEEvT2_20rocsparse_direction_NS_24const_host_device_scalarIT0_EES1_PKS1_PKT1_SA_S7_PKT3_PKT4_S5_PT5_21rocsparse_index_base_b
; %bb.0:
	s_load_dwordx2 s[18:19], s[4:5], 0x60
	s_load_dwordx2 s[14:15], s[4:5], 0x10
	;; [unrolled: 1-line block ×3, first 2 shown]
	s_waitcnt lgkmcnt(0)
	s_bitcmp1_b32 s19, 0
	s_cselect_b64 s[2:3], -1, 0
	s_xor_b64 s[0:1], s[2:3], -1
	s_and_b64 vcc, exec, s[2:3]
	s_cbranch_vccnz .LBB333_2
; %bb.1:
	s_load_dword s14, s[14:15], 0x0
.LBB333_2:
	s_andn2_b64 vcc, exec, s[0:1]
	s_cbranch_vccnz .LBB333_4
; %bb.3:
	s_load_dword s12, s[12:13], 0x0
.LBB333_4:
	s_waitcnt lgkmcnt(0)
	v_cmp_neq_f32_e64 s[0:1], s14, 0
	v_cmp_neq_f32_e64 s[2:3], s12, 1.0
	s_or_b64 s[0:1], s[0:1], s[2:3]
	s_andn2_b64 vcc, exec, s[0:1]
	s_mov_b32 s7, 0
	s_cbranch_vccnz .LBB333_40
; %bb.5:
	s_load_dwordx4 s[0:3], s[4:5], 0x20
	s_load_dwordx2 s[8:9], s[4:5], 0x30
	s_waitcnt lgkmcnt(0)
	s_cmp_eq_u64 s[0:1], 0
	s_cbranch_scc1 .LBB333_7
; %bb.6:
	s_lshl_b64 s[6:7], s[6:7], 3
	s_add_u32 s0, s0, s6
	s_addc_u32 s1, s1, s7
	s_load_dwordx2 s[0:1], s[0:1], 0x0
	s_waitcnt lgkmcnt(0)
	s_sub_u32 s6, s0, s18
	s_subb_u32 s7, s1, 0
.LBB333_7:
	s_load_dword s10, s[4:5], 0x8
	s_load_dwordx2 s[16:17], s[4:5], 0x58
	v_mul_u32_u24_e32 v1, 0x889, v0
	v_mov_b32_e32 v2, 30
	v_mul_lo_u16_sdwa v2, v1, v2 dst_sel:DWORD dst_unused:UNUSED_PAD src0_sel:WORD_1 src1_sel:DWORD
	s_waitcnt lgkmcnt(0)
	s_cmp_eq_u32 s10, 1
	s_cselect_b64 s[0:1], -1, 0
	s_cmp_lg_u32 s10, 1
	s_cselect_b64 s[20:21], -1, 0
	s_lshl_b64 s[10:11], s[6:7], 3
	s_add_u32 s24, s2, s10
	s_addc_u32 s25, s3, s11
	s_add_u32 s2, s24, 8
	s_addc_u32 s3, s25, 0
	;; [unrolled: 2-line block ×3, first 2 shown]
	s_cmp_eq_u64 s[8:9], 0
	s_cselect_b32 s9, s3, s11
	s_cselect_b32 s8, s2, s10
	s_load_dwordx2 s[2:3], s[8:9], 0x0
	s_load_dwordx2 s[22:23], s[24:25], 0x0
	v_sub_u16_e32 v11, v0, v2
	s_waitcnt lgkmcnt(0)
	v_mov_b32_e32 v2, s2
	v_mov_b32_e32 v3, s3
	v_cmp_ge_i64_e32 vcc, s[22:23], v[2:3]
	v_mov_b32_e32 v2, 0
	s_cbranch_vccnz .LBB333_12
; %bb.8:
	s_load_dwordx4 s[8:11], s[4:5], 0x38
	s_load_dwordx2 s[24:25], s[4:5], 0x48
	s_mov_b32 s4, 0xffff
	s_movk_i32 s5, 0x384
	v_and_b32_sdwa v1, s4, v1 dst_sel:DWORD dst_unused:UNUSED_PAD src0_sel:DWORD src1_sel:WORD_1
	s_sub_u32 s2, s2, s18
	v_subrev_u32_e32 v2, 30, v1
	v_cmp_gt_u32_e32 vcc, s5, v0
	s_subb_u32 s3, s3, 0
	v_cndmask_b32_e32 v1, v2, v1, vcc
	s_sub_u32 s4, s22, s18
	v_cndmask_b32_e64 v1, v11, v1, s[0:1]
	v_mov_b32_e32 v2, 0
	s_subb_u32 s5, s23, 0
	v_lshlrev_b64 v[3:4], 1, v[1:2]
	s_mul_i32 s0, s5, 0x708
	s_mul_hi_u32 s1, s4, 0x708
	s_add_i32 s1, s1, s0
	s_mul_i32 s0, s4, 0x708
	s_waitcnt lgkmcnt(0)
	v_mov_b32_e32 v1, s25
	v_add_co_u32_e32 v3, vcc, s24, v3
	s_add_u32 s0, s10, s0
	v_addc_co_u32_e32 v4, vcc, v1, v4, vcc
	s_addc_u32 s1, s11, s1
	v_lshlrev_b32_e32 v1, 1, v0
	v_mov_b32_e32 v6, s1
	v_add_co_u32_e32 v5, vcc, s0, v1
	v_addc_co_u32_e32 v6, vcc, 0, v6, vcc
	s_movk_i32 s0, 0x383
	v_cmp_lt_u32_e32 vcc, s0, v0
	v_cndmask_b32_e64 v1, 0, 1, vcc
	v_mov_b32_e32 v7, s23
	v_add_co_u32_e32 v8, vcc, s22, v1
	v_addc_co_u32_e32 v9, vcc, 0, v7, vcc
	v_subrev_co_u32_e32 v7, vcc, s18, v8
	v_subbrev_co_u32_e32 v8, vcc, 0, v9, vcc
	v_lshlrev_b64 v[7:8], 3, v[7:8]
	v_mov_b32_e32 v9, s9
	v_add_co_u32_e32 v7, vcc, s8, v7
	v_addc_co_u32_e32 v8, vcc, v9, v8, vcc
	v_mov_b32_e32 v10, s3
	v_mov_b32_e32 v9, s2
	s_branch .LBB333_10
.LBB333_9:                              ;   in Loop: Header=BB333_10 Depth=1
	s_or_b64 exec, exec, s[0:1]
	s_add_u32 s4, s4, 1
	s_addc_u32 s5, s5, 0
	v_cmp_lt_i64_e32 vcc, s[4:5], v[9:10]
	v_add_co_u32_e64 v7, s[0:1], 8, v7
	v_addc_co_u32_e64 v8, s[0:1], 0, v8, s[0:1]
	s_cbranch_vccz .LBB333_12
.LBB333_10:                             ; =>This Inner Loop Header: Depth=1
	v_mov_b32_e32 v13, s5
	v_add_co_u32_e32 v12, vcc, s4, v1
	v_addc_co_u32_e32 v13, vcc, 0, v13, vcc
	v_cmp_gt_i64_e32 vcc, s[2:3], v[12:13]
	s_and_saveexec_b64 s[0:1], vcc
	s_cbranch_execz .LBB333_9
; %bb.11:                               ;   in Loop: Header=BB333_10 Depth=1
	global_load_dwordx2 v[12:13], v[7:8], off
	s_waitcnt vmcnt(0)
	v_subrev_co_u32_e32 v12, vcc, s18, v12
	v_subbrev_co_u32_e32 v14, vcc, 0, v13, vcc
	v_mad_u64_u32 v[12:13], s[8:9], v12, 60, v[3:4]
	v_mad_u64_u32 v[13:14], s[8:9], v14, 60, v[13:14]
	global_load_ushort v14, v[5:6], off
	s_nop 0
	global_load_ushort v12, v[12:13], off
	v_add_co_u32_e32 v5, vcc, 0x708, v5
	v_addc_co_u32_e32 v6, vcc, 0, v6, vcc
	s_waitcnt vmcnt(0)
	v_fma_mix_f32 v2, v14, v12, v2 op_sel_hi:[1,1,0]
	s_branch .LBB333_9
.LBB333_12:
	v_lshlrev_b32_e32 v1, 2, v0
	s_and_b64 vcc, exec, s[20:21]
	ds_write_b32 v1, v2
	s_waitcnt lgkmcnt(0)
	s_barrier
	s_cbranch_vccz .LBB333_24
; %bb.13:
	v_cmp_gt_u16_e32 vcc, 14, v11
	s_and_saveexec_b64 s[0:1], vcc
	s_cbranch_execz .LBB333_15
; %bb.14:
	ds_read2_b32 v[3:4], v1 offset1:16
	s_waitcnt lgkmcnt(0)
	v_add_f32_e32 v3, v4, v3
	ds_write_b32 v1, v3
.LBB333_15:
	s_or_b64 exec, exec, s[0:1]
	v_cmp_gt_u16_e32 vcc, 8, v11
	s_waitcnt lgkmcnt(0)
	s_barrier
	s_and_saveexec_b64 s[0:1], vcc
	s_cbranch_execz .LBB333_17
; %bb.16:
	ds_read2_b32 v[3:4], v1 offset1:8
	s_waitcnt lgkmcnt(0)
	v_add_f32_e32 v3, v4, v3
	ds_write_b32 v1, v3
.LBB333_17:
	s_or_b64 exec, exec, s[0:1]
	v_cmp_gt_u16_e32 vcc, 4, v11
	s_waitcnt lgkmcnt(0)
	s_barrier
	;; [unrolled: 12-line block ×3, first 2 shown]
	s_and_saveexec_b64 s[0:1], vcc
	s_cbranch_execz .LBB333_21
; %bb.20:
	ds_read2_b32 v[3:4], v1 offset1:2
	s_waitcnt lgkmcnt(0)
	v_add_f32_e32 v3, v4, v3
	ds_write_b32 v1, v3
.LBB333_21:
	s_or_b64 exec, exec, s[0:1]
	v_cmp_gt_u32_e32 vcc, 30, v0
	v_mov_b32_e32 v3, v2
	s_waitcnt lgkmcnt(0)
	s_barrier
	s_and_saveexec_b64 s[0:1], vcc
	s_cbranch_execz .LBB333_23
; %bb.22:
	s_movk_i32 s2, 0x74
	v_mad_u32_u24 v3, v0, s2, v1
	ds_read_b64 v[3:4], v3
	s_waitcnt lgkmcnt(0)
	v_add_f32_e32 v3, v3, v4
.LBB333_23:
	s_or_b64 exec, exec, s[0:1]
	s_branch .LBB333_36
.LBB333_24:
                                        ; implicit-def: $vgpr3
	s_cbranch_execz .LBB333_36
; %bb.25:
	s_movk_i32 s0, 0x1a4
	v_cmp_gt_u32_e32 vcc, s0, v0
	s_and_saveexec_b64 s[0:1], vcc
	s_cbranch_execz .LBB333_27
; %bb.26:
	ds_read_b32 v3, v1 offset:1920
	ds_read_b32 v4, v1
	s_waitcnt lgkmcnt(0)
	v_add_f32_e32 v3, v3, v4
	ds_write_b32 v1, v3
.LBB333_27:
	s_or_b64 exec, exec, s[0:1]
	s_movk_i32 s0, 0xf0
	v_cmp_gt_u32_e32 vcc, s0, v0
	s_waitcnt lgkmcnt(0)
	s_barrier
	s_and_saveexec_b64 s[0:1], vcc
	s_cbranch_execz .LBB333_29
; %bb.28:
	ds_read2_b32 v[3:4], v1 offset1:240
	s_waitcnt lgkmcnt(0)
	v_add_f32_e32 v3, v4, v3
	ds_write_b32 v1, v3
.LBB333_29:
	s_or_b64 exec, exec, s[0:1]
	s_movk_i32 s0, 0x78
	v_cmp_gt_u32_e32 vcc, s0, v0
	s_waitcnt lgkmcnt(0)
	s_barrier
	s_and_saveexec_b64 s[0:1], vcc
	s_cbranch_execz .LBB333_31
; %bb.30:
	ds_read2_b32 v[3:4], v1 offset1:120
	s_waitcnt lgkmcnt(0)
	v_add_f32_e32 v3, v4, v3
	ds_write_b32 v1, v3
.LBB333_31:
	s_or_b64 exec, exec, s[0:1]
	v_cmp_gt_u32_e32 vcc, 60, v0
	s_waitcnt lgkmcnt(0)
	s_barrier
	s_and_saveexec_b64 s[0:1], vcc
	s_cbranch_execz .LBB333_33
; %bb.32:
	ds_read2_b32 v[3:4], v1 offset1:60
	s_waitcnt lgkmcnt(0)
	v_add_f32_e32 v3, v4, v3
	ds_write_b32 v1, v3
.LBB333_33:
	s_or_b64 exec, exec, s[0:1]
	v_cmp_gt_u32_e32 vcc, 30, v0
	s_waitcnt lgkmcnt(0)
	s_and_saveexec_b64 s[0:1], vcc
	s_cbranch_execz .LBB333_35
; %bb.34:
	ds_read2_b32 v[2:3], v1 offset1:30
	s_waitcnt lgkmcnt(0)
	v_add_f32_e32 v2, v2, v3
.LBB333_35:
	s_or_b64 exec, exec, s[0:1]
	v_mov_b32_e32 v3, v2
.LBB333_36:
	v_cmp_gt_u32_e32 vcc, 30, v0
	s_and_saveexec_b64 s[0:1], vcc
	s_cbranch_execz .LBB333_40
; %bb.37:
	v_cmp_eq_f32_e64 s[0:1], s12, 0
	s_and_b64 vcc, exec, s[0:1]
	v_mul_f32_e32 v0, s14, v3
	s_mul_i32 s2, s7, 0x78
	s_mul_hi_u32 s3, s6, 0x78
	s_mul_i32 s4, s6, 0x78
	s_cbranch_vccz .LBB333_41
; %bb.38:
	s_add_i32 s1, s3, s2
	s_add_u32 s0, s16, s4
	s_addc_u32 s1, s17, s1
	global_store_dword v1, v0, s[0:1]
	s_cbranch_execnz .LBB333_40
.LBB333_39:
	s_add_i32 s3, s3, s2
	s_add_u32 s0, s16, s4
	s_addc_u32 s1, s17, s3
	global_load_dword v2, v1, s[0:1]
	s_waitcnt vmcnt(0)
	v_fmac_f32_e32 v0, s12, v2
	global_store_dword v1, v0, s[0:1]
.LBB333_40:
	s_endpgm
.LBB333_41:
	s_branch .LBB333_39
	.section	.rodata,"a",@progbits
	.p2align	6, 0x0
	.amdhsa_kernel _ZN9rocsparseL20bsrxmvn_17_32_kernelILj30EfllDF16_DF16_fEEvT2_20rocsparse_direction_NS_24const_host_device_scalarIT0_EES1_PKS1_PKT1_SA_S7_PKT3_PKT4_S5_PT5_21rocsparse_index_base_b
		.amdhsa_group_segment_fixed_size 3600
		.amdhsa_private_segment_fixed_size 0
		.amdhsa_kernarg_size 104
		.amdhsa_user_sgpr_count 6
		.amdhsa_user_sgpr_private_segment_buffer 1
		.amdhsa_user_sgpr_dispatch_ptr 0
		.amdhsa_user_sgpr_queue_ptr 0
		.amdhsa_user_sgpr_kernarg_segment_ptr 1
		.amdhsa_user_sgpr_dispatch_id 0
		.amdhsa_user_sgpr_flat_scratch_init 0
		.amdhsa_user_sgpr_private_segment_size 0
		.amdhsa_uses_dynamic_stack 0
		.amdhsa_system_sgpr_private_segment_wavefront_offset 0
		.amdhsa_system_sgpr_workgroup_id_x 1
		.amdhsa_system_sgpr_workgroup_id_y 0
		.amdhsa_system_sgpr_workgroup_id_z 0
		.amdhsa_system_sgpr_workgroup_info 0
		.amdhsa_system_vgpr_workitem_id 0
		.amdhsa_next_free_vgpr 29
		.amdhsa_next_free_sgpr 61
		.amdhsa_reserve_vcc 1
		.amdhsa_reserve_flat_scratch 0
		.amdhsa_float_round_mode_32 0
		.amdhsa_float_round_mode_16_64 0
		.amdhsa_float_denorm_mode_32 3
		.amdhsa_float_denorm_mode_16_64 3
		.amdhsa_dx10_clamp 1
		.amdhsa_ieee_mode 1
		.amdhsa_fp16_overflow 0
		.amdhsa_exception_fp_ieee_invalid_op 0
		.amdhsa_exception_fp_denorm_src 0
		.amdhsa_exception_fp_ieee_div_zero 0
		.amdhsa_exception_fp_ieee_overflow 0
		.amdhsa_exception_fp_ieee_underflow 0
		.amdhsa_exception_fp_ieee_inexact 0
		.amdhsa_exception_int_div_zero 0
	.end_amdhsa_kernel
	.section	.text._ZN9rocsparseL20bsrxmvn_17_32_kernelILj30EfllDF16_DF16_fEEvT2_20rocsparse_direction_NS_24const_host_device_scalarIT0_EES1_PKS1_PKT1_SA_S7_PKT3_PKT4_S5_PT5_21rocsparse_index_base_b,"axG",@progbits,_ZN9rocsparseL20bsrxmvn_17_32_kernelILj30EfllDF16_DF16_fEEvT2_20rocsparse_direction_NS_24const_host_device_scalarIT0_EES1_PKS1_PKT1_SA_S7_PKT3_PKT4_S5_PT5_21rocsparse_index_base_b,comdat
.Lfunc_end333:
	.size	_ZN9rocsparseL20bsrxmvn_17_32_kernelILj30EfllDF16_DF16_fEEvT2_20rocsparse_direction_NS_24const_host_device_scalarIT0_EES1_PKS1_PKT1_SA_S7_PKT3_PKT4_S5_PT5_21rocsparse_index_base_b, .Lfunc_end333-_ZN9rocsparseL20bsrxmvn_17_32_kernelILj30EfllDF16_DF16_fEEvT2_20rocsparse_direction_NS_24const_host_device_scalarIT0_EES1_PKS1_PKT1_SA_S7_PKT3_PKT4_S5_PT5_21rocsparse_index_base_b
                                        ; -- End function
	.set _ZN9rocsparseL20bsrxmvn_17_32_kernelILj30EfllDF16_DF16_fEEvT2_20rocsparse_direction_NS_24const_host_device_scalarIT0_EES1_PKS1_PKT1_SA_S7_PKT3_PKT4_S5_PT5_21rocsparse_index_base_b.num_vgpr, 15
	.set _ZN9rocsparseL20bsrxmvn_17_32_kernelILj30EfllDF16_DF16_fEEvT2_20rocsparse_direction_NS_24const_host_device_scalarIT0_EES1_PKS1_PKT1_SA_S7_PKT3_PKT4_S5_PT5_21rocsparse_index_base_b.num_agpr, 0
	.set _ZN9rocsparseL20bsrxmvn_17_32_kernelILj30EfllDF16_DF16_fEEvT2_20rocsparse_direction_NS_24const_host_device_scalarIT0_EES1_PKS1_PKT1_SA_S7_PKT3_PKT4_S5_PT5_21rocsparse_index_base_b.numbered_sgpr, 26
	.set _ZN9rocsparseL20bsrxmvn_17_32_kernelILj30EfllDF16_DF16_fEEvT2_20rocsparse_direction_NS_24const_host_device_scalarIT0_EES1_PKS1_PKT1_SA_S7_PKT3_PKT4_S5_PT5_21rocsparse_index_base_b.num_named_barrier, 0
	.set _ZN9rocsparseL20bsrxmvn_17_32_kernelILj30EfllDF16_DF16_fEEvT2_20rocsparse_direction_NS_24const_host_device_scalarIT0_EES1_PKS1_PKT1_SA_S7_PKT3_PKT4_S5_PT5_21rocsparse_index_base_b.private_seg_size, 0
	.set _ZN9rocsparseL20bsrxmvn_17_32_kernelILj30EfllDF16_DF16_fEEvT2_20rocsparse_direction_NS_24const_host_device_scalarIT0_EES1_PKS1_PKT1_SA_S7_PKT3_PKT4_S5_PT5_21rocsparse_index_base_b.uses_vcc, 1
	.set _ZN9rocsparseL20bsrxmvn_17_32_kernelILj30EfllDF16_DF16_fEEvT2_20rocsparse_direction_NS_24const_host_device_scalarIT0_EES1_PKS1_PKT1_SA_S7_PKT3_PKT4_S5_PT5_21rocsparse_index_base_b.uses_flat_scratch, 0
	.set _ZN9rocsparseL20bsrxmvn_17_32_kernelILj30EfllDF16_DF16_fEEvT2_20rocsparse_direction_NS_24const_host_device_scalarIT0_EES1_PKS1_PKT1_SA_S7_PKT3_PKT4_S5_PT5_21rocsparse_index_base_b.has_dyn_sized_stack, 0
	.set _ZN9rocsparseL20bsrxmvn_17_32_kernelILj30EfllDF16_DF16_fEEvT2_20rocsparse_direction_NS_24const_host_device_scalarIT0_EES1_PKS1_PKT1_SA_S7_PKT3_PKT4_S5_PT5_21rocsparse_index_base_b.has_recursion, 0
	.set _ZN9rocsparseL20bsrxmvn_17_32_kernelILj30EfllDF16_DF16_fEEvT2_20rocsparse_direction_NS_24const_host_device_scalarIT0_EES1_PKS1_PKT1_SA_S7_PKT3_PKT4_S5_PT5_21rocsparse_index_base_b.has_indirect_call, 0
	.section	.AMDGPU.csdata,"",@progbits
; Kernel info:
; codeLenInByte = 1316
; TotalNumSgprs: 30
; NumVgprs: 15
; ScratchSize: 0
; MemoryBound: 0
; FloatMode: 240
; IeeeMode: 1
; LDSByteSize: 3600 bytes/workgroup (compile time only)
; SGPRBlocks: 8
; VGPRBlocks: 7
; NumSGPRsForWavesPerEU: 65
; NumVGPRsForWavesPerEU: 29
; Occupancy: 8
; WaveLimiterHint : 1
; COMPUTE_PGM_RSRC2:SCRATCH_EN: 0
; COMPUTE_PGM_RSRC2:USER_SGPR: 6
; COMPUTE_PGM_RSRC2:TRAP_HANDLER: 0
; COMPUTE_PGM_RSRC2:TGID_X_EN: 1
; COMPUTE_PGM_RSRC2:TGID_Y_EN: 0
; COMPUTE_PGM_RSRC2:TGID_Z_EN: 0
; COMPUTE_PGM_RSRC2:TIDIG_COMP_CNT: 0
	.section	.text._ZN9rocsparseL20bsrxmvn_17_32_kernelILj31EfllDF16_DF16_fEEvT2_20rocsparse_direction_NS_24const_host_device_scalarIT0_EES1_PKS1_PKT1_SA_S7_PKT3_PKT4_S5_PT5_21rocsparse_index_base_b,"axG",@progbits,_ZN9rocsparseL20bsrxmvn_17_32_kernelILj31EfllDF16_DF16_fEEvT2_20rocsparse_direction_NS_24const_host_device_scalarIT0_EES1_PKS1_PKT1_SA_S7_PKT3_PKT4_S5_PT5_21rocsparse_index_base_b,comdat
	.globl	_ZN9rocsparseL20bsrxmvn_17_32_kernelILj31EfllDF16_DF16_fEEvT2_20rocsparse_direction_NS_24const_host_device_scalarIT0_EES1_PKS1_PKT1_SA_S7_PKT3_PKT4_S5_PT5_21rocsparse_index_base_b ; -- Begin function _ZN9rocsparseL20bsrxmvn_17_32_kernelILj31EfllDF16_DF16_fEEvT2_20rocsparse_direction_NS_24const_host_device_scalarIT0_EES1_PKS1_PKT1_SA_S7_PKT3_PKT4_S5_PT5_21rocsparse_index_base_b
	.p2align	8
	.type	_ZN9rocsparseL20bsrxmvn_17_32_kernelILj31EfllDF16_DF16_fEEvT2_20rocsparse_direction_NS_24const_host_device_scalarIT0_EES1_PKS1_PKT1_SA_S7_PKT3_PKT4_S5_PT5_21rocsparse_index_base_b,@function
_ZN9rocsparseL20bsrxmvn_17_32_kernelILj31EfllDF16_DF16_fEEvT2_20rocsparse_direction_NS_24const_host_device_scalarIT0_EES1_PKS1_PKT1_SA_S7_PKT3_PKT4_S5_PT5_21rocsparse_index_base_b: ; @_ZN9rocsparseL20bsrxmvn_17_32_kernelILj31EfllDF16_DF16_fEEvT2_20rocsparse_direction_NS_24const_host_device_scalarIT0_EES1_PKS1_PKT1_SA_S7_PKT3_PKT4_S5_PT5_21rocsparse_index_base_b
; %bb.0:
	s_load_dwordx2 s[18:19], s[4:5], 0x60
	s_load_dwordx2 s[14:15], s[4:5], 0x10
	;; [unrolled: 1-line block ×3, first 2 shown]
	s_waitcnt lgkmcnt(0)
	s_bitcmp1_b32 s19, 0
	s_cselect_b64 s[2:3], -1, 0
	s_xor_b64 s[0:1], s[2:3], -1
	s_and_b64 vcc, exec, s[2:3]
	s_cbranch_vccnz .LBB334_2
; %bb.1:
	s_load_dword s14, s[14:15], 0x0
.LBB334_2:
	s_andn2_b64 vcc, exec, s[0:1]
	s_cbranch_vccnz .LBB334_4
; %bb.3:
	s_load_dword s12, s[12:13], 0x0
.LBB334_4:
	s_waitcnt lgkmcnt(0)
	v_cmp_neq_f32_e64 s[0:1], s14, 0
	v_cmp_neq_f32_e64 s[2:3], s12, 1.0
	s_or_b64 s[0:1], s[0:1], s[2:3]
	s_andn2_b64 vcc, exec, s[0:1]
	s_mov_b32 s7, 0
	s_cbranch_vccnz .LBB334_40
; %bb.5:
	s_load_dwordx4 s[0:3], s[4:5], 0x20
	s_load_dwordx2 s[8:9], s[4:5], 0x30
	s_waitcnt lgkmcnt(0)
	s_cmp_eq_u64 s[0:1], 0
	s_cbranch_scc1 .LBB334_7
; %bb.6:
	s_lshl_b64 s[6:7], s[6:7], 3
	s_add_u32 s0, s0, s6
	s_addc_u32 s1, s1, s7
	s_load_dwordx2 s[0:1], s[0:1], 0x0
	s_waitcnt lgkmcnt(0)
	s_sub_u32 s6, s0, s18
	s_subb_u32 s7, s1, 0
.LBB334_7:
	s_load_dword s10, s[4:5], 0x8
	s_load_dwordx2 s[16:17], s[4:5], 0x58
	v_mul_u32_u24_e32 v1, 0x843, v0
	v_mov_b32_e32 v2, 31
	v_mul_lo_u16_sdwa v2, v1, v2 dst_sel:DWORD dst_unused:UNUSED_PAD src0_sel:WORD_1 src1_sel:DWORD
	s_waitcnt lgkmcnt(0)
	s_cmp_eq_u32 s10, 1
	s_cselect_b64 s[0:1], -1, 0
	s_cmp_lg_u32 s10, 1
	s_cselect_b64 s[20:21], -1, 0
	s_lshl_b64 s[10:11], s[6:7], 3
	s_add_u32 s24, s2, s10
	s_addc_u32 s25, s3, s11
	s_add_u32 s2, s24, 8
	s_addc_u32 s3, s25, 0
	;; [unrolled: 2-line block ×3, first 2 shown]
	s_cmp_eq_u64 s[8:9], 0
	s_cselect_b32 s9, s3, s11
	s_cselect_b32 s8, s2, s10
	s_load_dwordx2 s[2:3], s[8:9], 0x0
	s_load_dwordx2 s[22:23], s[24:25], 0x0
	v_sub_u16_e32 v11, v0, v2
	s_waitcnt lgkmcnt(0)
	v_mov_b32_e32 v2, s2
	v_mov_b32_e32 v3, s3
	v_cmp_ge_i64_e32 vcc, s[22:23], v[2:3]
	v_mov_b32_e32 v2, 0
	s_cbranch_vccnz .LBB334_12
; %bb.8:
	s_load_dwordx4 s[8:11], s[4:5], 0x38
	s_load_dwordx2 s[24:25], s[4:5], 0x48
	s_mov_b32 s4, 0xffff
	s_movk_i32 s5, 0x3c1
	v_and_b32_sdwa v1, s4, v1 dst_sel:DWORD dst_unused:UNUSED_PAD src0_sel:DWORD src1_sel:WORD_1
	s_sub_u32 s2, s2, s18
	v_subrev_u32_e32 v2, 31, v1
	v_cmp_gt_u32_e32 vcc, s5, v0
	s_subb_u32 s3, s3, 0
	v_cndmask_b32_e32 v1, v2, v1, vcc
	s_sub_u32 s4, s22, s18
	v_cndmask_b32_e64 v1, v11, v1, s[0:1]
	v_mov_b32_e32 v2, 0
	s_subb_u32 s5, s23, 0
	v_lshlrev_b64 v[3:4], 1, v[1:2]
	s_mul_i32 s0, s5, 0x782
	s_mul_hi_u32 s1, s4, 0x782
	s_add_i32 s1, s1, s0
	s_mul_i32 s0, s4, 0x782
	s_waitcnt lgkmcnt(0)
	v_mov_b32_e32 v1, s25
	v_add_co_u32_e32 v3, vcc, s24, v3
	s_add_u32 s0, s10, s0
	v_addc_co_u32_e32 v4, vcc, v1, v4, vcc
	s_addc_u32 s1, s11, s1
	v_lshlrev_b32_e32 v1, 1, v0
	v_mov_b32_e32 v6, s1
	v_add_co_u32_e32 v5, vcc, s0, v1
	v_addc_co_u32_e32 v6, vcc, 0, v6, vcc
	s_movk_i32 s0, 0x3c0
	v_cmp_lt_u32_e32 vcc, s0, v0
	v_cndmask_b32_e64 v1, 0, 1, vcc
	v_mov_b32_e32 v7, s23
	v_add_co_u32_e32 v8, vcc, s22, v1
	v_addc_co_u32_e32 v9, vcc, 0, v7, vcc
	v_subrev_co_u32_e32 v7, vcc, s18, v8
	v_subbrev_co_u32_e32 v8, vcc, 0, v9, vcc
	v_lshlrev_b64 v[7:8], 3, v[7:8]
	v_mov_b32_e32 v9, s9
	v_add_co_u32_e32 v7, vcc, s8, v7
	v_addc_co_u32_e32 v8, vcc, v9, v8, vcc
	v_mov_b32_e32 v10, s3
	v_mov_b32_e32 v9, s2
	s_branch .LBB334_10
.LBB334_9:                              ;   in Loop: Header=BB334_10 Depth=1
	s_or_b64 exec, exec, s[0:1]
	s_add_u32 s4, s4, 1
	s_addc_u32 s5, s5, 0
	v_cmp_lt_i64_e32 vcc, s[4:5], v[9:10]
	v_add_co_u32_e64 v7, s[0:1], 8, v7
	v_addc_co_u32_e64 v8, s[0:1], 0, v8, s[0:1]
	s_cbranch_vccz .LBB334_12
.LBB334_10:                             ; =>This Inner Loop Header: Depth=1
	v_mov_b32_e32 v13, s5
	v_add_co_u32_e32 v12, vcc, s4, v1
	v_addc_co_u32_e32 v13, vcc, 0, v13, vcc
	v_cmp_gt_i64_e32 vcc, s[2:3], v[12:13]
	s_and_saveexec_b64 s[0:1], vcc
	s_cbranch_execz .LBB334_9
; %bb.11:                               ;   in Loop: Header=BB334_10 Depth=1
	global_load_dwordx2 v[12:13], v[7:8], off
	s_waitcnt vmcnt(0)
	v_subrev_co_u32_e32 v12, vcc, s18, v12
	v_subbrev_co_u32_e32 v14, vcc, 0, v13, vcc
	v_mad_u64_u32 v[12:13], s[8:9], v12, 62, v[3:4]
	v_mad_u64_u32 v[13:14], s[8:9], v14, 62, v[13:14]
	global_load_ushort v14, v[5:6], off
	s_nop 0
	global_load_ushort v12, v[12:13], off
	v_add_co_u32_e32 v5, vcc, 0x782, v5
	v_addc_co_u32_e32 v6, vcc, 0, v6, vcc
	s_waitcnt vmcnt(0)
	v_fma_mix_f32 v2, v14, v12, v2 op_sel_hi:[1,1,0]
	s_branch .LBB334_9
.LBB334_12:
	v_lshlrev_b32_e32 v1, 2, v0
	s_and_b64 vcc, exec, s[20:21]
	ds_write_b32 v1, v2
	s_waitcnt lgkmcnt(0)
	s_barrier
	s_cbranch_vccz .LBB334_24
; %bb.13:
	v_cmp_gt_u16_e32 vcc, 15, v11
	s_and_saveexec_b64 s[0:1], vcc
	s_cbranch_execz .LBB334_15
; %bb.14:
	ds_read2_b32 v[3:4], v1 offset1:16
	s_waitcnt lgkmcnt(0)
	v_add_f32_e32 v3, v4, v3
	ds_write_b32 v1, v3
.LBB334_15:
	s_or_b64 exec, exec, s[0:1]
	v_cmp_gt_u16_e32 vcc, 8, v11
	s_waitcnt lgkmcnt(0)
	s_barrier
	s_and_saveexec_b64 s[0:1], vcc
	s_cbranch_execz .LBB334_17
; %bb.16:
	ds_read2_b32 v[3:4], v1 offset1:8
	s_waitcnt lgkmcnt(0)
	v_add_f32_e32 v3, v4, v3
	ds_write_b32 v1, v3
.LBB334_17:
	s_or_b64 exec, exec, s[0:1]
	v_cmp_gt_u16_e32 vcc, 4, v11
	s_waitcnt lgkmcnt(0)
	s_barrier
	s_and_saveexec_b64 s[0:1], vcc
	s_cbranch_execz .LBB334_19
; %bb.18:
	ds_read2_b32 v[3:4], v1 offset1:4
	s_waitcnt lgkmcnt(0)
	v_add_f32_e32 v3, v4, v3
	ds_write_b32 v1, v3
.LBB334_19:
	s_or_b64 exec, exec, s[0:1]
	v_cmp_gt_u16_e32 vcc, 2, v11
	s_waitcnt lgkmcnt(0)
	s_barrier
	s_and_saveexec_b64 s[0:1], vcc
	s_cbranch_execz .LBB334_21
; %bb.20:
	ds_read2_b32 v[3:4], v1 offset1:2
	s_waitcnt lgkmcnt(0)
	v_add_f32_e32 v3, v4, v3
	ds_write_b32 v1, v3
.LBB334_21:
	s_or_b64 exec, exec, s[0:1]
	v_cmp_gt_u32_e32 vcc, 31, v0
	v_mov_b32_e32 v3, v2
	s_waitcnt lgkmcnt(0)
	s_barrier
	s_and_saveexec_b64 s[0:1], vcc
	s_cbranch_execz .LBB334_23
; %bb.22:
	s_movk_i32 s2, 0x78
	v_mad_u32_u24 v3, v0, s2, v1
	ds_read2_b32 v[3:4], v3 offset1:1
	s_waitcnt lgkmcnt(0)
	v_add_f32_e32 v3, v3, v4
.LBB334_23:
	s_or_b64 exec, exec, s[0:1]
	s_branch .LBB334_36
.LBB334_24:
                                        ; implicit-def: $vgpr3
	s_cbranch_execz .LBB334_36
; %bb.25:
	s_movk_i32 s0, 0x1d1
	v_cmp_gt_u32_e32 vcc, s0, v0
	s_and_saveexec_b64 s[0:1], vcc
	s_cbranch_execz .LBB334_27
; %bb.26:
	ds_read_b32 v3, v1 offset:1984
	ds_read_b32 v4, v1
	s_waitcnt lgkmcnt(0)
	v_add_f32_e32 v3, v3, v4
	ds_write_b32 v1, v3
.LBB334_27:
	s_or_b64 exec, exec, s[0:1]
	s_movk_i32 s0, 0xf8
	v_cmp_gt_u32_e32 vcc, s0, v0
	s_waitcnt lgkmcnt(0)
	s_barrier
	s_and_saveexec_b64 s[0:1], vcc
	s_cbranch_execz .LBB334_29
; %bb.28:
	ds_read2_b32 v[3:4], v1 offset1:248
	s_waitcnt lgkmcnt(0)
	v_add_f32_e32 v3, v4, v3
	ds_write_b32 v1, v3
.LBB334_29:
	s_or_b64 exec, exec, s[0:1]
	s_movk_i32 s0, 0x7c
	v_cmp_gt_u32_e32 vcc, s0, v0
	s_waitcnt lgkmcnt(0)
	s_barrier
	s_and_saveexec_b64 s[0:1], vcc
	s_cbranch_execz .LBB334_31
; %bb.30:
	ds_read2_b32 v[3:4], v1 offset1:124
	s_waitcnt lgkmcnt(0)
	v_add_f32_e32 v3, v4, v3
	ds_write_b32 v1, v3
.LBB334_31:
	s_or_b64 exec, exec, s[0:1]
	v_cmp_gt_u32_e32 vcc, 62, v0
	s_waitcnt lgkmcnt(0)
	s_barrier
	s_and_saveexec_b64 s[0:1], vcc
	s_cbranch_execz .LBB334_33
; %bb.32:
	ds_read2_b32 v[3:4], v1 offset1:62
	s_waitcnt lgkmcnt(0)
	v_add_f32_e32 v3, v4, v3
	ds_write_b32 v1, v3
.LBB334_33:
	s_or_b64 exec, exec, s[0:1]
	v_cmp_gt_u32_e32 vcc, 31, v0
	s_waitcnt lgkmcnt(0)
	s_and_saveexec_b64 s[0:1], vcc
	s_cbranch_execz .LBB334_35
; %bb.34:
	ds_read2_b32 v[2:3], v1 offset1:31
	s_waitcnt lgkmcnt(0)
	v_add_f32_e32 v2, v2, v3
.LBB334_35:
	s_or_b64 exec, exec, s[0:1]
	v_mov_b32_e32 v3, v2
.LBB334_36:
	v_cmp_gt_u32_e32 vcc, 31, v0
	s_and_saveexec_b64 s[0:1], vcc
	s_cbranch_execz .LBB334_40
; %bb.37:
	v_cmp_eq_f32_e64 s[0:1], s12, 0
	s_and_b64 vcc, exec, s[0:1]
	v_mul_f32_e32 v0, s14, v3
	s_mul_i32 s2, s7, 0x7c
	s_mul_hi_u32 s3, s6, 0x7c
	s_mul_i32 s4, s6, 0x7c
	s_cbranch_vccz .LBB334_41
; %bb.38:
	s_add_i32 s1, s3, s2
	s_add_u32 s0, s16, s4
	s_addc_u32 s1, s17, s1
	global_store_dword v1, v0, s[0:1]
	s_cbranch_execnz .LBB334_40
.LBB334_39:
	s_add_i32 s3, s3, s2
	s_add_u32 s0, s16, s4
	s_addc_u32 s1, s17, s3
	global_load_dword v2, v1, s[0:1]
	s_waitcnt vmcnt(0)
	v_fmac_f32_e32 v0, s12, v2
	global_store_dword v1, v0, s[0:1]
.LBB334_40:
	s_endpgm
.LBB334_41:
	s_branch .LBB334_39
	.section	.rodata,"a",@progbits
	.p2align	6, 0x0
	.amdhsa_kernel _ZN9rocsparseL20bsrxmvn_17_32_kernelILj31EfllDF16_DF16_fEEvT2_20rocsparse_direction_NS_24const_host_device_scalarIT0_EES1_PKS1_PKT1_SA_S7_PKT3_PKT4_S5_PT5_21rocsparse_index_base_b
		.amdhsa_group_segment_fixed_size 3844
		.amdhsa_private_segment_fixed_size 0
		.amdhsa_kernarg_size 104
		.amdhsa_user_sgpr_count 6
		.amdhsa_user_sgpr_private_segment_buffer 1
		.amdhsa_user_sgpr_dispatch_ptr 0
		.amdhsa_user_sgpr_queue_ptr 0
		.amdhsa_user_sgpr_kernarg_segment_ptr 1
		.amdhsa_user_sgpr_dispatch_id 0
		.amdhsa_user_sgpr_flat_scratch_init 0
		.amdhsa_user_sgpr_private_segment_size 0
		.amdhsa_uses_dynamic_stack 0
		.amdhsa_system_sgpr_private_segment_wavefront_offset 0
		.amdhsa_system_sgpr_workgroup_id_x 1
		.amdhsa_system_sgpr_workgroup_id_y 0
		.amdhsa_system_sgpr_workgroup_id_z 0
		.amdhsa_system_sgpr_workgroup_info 0
		.amdhsa_system_vgpr_workitem_id 0
		.amdhsa_next_free_vgpr 29
		.amdhsa_next_free_sgpr 61
		.amdhsa_reserve_vcc 1
		.amdhsa_reserve_flat_scratch 0
		.amdhsa_float_round_mode_32 0
		.amdhsa_float_round_mode_16_64 0
		.amdhsa_float_denorm_mode_32 3
		.amdhsa_float_denorm_mode_16_64 3
		.amdhsa_dx10_clamp 1
		.amdhsa_ieee_mode 1
		.amdhsa_fp16_overflow 0
		.amdhsa_exception_fp_ieee_invalid_op 0
		.amdhsa_exception_fp_denorm_src 0
		.amdhsa_exception_fp_ieee_div_zero 0
		.amdhsa_exception_fp_ieee_overflow 0
		.amdhsa_exception_fp_ieee_underflow 0
		.amdhsa_exception_fp_ieee_inexact 0
		.amdhsa_exception_int_div_zero 0
	.end_amdhsa_kernel
	.section	.text._ZN9rocsparseL20bsrxmvn_17_32_kernelILj31EfllDF16_DF16_fEEvT2_20rocsparse_direction_NS_24const_host_device_scalarIT0_EES1_PKS1_PKT1_SA_S7_PKT3_PKT4_S5_PT5_21rocsparse_index_base_b,"axG",@progbits,_ZN9rocsparseL20bsrxmvn_17_32_kernelILj31EfllDF16_DF16_fEEvT2_20rocsparse_direction_NS_24const_host_device_scalarIT0_EES1_PKS1_PKT1_SA_S7_PKT3_PKT4_S5_PT5_21rocsparse_index_base_b,comdat
.Lfunc_end334:
	.size	_ZN9rocsparseL20bsrxmvn_17_32_kernelILj31EfllDF16_DF16_fEEvT2_20rocsparse_direction_NS_24const_host_device_scalarIT0_EES1_PKS1_PKT1_SA_S7_PKT3_PKT4_S5_PT5_21rocsparse_index_base_b, .Lfunc_end334-_ZN9rocsparseL20bsrxmvn_17_32_kernelILj31EfllDF16_DF16_fEEvT2_20rocsparse_direction_NS_24const_host_device_scalarIT0_EES1_PKS1_PKT1_SA_S7_PKT3_PKT4_S5_PT5_21rocsparse_index_base_b
                                        ; -- End function
	.set _ZN9rocsparseL20bsrxmvn_17_32_kernelILj31EfllDF16_DF16_fEEvT2_20rocsparse_direction_NS_24const_host_device_scalarIT0_EES1_PKS1_PKT1_SA_S7_PKT3_PKT4_S5_PT5_21rocsparse_index_base_b.num_vgpr, 15
	.set _ZN9rocsparseL20bsrxmvn_17_32_kernelILj31EfllDF16_DF16_fEEvT2_20rocsparse_direction_NS_24const_host_device_scalarIT0_EES1_PKS1_PKT1_SA_S7_PKT3_PKT4_S5_PT5_21rocsparse_index_base_b.num_agpr, 0
	.set _ZN9rocsparseL20bsrxmvn_17_32_kernelILj31EfllDF16_DF16_fEEvT2_20rocsparse_direction_NS_24const_host_device_scalarIT0_EES1_PKS1_PKT1_SA_S7_PKT3_PKT4_S5_PT5_21rocsparse_index_base_b.numbered_sgpr, 26
	.set _ZN9rocsparseL20bsrxmvn_17_32_kernelILj31EfllDF16_DF16_fEEvT2_20rocsparse_direction_NS_24const_host_device_scalarIT0_EES1_PKS1_PKT1_SA_S7_PKT3_PKT4_S5_PT5_21rocsparse_index_base_b.num_named_barrier, 0
	.set _ZN9rocsparseL20bsrxmvn_17_32_kernelILj31EfllDF16_DF16_fEEvT2_20rocsparse_direction_NS_24const_host_device_scalarIT0_EES1_PKS1_PKT1_SA_S7_PKT3_PKT4_S5_PT5_21rocsparse_index_base_b.private_seg_size, 0
	.set _ZN9rocsparseL20bsrxmvn_17_32_kernelILj31EfllDF16_DF16_fEEvT2_20rocsparse_direction_NS_24const_host_device_scalarIT0_EES1_PKS1_PKT1_SA_S7_PKT3_PKT4_S5_PT5_21rocsparse_index_base_b.uses_vcc, 1
	.set _ZN9rocsparseL20bsrxmvn_17_32_kernelILj31EfllDF16_DF16_fEEvT2_20rocsparse_direction_NS_24const_host_device_scalarIT0_EES1_PKS1_PKT1_SA_S7_PKT3_PKT4_S5_PT5_21rocsparse_index_base_b.uses_flat_scratch, 0
	.set _ZN9rocsparseL20bsrxmvn_17_32_kernelILj31EfllDF16_DF16_fEEvT2_20rocsparse_direction_NS_24const_host_device_scalarIT0_EES1_PKS1_PKT1_SA_S7_PKT3_PKT4_S5_PT5_21rocsparse_index_base_b.has_dyn_sized_stack, 0
	.set _ZN9rocsparseL20bsrxmvn_17_32_kernelILj31EfllDF16_DF16_fEEvT2_20rocsparse_direction_NS_24const_host_device_scalarIT0_EES1_PKS1_PKT1_SA_S7_PKT3_PKT4_S5_PT5_21rocsparse_index_base_b.has_recursion, 0
	.set _ZN9rocsparseL20bsrxmvn_17_32_kernelILj31EfllDF16_DF16_fEEvT2_20rocsparse_direction_NS_24const_host_device_scalarIT0_EES1_PKS1_PKT1_SA_S7_PKT3_PKT4_S5_PT5_21rocsparse_index_base_b.has_indirect_call, 0
	.section	.AMDGPU.csdata,"",@progbits
; Kernel info:
; codeLenInByte = 1316
; TotalNumSgprs: 30
; NumVgprs: 15
; ScratchSize: 0
; MemoryBound: 0
; FloatMode: 240
; IeeeMode: 1
; LDSByteSize: 3844 bytes/workgroup (compile time only)
; SGPRBlocks: 8
; VGPRBlocks: 7
; NumSGPRsForWavesPerEU: 65
; NumVGPRsForWavesPerEU: 29
; Occupancy: 8
; WaveLimiterHint : 1
; COMPUTE_PGM_RSRC2:SCRATCH_EN: 0
; COMPUTE_PGM_RSRC2:USER_SGPR: 6
; COMPUTE_PGM_RSRC2:TRAP_HANDLER: 0
; COMPUTE_PGM_RSRC2:TGID_X_EN: 1
; COMPUTE_PGM_RSRC2:TGID_Y_EN: 0
; COMPUTE_PGM_RSRC2:TGID_Z_EN: 0
; COMPUTE_PGM_RSRC2:TIDIG_COMP_CNT: 0
	.section	.text._ZN9rocsparseL20bsrxmvn_17_32_kernelILj32EfllDF16_DF16_fEEvT2_20rocsparse_direction_NS_24const_host_device_scalarIT0_EES1_PKS1_PKT1_SA_S7_PKT3_PKT4_S5_PT5_21rocsparse_index_base_b,"axG",@progbits,_ZN9rocsparseL20bsrxmvn_17_32_kernelILj32EfllDF16_DF16_fEEvT2_20rocsparse_direction_NS_24const_host_device_scalarIT0_EES1_PKS1_PKT1_SA_S7_PKT3_PKT4_S5_PT5_21rocsparse_index_base_b,comdat
	.globl	_ZN9rocsparseL20bsrxmvn_17_32_kernelILj32EfllDF16_DF16_fEEvT2_20rocsparse_direction_NS_24const_host_device_scalarIT0_EES1_PKS1_PKT1_SA_S7_PKT3_PKT4_S5_PT5_21rocsparse_index_base_b ; -- Begin function _ZN9rocsparseL20bsrxmvn_17_32_kernelILj32EfllDF16_DF16_fEEvT2_20rocsparse_direction_NS_24const_host_device_scalarIT0_EES1_PKS1_PKT1_SA_S7_PKT3_PKT4_S5_PT5_21rocsparse_index_base_b
	.p2align	8
	.type	_ZN9rocsparseL20bsrxmvn_17_32_kernelILj32EfllDF16_DF16_fEEvT2_20rocsparse_direction_NS_24const_host_device_scalarIT0_EES1_PKS1_PKT1_SA_S7_PKT3_PKT4_S5_PT5_21rocsparse_index_base_b,@function
_ZN9rocsparseL20bsrxmvn_17_32_kernelILj32EfllDF16_DF16_fEEvT2_20rocsparse_direction_NS_24const_host_device_scalarIT0_EES1_PKS1_PKT1_SA_S7_PKT3_PKT4_S5_PT5_21rocsparse_index_base_b: ; @_ZN9rocsparseL20bsrxmvn_17_32_kernelILj32EfllDF16_DF16_fEEvT2_20rocsparse_direction_NS_24const_host_device_scalarIT0_EES1_PKS1_PKT1_SA_S7_PKT3_PKT4_S5_PT5_21rocsparse_index_base_b
; %bb.0:
	s_load_dwordx2 s[12:13], s[4:5], 0x60
	s_load_dwordx2 s[10:11], s[4:5], 0x10
	;; [unrolled: 1-line block ×3, first 2 shown]
	s_waitcnt lgkmcnt(0)
	s_bitcmp1_b32 s13, 0
	s_cselect_b64 s[2:3], -1, 0
	s_xor_b64 s[0:1], s[2:3], -1
	s_and_b64 vcc, exec, s[2:3]
	s_cbranch_vccnz .LBB335_2
; %bb.1:
	s_load_dword s10, s[10:11], 0x0
.LBB335_2:
	s_andn2_b64 vcc, exec, s[0:1]
	s_cbranch_vccnz .LBB335_4
; %bb.3:
	s_load_dword s8, s[8:9], 0x0
.LBB335_4:
	s_waitcnt lgkmcnt(0)
	v_cmp_neq_f32_e64 s[0:1], s10, 0
	v_cmp_neq_f32_e64 s[2:3], s8, 1.0
	s_or_b64 s[0:1], s[0:1], s[2:3]
	s_andn2_b64 vcc, exec, s[0:1]
	s_mov_b32 s7, 0
	s_cbranch_vccnz .LBB335_38
; %bb.5:
	s_load_dwordx4 s[0:3], s[4:5], 0x20
	s_load_dwordx2 s[16:17], s[4:5], 0x30
	s_mov_b32 s13, s7
	s_waitcnt lgkmcnt(0)
	s_cmp_eq_u64 s[0:1], 0
	s_cbranch_scc1 .LBB335_7
; %bb.6:
	s_lshl_b64 s[6:7], s[6:7], 3
	s_add_u32 s0, s0, s6
	s_addc_u32 s1, s1, s7
	s_load_dwordx2 s[0:1], s[0:1], 0x0
	s_waitcnt lgkmcnt(0)
	s_sub_u32 s6, s0, s12
	s_subb_u32 s7, s1, 0
.LBB335_7:
	s_load_dword s9, s[4:5], 0x8
	v_and_b32_e32 v6, 31, v0
	v_mov_b32_e32 v5, 0
	s_waitcnt lgkmcnt(0)
	s_cmp_eq_u32 s9, 1
	s_cselect_b64 s[0:1], -1, 0
	s_cmp_lg_u32 s9, 1
	s_cselect_b64 s[14:15], -1, 0
	s_lshl_b64 s[18:19], s[6:7], 3
	s_add_u32 s20, s2, s18
	s_addc_u32 s21, s3, s19
	s_add_u32 s2, s20, 8
	s_addc_u32 s3, s21, 0
	;; [unrolled: 2-line block ×3, first 2 shown]
	s_cmp_eq_u64 s[16:17], 0
	s_cselect_b32 s23, s3, s11
	s_cselect_b32 s22, s2, s9
	s_load_dwordx2 s[18:19], s[22:23], 0x0
	s_load_dwordx2 s[16:17], s[20:21], 0x0
	;; [unrolled: 1-line block ×3, first 2 shown]
	s_waitcnt lgkmcnt(0)
	v_mov_b32_e32 v1, s18
	v_mov_b32_e32 v2, s19
	v_cmp_ge_i64_e32 vcc, s[16:17], v[1:2]
	s_cbranch_vccnz .LBB335_10
; %bb.8:
	s_load_dwordx4 s[20:23], s[4:5], 0x38
	s_load_dwordx2 s[24:25], s[4:5], 0x48
	s_sub_u32 s18, s18, s12
	v_lshrrev_b32_e32 v1, 5, v0
	s_subb_u32 s19, s19, 0
	v_cndmask_b32_e64 v1, v6, v1, s[0:1]
	s_sub_u32 s0, s16, s12
	s_subb_u32 s1, s17, 0
	v_lshlrev_b32_e32 v1, 1, v1
	s_lshl_b64 s[4:5], s[0:1], 11
	s_waitcnt lgkmcnt(0)
	v_mov_b32_e32 v2, s25
	v_add_co_u32_e32 v7, vcc, s24, v1
	s_add_u32 s4, s22, s4
	v_addc_co_u32_e32 v8, vcc, 0, v2, vcc
	s_addc_u32 s5, s23, s5
	v_lshlrev_b32_e32 v1, 1, v0
	v_mov_b32_e32 v2, s5
	v_add_co_u32_e32 v1, vcc, s4, v1
	s_lshl_b64 s[4:5], s[16:17], 3
	s_lshl_b64 s[16:17], s[12:13], 3
	s_sub_u32 s4, s4, s16
	s_subb_u32 s5, s5, s17
	s_add_u32 s4, s20, s4
	v_mov_b32_e32 v3, s18
	v_mov_b32_e32 v5, 0
	v_addc_co_u32_e32 v2, vcc, 0, v2, vcc
	s_addc_u32 s5, s21, s5
	v_mov_b32_e32 v4, s19
.LBB335_9:                              ; =>This Inner Loop Header: Depth=1
	s_load_dwordx2 s[16:17], s[4:5], 0x0
	global_load_ushort v11, v[1:2], off
	s_waitcnt lgkmcnt(0)
	s_sub_u32 s16, s16, s12
	s_subb_u32 s17, s17, 0
	s_lshl_b64 s[16:17], s[16:17], 6
	v_mov_b32_e32 v10, s17
	v_add_co_u32_e32 v9, vcc, s16, v7
	v_addc_co_u32_e32 v10, vcc, v8, v10, vcc
	global_load_ushort v9, v[9:10], off
	v_add_co_u32_e32 v1, vcc, 0x800, v1
	s_add_u32 s0, s0, 1
	v_addc_co_u32_e32 v2, vcc, 0, v2, vcc
	s_addc_u32 s1, s1, 0
	v_cmp_lt_i64_e32 vcc, s[0:1], v[3:4]
	s_add_u32 s4, s4, 8
	s_addc_u32 s5, s5, 0
	s_waitcnt vmcnt(0)
	v_fma_mix_f32 v5, v11, v9, v5 op_sel_hi:[1,1,0]
	s_cbranch_vccnz .LBB335_9
.LBB335_10:
	v_lshlrev_b32_e32 v1, 2, v0
	s_and_b64 vcc, exec, s[14:15]
	ds_write_b32 v1, v5
	s_waitcnt lgkmcnt(0)
	s_barrier
	s_cbranch_vccz .LBB335_22
; %bb.11:
	v_cmp_gt_u32_e32 vcc, 16, v6
	s_and_saveexec_b64 s[0:1], vcc
	s_cbranch_execz .LBB335_13
; %bb.12:
	ds_read2_b32 v[2:3], v1 offset1:16
	s_waitcnt lgkmcnt(0)
	v_add_f32_e32 v2, v3, v2
	ds_write_b32 v1, v2
.LBB335_13:
	s_or_b64 exec, exec, s[0:1]
	v_cmp_gt_u32_e32 vcc, 8, v6
	s_waitcnt lgkmcnt(0)
	s_barrier
	s_and_saveexec_b64 s[0:1], vcc
	s_cbranch_execz .LBB335_15
; %bb.14:
	ds_read2_b32 v[2:3], v1 offset1:8
	s_waitcnt lgkmcnt(0)
	v_add_f32_e32 v2, v3, v2
	ds_write_b32 v1, v2
.LBB335_15:
	s_or_b64 exec, exec, s[0:1]
	v_cmp_gt_u32_e32 vcc, 4, v6
	s_waitcnt lgkmcnt(0)
	s_barrier
	;; [unrolled: 12-line block ×3, first 2 shown]
	s_and_saveexec_b64 s[0:1], vcc
	s_cbranch_execz .LBB335_19
; %bb.18:
	ds_read2_b32 v[2:3], v1 offset1:2
	s_waitcnt lgkmcnt(0)
	v_add_f32_e32 v2, v3, v2
	ds_write_b32 v1, v2
.LBB335_19:
	s_or_b64 exec, exec, s[0:1]
	v_cmp_gt_u32_e32 vcc, 32, v0
	v_mov_b32_e32 v2, v5
	s_waitcnt lgkmcnt(0)
	s_barrier
	s_and_saveexec_b64 s[0:1], vcc
	s_cbranch_execz .LBB335_21
; %bb.20:
	s_movk_i32 s4, 0x7c
	v_mad_u32_u24 v2, v0, s4, v1
	ds_read_b64 v[2:3], v2
	s_waitcnt lgkmcnt(0)
	v_add_f32_e32 v2, v2, v3
.LBB335_21:
	s_or_b64 exec, exec, s[0:1]
	s_branch .LBB335_34
.LBB335_22:
                                        ; implicit-def: $vgpr2
	s_cbranch_execz .LBB335_34
; %bb.23:
	s_movk_i32 s0, 0x200
	v_cmp_gt_u32_e32 vcc, s0, v0
	s_and_saveexec_b64 s[0:1], vcc
	s_cbranch_execz .LBB335_25
; %bb.24:
	ds_read2st64_b32 v[2:3], v1 offset1:8
	s_waitcnt lgkmcnt(0)
	v_add_f32_e32 v2, v3, v2
	ds_write_b32 v1, v2
.LBB335_25:
	s_or_b64 exec, exec, s[0:1]
	s_movk_i32 s0, 0x100
	v_cmp_gt_u32_e32 vcc, s0, v0
	s_waitcnt lgkmcnt(0)
	s_barrier
	s_and_saveexec_b64 s[0:1], vcc
	s_cbranch_execz .LBB335_27
; %bb.26:
	ds_read2st64_b32 v[2:3], v1 offset1:4
	s_waitcnt lgkmcnt(0)
	v_add_f32_e32 v2, v3, v2
	ds_write_b32 v1, v2
.LBB335_27:
	s_or_b64 exec, exec, s[0:1]
	s_movk_i32 s0, 0x80
	v_cmp_gt_u32_e32 vcc, s0, v0
	s_waitcnt lgkmcnt(0)
	s_barrier
	s_and_saveexec_b64 s[0:1], vcc
	s_cbranch_execz .LBB335_29
; %bb.28:
	ds_read2st64_b32 v[2:3], v1 offset1:2
	s_waitcnt lgkmcnt(0)
	v_add_f32_e32 v2, v3, v2
	ds_write_b32 v1, v2
.LBB335_29:
	s_or_b64 exec, exec, s[0:1]
	v_cmp_gt_u32_e32 vcc, 64, v0
	s_waitcnt lgkmcnt(0)
	s_barrier
	s_and_saveexec_b64 s[0:1], vcc
	s_cbranch_execz .LBB335_31
; %bb.30:
	ds_read2st64_b32 v[2:3], v1 offset1:1
	s_waitcnt lgkmcnt(0)
	v_add_f32_e32 v2, v3, v2
	ds_write_b32 v1, v2
.LBB335_31:
	s_or_b64 exec, exec, s[0:1]
	v_cmp_gt_u32_e32 vcc, 32, v0
	s_waitcnt lgkmcnt(0)
	s_and_saveexec_b64 s[0:1], vcc
	s_cbranch_execz .LBB335_33
; %bb.32:
	ds_read2_b32 v[2:3], v1 offset1:32
	s_waitcnt lgkmcnt(0)
	v_add_f32_e32 v5, v2, v3
.LBB335_33:
	s_or_b64 exec, exec, s[0:1]
	v_mov_b32_e32 v2, v5
.LBB335_34:
	v_cmp_gt_u32_e32 vcc, 32, v0
	s_and_saveexec_b64 s[0:1], vcc
	s_cbranch_execz .LBB335_38
; %bb.35:
	v_cmp_eq_f32_e64 s[0:1], s8, 0
	s_and_b64 vcc, exec, s[0:1]
	v_mul_f32_e32 v0, s10, v2
	s_cbranch_vccz .LBB335_39
; %bb.36:
	s_lshl_b64 s[0:1], s[6:7], 7
	s_add_u32 s0, s2, s0
	s_addc_u32 s1, s3, s1
	global_store_dword v1, v0, s[0:1]
	s_cbranch_execnz .LBB335_38
.LBB335_37:
	s_lshl_b64 s[0:1], s[6:7], 7
	s_add_u32 s0, s2, s0
	s_addc_u32 s1, s3, s1
	global_load_dword v2, v1, s[0:1]
	s_waitcnt vmcnt(0)
	v_fmac_f32_e32 v0, s8, v2
	global_store_dword v1, v0, s[0:1]
.LBB335_38:
	s_endpgm
.LBB335_39:
	s_branch .LBB335_37
	.section	.rodata,"a",@progbits
	.p2align	6, 0x0
	.amdhsa_kernel _ZN9rocsparseL20bsrxmvn_17_32_kernelILj32EfllDF16_DF16_fEEvT2_20rocsparse_direction_NS_24const_host_device_scalarIT0_EES1_PKS1_PKT1_SA_S7_PKT3_PKT4_S5_PT5_21rocsparse_index_base_b
		.amdhsa_group_segment_fixed_size 4096
		.amdhsa_private_segment_fixed_size 0
		.amdhsa_kernarg_size 104
		.amdhsa_user_sgpr_count 6
		.amdhsa_user_sgpr_private_segment_buffer 1
		.amdhsa_user_sgpr_dispatch_ptr 0
		.amdhsa_user_sgpr_queue_ptr 0
		.amdhsa_user_sgpr_kernarg_segment_ptr 1
		.amdhsa_user_sgpr_dispatch_id 0
		.amdhsa_user_sgpr_flat_scratch_init 0
		.amdhsa_user_sgpr_private_segment_size 0
		.amdhsa_uses_dynamic_stack 0
		.amdhsa_system_sgpr_private_segment_wavefront_offset 0
		.amdhsa_system_sgpr_workgroup_id_x 1
		.amdhsa_system_sgpr_workgroup_id_y 0
		.amdhsa_system_sgpr_workgroup_id_z 0
		.amdhsa_system_sgpr_workgroup_info 0
		.amdhsa_system_vgpr_workitem_id 0
		.amdhsa_next_free_vgpr 29
		.amdhsa_next_free_sgpr 61
		.amdhsa_reserve_vcc 1
		.amdhsa_reserve_flat_scratch 0
		.amdhsa_float_round_mode_32 0
		.amdhsa_float_round_mode_16_64 0
		.amdhsa_float_denorm_mode_32 3
		.amdhsa_float_denorm_mode_16_64 3
		.amdhsa_dx10_clamp 1
		.amdhsa_ieee_mode 1
		.amdhsa_fp16_overflow 0
		.amdhsa_exception_fp_ieee_invalid_op 0
		.amdhsa_exception_fp_denorm_src 0
		.amdhsa_exception_fp_ieee_div_zero 0
		.amdhsa_exception_fp_ieee_overflow 0
		.amdhsa_exception_fp_ieee_underflow 0
		.amdhsa_exception_fp_ieee_inexact 0
		.amdhsa_exception_int_div_zero 0
	.end_amdhsa_kernel
	.section	.text._ZN9rocsparseL20bsrxmvn_17_32_kernelILj32EfllDF16_DF16_fEEvT2_20rocsparse_direction_NS_24const_host_device_scalarIT0_EES1_PKS1_PKT1_SA_S7_PKT3_PKT4_S5_PT5_21rocsparse_index_base_b,"axG",@progbits,_ZN9rocsparseL20bsrxmvn_17_32_kernelILj32EfllDF16_DF16_fEEvT2_20rocsparse_direction_NS_24const_host_device_scalarIT0_EES1_PKS1_PKT1_SA_S7_PKT3_PKT4_S5_PT5_21rocsparse_index_base_b,comdat
.Lfunc_end335:
	.size	_ZN9rocsparseL20bsrxmvn_17_32_kernelILj32EfllDF16_DF16_fEEvT2_20rocsparse_direction_NS_24const_host_device_scalarIT0_EES1_PKS1_PKT1_SA_S7_PKT3_PKT4_S5_PT5_21rocsparse_index_base_b, .Lfunc_end335-_ZN9rocsparseL20bsrxmvn_17_32_kernelILj32EfllDF16_DF16_fEEvT2_20rocsparse_direction_NS_24const_host_device_scalarIT0_EES1_PKS1_PKT1_SA_S7_PKT3_PKT4_S5_PT5_21rocsparse_index_base_b
                                        ; -- End function
	.set _ZN9rocsparseL20bsrxmvn_17_32_kernelILj32EfllDF16_DF16_fEEvT2_20rocsparse_direction_NS_24const_host_device_scalarIT0_EES1_PKS1_PKT1_SA_S7_PKT3_PKT4_S5_PT5_21rocsparse_index_base_b.num_vgpr, 12
	.set _ZN9rocsparseL20bsrxmvn_17_32_kernelILj32EfllDF16_DF16_fEEvT2_20rocsparse_direction_NS_24const_host_device_scalarIT0_EES1_PKS1_PKT1_SA_S7_PKT3_PKT4_S5_PT5_21rocsparse_index_base_b.num_agpr, 0
	.set _ZN9rocsparseL20bsrxmvn_17_32_kernelILj32EfllDF16_DF16_fEEvT2_20rocsparse_direction_NS_24const_host_device_scalarIT0_EES1_PKS1_PKT1_SA_S7_PKT3_PKT4_S5_PT5_21rocsparse_index_base_b.numbered_sgpr, 26
	.set _ZN9rocsparseL20bsrxmvn_17_32_kernelILj32EfllDF16_DF16_fEEvT2_20rocsparse_direction_NS_24const_host_device_scalarIT0_EES1_PKS1_PKT1_SA_S7_PKT3_PKT4_S5_PT5_21rocsparse_index_base_b.num_named_barrier, 0
	.set _ZN9rocsparseL20bsrxmvn_17_32_kernelILj32EfllDF16_DF16_fEEvT2_20rocsparse_direction_NS_24const_host_device_scalarIT0_EES1_PKS1_PKT1_SA_S7_PKT3_PKT4_S5_PT5_21rocsparse_index_base_b.private_seg_size, 0
	.set _ZN9rocsparseL20bsrxmvn_17_32_kernelILj32EfllDF16_DF16_fEEvT2_20rocsparse_direction_NS_24const_host_device_scalarIT0_EES1_PKS1_PKT1_SA_S7_PKT3_PKT4_S5_PT5_21rocsparse_index_base_b.uses_vcc, 1
	.set _ZN9rocsparseL20bsrxmvn_17_32_kernelILj32EfllDF16_DF16_fEEvT2_20rocsparse_direction_NS_24const_host_device_scalarIT0_EES1_PKS1_PKT1_SA_S7_PKT3_PKT4_S5_PT5_21rocsparse_index_base_b.uses_flat_scratch, 0
	.set _ZN9rocsparseL20bsrxmvn_17_32_kernelILj32EfllDF16_DF16_fEEvT2_20rocsparse_direction_NS_24const_host_device_scalarIT0_EES1_PKS1_PKT1_SA_S7_PKT3_PKT4_S5_PT5_21rocsparse_index_base_b.has_dyn_sized_stack, 0
	.set _ZN9rocsparseL20bsrxmvn_17_32_kernelILj32EfllDF16_DF16_fEEvT2_20rocsparse_direction_NS_24const_host_device_scalarIT0_EES1_PKS1_PKT1_SA_S7_PKT3_PKT4_S5_PT5_21rocsparse_index_base_b.has_recursion, 0
	.set _ZN9rocsparseL20bsrxmvn_17_32_kernelILj32EfllDF16_DF16_fEEvT2_20rocsparse_direction_NS_24const_host_device_scalarIT0_EES1_PKS1_PKT1_SA_S7_PKT3_PKT4_S5_PT5_21rocsparse_index_base_b.has_indirect_call, 0
	.section	.AMDGPU.csdata,"",@progbits
; Kernel info:
; codeLenInByte = 1132
; TotalNumSgprs: 30
; NumVgprs: 12
; ScratchSize: 0
; MemoryBound: 0
; FloatMode: 240
; IeeeMode: 1
; LDSByteSize: 4096 bytes/workgroup (compile time only)
; SGPRBlocks: 8
; VGPRBlocks: 7
; NumSGPRsForWavesPerEU: 65
; NumVGPRsForWavesPerEU: 29
; Occupancy: 8
; WaveLimiterHint : 1
; COMPUTE_PGM_RSRC2:SCRATCH_EN: 0
; COMPUTE_PGM_RSRC2:USER_SGPR: 6
; COMPUTE_PGM_RSRC2:TRAP_HANDLER: 0
; COMPUTE_PGM_RSRC2:TGID_X_EN: 1
; COMPUTE_PGM_RSRC2:TGID_Y_EN: 0
; COMPUTE_PGM_RSRC2:TGID_Z_EN: 0
; COMPUTE_PGM_RSRC2:TIDIG_COMP_CNT: 0
	.section	.text._ZN9rocsparseL20bsrxmvn_17_32_kernelILj17Efii18rocsparse_bfloat16S1_fEEvT2_20rocsparse_direction_NS_24const_host_device_scalarIT0_EES2_PKS2_PKT1_SB_S8_PKT3_PKT4_S6_PT5_21rocsparse_index_base_b,"axG",@progbits,_ZN9rocsparseL20bsrxmvn_17_32_kernelILj17Efii18rocsparse_bfloat16S1_fEEvT2_20rocsparse_direction_NS_24const_host_device_scalarIT0_EES2_PKS2_PKT1_SB_S8_PKT3_PKT4_S6_PT5_21rocsparse_index_base_b,comdat
	.globl	_ZN9rocsparseL20bsrxmvn_17_32_kernelILj17Efii18rocsparse_bfloat16S1_fEEvT2_20rocsparse_direction_NS_24const_host_device_scalarIT0_EES2_PKS2_PKT1_SB_S8_PKT3_PKT4_S6_PT5_21rocsparse_index_base_b ; -- Begin function _ZN9rocsparseL20bsrxmvn_17_32_kernelILj17Efii18rocsparse_bfloat16S1_fEEvT2_20rocsparse_direction_NS_24const_host_device_scalarIT0_EES2_PKS2_PKT1_SB_S8_PKT3_PKT4_S6_PT5_21rocsparse_index_base_b
	.p2align	8
	.type	_ZN9rocsparseL20bsrxmvn_17_32_kernelILj17Efii18rocsparse_bfloat16S1_fEEvT2_20rocsparse_direction_NS_24const_host_device_scalarIT0_EES2_PKS2_PKT1_SB_S8_PKT3_PKT4_S6_PT5_21rocsparse_index_base_b,@function
_ZN9rocsparseL20bsrxmvn_17_32_kernelILj17Efii18rocsparse_bfloat16S1_fEEvT2_20rocsparse_direction_NS_24const_host_device_scalarIT0_EES2_PKS2_PKT1_SB_S8_PKT3_PKT4_S6_PT5_21rocsparse_index_base_b: ; @_ZN9rocsparseL20bsrxmvn_17_32_kernelILj17Efii18rocsparse_bfloat16S1_fEEvT2_20rocsparse_direction_NS_24const_host_device_scalarIT0_EES2_PKS2_PKT1_SB_S8_PKT3_PKT4_S6_PT5_21rocsparse_index_base_b
; %bb.0:
	s_load_dwordx2 s[14:15], s[4:5], 0x58
	s_load_dwordx2 s[10:11], s[4:5], 0x8
	s_load_dwordx2 s[8:9], s[4:5], 0x48
	s_waitcnt lgkmcnt(0)
	s_bitcmp1_b32 s15, 0
	s_cselect_b64 s[2:3], -1, 0
	s_xor_b64 s[0:1], s[2:3], -1
	s_and_b64 vcc, exec, s[2:3]
	s_cbranch_vccnz .LBB336_2
; %bb.1:
	s_load_dword s10, s[10:11], 0x0
.LBB336_2:
	s_andn2_b64 vcc, exec, s[0:1]
	s_cbranch_vccnz .LBB336_4
; %bb.3:
	s_load_dword s8, s[8:9], 0x0
.LBB336_4:
	s_waitcnt lgkmcnt(0)
	v_cmp_neq_f32_e64 s[0:1], s10, 0
	v_cmp_neq_f32_e64 s[2:3], s8, 1.0
	s_or_b64 s[0:1], s[0:1], s[2:3]
	s_andn2_b64 vcc, exec, s[0:1]
	s_cbranch_vccnz .LBB336_40
; %bb.5:
	s_load_dwordx4 s[0:3], s[4:5], 0x18
	s_load_dwordx2 s[18:19], s[4:5], 0x28
	s_waitcnt lgkmcnt(0)
	s_cmp_eq_u64 s[0:1], 0
	s_cbranch_scc1 .LBB336_7
; %bb.6:
	s_ashr_i32 s7, s6, 31
	s_lshl_b64 s[6:7], s[6:7], 2
	s_add_u32 s0, s0, s6
	s_addc_u32 s1, s1, s7
	s_load_dword s0, s[0:1], 0x0
	s_waitcnt lgkmcnt(0)
	s_sub_i32 s6, s0, s14
.LBB336_7:
	s_load_dword s0, s[4:5], 0x4
	s_load_dwordx2 s[12:13], s[4:5], 0x50
	v_mul_u32_u24_e32 v1, 0xf10, v0
	v_mov_b32_e32 v2, 17
	v_mul_lo_u16_sdwa v2, v1, v2 dst_sel:DWORD dst_unused:UNUSED_PAD src0_sel:WORD_1 src1_sel:DWORD
	s_waitcnt lgkmcnt(0)
	s_cmp_eq_u32 s0, 1
	s_cselect_b64 vcc, -1, 0
	s_cmp_lg_u32 s0, 1
	s_cselect_b64 s[16:17], -1, 0
	s_ashr_i32 s7, s6, 31
	s_lshl_b64 s[0:1], s[6:7], 2
	s_add_u32 s2, s2, s0
	s_addc_u32 s3, s3, s1
	s_load_dword s7, s[2:3], 0x0
	s_add_u32 s2, s2, 4
	s_addc_u32 s3, s3, 0
	s_add_u32 s0, s18, s0
	s_addc_u32 s1, s19, s1
	s_cmp_eq_u64 s[18:19], 0
	s_cselect_b32 s1, s3, s1
	s_cselect_b32 s0, s2, s0
	s_load_dword s9, s[0:1], 0x0
	v_sub_u16_e32 v7, v0, v2
	v_mov_b32_e32 v6, 0
	s_waitcnt lgkmcnt(0)
	s_cmp_ge_i32 s7, s9
	s_cbranch_scc1 .LBB336_12
; %bb.8:
	s_load_dwordx4 s[0:3], s[4:5], 0x30
	s_load_dwordx2 s[18:19], s[4:5], 0x40
	v_mov_b32_e32 v2, 31
	v_mul_lo_u16_sdwa v2, v1, v2 dst_sel:DWORD dst_unused:UNUSED_PAD src0_sel:WORD_1 src1_sel:DWORD
	v_lshrrev_b16_e32 v2, 9, v2
	s_sub_i32 s5, s7, s14
	s_sub_i32 s4, s9, s14
	v_mul_lo_u16_e32 v2, 17, v2
	s_mul_i32 s9, s5, 0x242
	v_sub_u16_sdwa v1, v1, v2 dst_sel:DWORD dst_unused:UNUSED_PAD src0_sel:WORD_1 src1_sel:DWORD
	s_mul_hi_i32 s7, s5, 0x242
	s_waitcnt lgkmcnt(0)
	s_add_u32 s2, s2, s9
	v_and_b32_e32 v1, 0xff, v1
	s_addc_u32 s3, s3, s7
	v_lshlrev_b32_e32 v2, 1, v0
	v_cndmask_b32_e32 v1, v7, v1, vcc
	v_mov_b32_e32 v3, s3
	v_add_co_u32_e32 v2, vcc, s2, v2
	s_movk_i32 s2, 0xe3
	v_mov_b32_e32 v6, 0
	v_addc_co_u32_e32 v3, vcc, 0, v3, vcc
	v_mul_u32_u24_sdwa v8, v0, s2 dst_sel:DWORD dst_unused:UNUSED_PAD src0_sel:WORD_0 src1_sel:DWORD
	s_branch .LBB336_10
.LBB336_9:                              ;   in Loop: Header=BB336_10 Depth=1
	s_or_b64 exec, exec, s[2:3]
	s_add_i32 s5, s5, 1
	s_cmp_lt_i32 s5, s4
	s_cbranch_scc0 .LBB336_12
.LBB336_10:                             ; =>This Inner Loop Header: Depth=1
	v_add_u32_sdwa v4, v8, s5 dst_sel:DWORD dst_unused:UNUSED_PAD src0_sel:WORD_1 src1_sel:DWORD
	v_cmp_gt_i32_e32 vcc, s4, v4
	s_and_saveexec_b64 s[2:3], vcc
	s_cbranch_execz .LBB336_9
; %bb.11:                               ;   in Loop: Header=BB336_10 Depth=1
	v_ashrrev_i32_e32 v5, 31, v4
	v_lshlrev_b64 v[4:5], 2, v[4:5]
	v_mov_b32_e32 v9, s1
	v_add_co_u32_e32 v4, vcc, s0, v4
	v_addc_co_u32_e32 v5, vcc, v9, v5, vcc
	global_load_dword v4, v[4:5], off
	v_mov_b32_e32 v10, s19
	global_load_ushort v9, v[2:3], off
	s_waitcnt vmcnt(1)
	v_subrev_u32_e32 v4, s14, v4
	v_mad_u64_u32 v[4:5], s[20:21], v4, 17, v[1:2]
	v_ashrrev_i32_e32 v5, 31, v4
	v_lshlrev_b64 v[4:5], 1, v[4:5]
	v_add_co_u32_e32 v4, vcc, s18, v4
	v_addc_co_u32_e32 v5, vcc, v10, v5, vcc
	global_load_ushort v4, v[4:5], off
	v_add_co_u32_e32 v2, vcc, 0x242, v2
	s_waitcnt vmcnt(1)
	v_lshlrev_b32_e32 v5, 16, v9
	v_addc_co_u32_e32 v3, vcc, 0, v3, vcc
	s_waitcnt vmcnt(0)
	v_lshlrev_b32_e32 v4, 16, v4
	v_fmac_f32_e32 v6, v5, v4
	s_branch .LBB336_9
.LBB336_12:
	v_lshlrev_b32_e32 v1, 2, v0
	s_and_b64 vcc, exec, s[16:17]
	ds_write_b32 v1, v6
	s_waitcnt lgkmcnt(0)
	s_barrier
	s_cbranch_vccz .LBB336_24
; %bb.13:
	v_cmp_eq_u16_e32 vcc, 0, v7
	s_and_saveexec_b64 s[0:1], vcc
	s_cbranch_execz .LBB336_15
; %bb.14:
	ds_read2_b32 v[2:3], v1 offset1:16
	s_waitcnt lgkmcnt(0)
	v_add_f32_e32 v2, v3, v2
	ds_write_b32 v1, v2
.LBB336_15:
	s_or_b64 exec, exec, s[0:1]
	v_cmp_gt_u16_e32 vcc, 8, v7
	s_waitcnt lgkmcnt(0)
	s_barrier
	s_and_saveexec_b64 s[0:1], vcc
	s_cbranch_execz .LBB336_17
; %bb.16:
	ds_read2_b32 v[2:3], v1 offset1:8
	s_waitcnt lgkmcnt(0)
	v_add_f32_e32 v2, v3, v2
	ds_write_b32 v1, v2
.LBB336_17:
	s_or_b64 exec, exec, s[0:1]
	v_cmp_gt_u16_e32 vcc, 4, v7
	s_waitcnt lgkmcnt(0)
	s_barrier
	;; [unrolled: 12-line block ×3, first 2 shown]
	s_and_saveexec_b64 s[0:1], vcc
	s_cbranch_execz .LBB336_21
; %bb.20:
	ds_read2_b32 v[2:3], v1 offset1:2
	s_waitcnt lgkmcnt(0)
	v_add_f32_e32 v2, v3, v2
	ds_write_b32 v1, v2
.LBB336_21:
	s_or_b64 exec, exec, s[0:1]
	v_cmp_gt_u32_e32 vcc, 17, v0
	v_mov_b32_e32 v2, v6
	s_waitcnt lgkmcnt(0)
	s_barrier
	s_and_saveexec_b64 s[0:1], vcc
	s_cbranch_execz .LBB336_23
; %bb.22:
	v_lshl_add_u32 v2, v0, 6, v1
	ds_read2_b32 v[2:3], v2 offset1:1
	s_waitcnt lgkmcnt(0)
	v_add_f32_e32 v2, v2, v3
.LBB336_23:
	s_or_b64 exec, exec, s[0:1]
	v_cmp_gt_u32_e64 s[0:1], 17, v0
	s_branch .LBB336_36
.LBB336_24:
                                        ; implicit-def: $vgpr2
	v_cmp_gt_u32_e64 s[0:1], 17, v0
	s_cbranch_execz .LBB336_36
; %bb.25:
	s_and_saveexec_b64 s[2:3], s[0:1]
	s_cbranch_execz .LBB336_27
; %bb.26:
	ds_read_b32 v2, v1 offset:1088
	ds_read_b32 v3, v1
	s_waitcnt lgkmcnt(0)
	v_add_f32_e32 v2, v2, v3
	ds_write_b32 v1, v2
.LBB336_27:
	s_or_b64 exec, exec, s[2:3]
	s_movk_i32 s2, 0x88
	v_cmp_gt_u32_e32 vcc, s2, v0
	s_waitcnt lgkmcnt(0)
	s_barrier
	s_and_saveexec_b64 s[2:3], vcc
	s_cbranch_execz .LBB336_29
; %bb.28:
	ds_read2_b32 v[2:3], v1 offset1:136
	s_waitcnt lgkmcnt(0)
	v_add_f32_e32 v2, v3, v2
	ds_write_b32 v1, v2
.LBB336_29:
	s_or_b64 exec, exec, s[2:3]
	s_movk_i32 s2, 0x44
	v_cmp_gt_u32_e32 vcc, s2, v0
	s_waitcnt lgkmcnt(0)
	s_barrier
	s_and_saveexec_b64 s[2:3], vcc
	s_cbranch_execz .LBB336_31
; %bb.30:
	ds_read2_b32 v[2:3], v1 offset1:68
	s_waitcnt lgkmcnt(0)
	v_add_f32_e32 v2, v3, v2
	ds_write_b32 v1, v2
.LBB336_31:
	s_or_b64 exec, exec, s[2:3]
	v_cmp_gt_u32_e32 vcc, 34, v0
	s_waitcnt lgkmcnt(0)
	s_barrier
	s_and_saveexec_b64 s[2:3], vcc
	s_cbranch_execz .LBB336_33
; %bb.32:
	ds_read2_b32 v[2:3], v1 offset1:34
	s_waitcnt lgkmcnt(0)
	v_add_f32_e32 v2, v3, v2
	ds_write_b32 v1, v2
.LBB336_33:
	s_or_b64 exec, exec, s[2:3]
	s_waitcnt lgkmcnt(0)
	s_and_saveexec_b64 s[2:3], s[0:1]
	s_cbranch_execz .LBB336_35
; %bb.34:
	ds_read2_b32 v[1:2], v1 offset1:17
	s_waitcnt lgkmcnt(0)
	v_add_f32_e32 v6, v1, v2
.LBB336_35:
	s_or_b64 exec, exec, s[2:3]
	v_mov_b32_e32 v2, v6
.LBB336_36:
	v_cmp_gt_u32_e32 vcc, 17, v0
	s_and_saveexec_b64 s[0:1], vcc
	s_cbranch_execz .LBB336_40
; %bb.37:
	v_cmp_eq_f32_e64 s[0:1], s8, 0
	s_and_b64 vcc, exec, s[0:1]
	v_mul_f32_e32 v1, s10, v2
	s_cbranch_vccz .LBB336_41
; %bb.38:
	v_mad_u64_u32 v[2:3], s[0:1], s6, 17, v[0:1]
	v_mov_b32_e32 v3, 0
	v_mov_b32_e32 v4, s13
	v_lshlrev_b64 v[2:3], 2, v[2:3]
	v_add_co_u32_e32 v2, vcc, s12, v2
	v_addc_co_u32_e32 v3, vcc, v4, v3, vcc
	global_store_dword v[2:3], v1, off
	s_cbranch_execnz .LBB336_40
.LBB336_39:
	v_mad_u64_u32 v[2:3], s[0:1], s6, 17, v[0:1]
	v_mov_b32_e32 v3, 0
	v_mov_b32_e32 v0, s13
	v_lshlrev_b64 v[2:3], 2, v[2:3]
	v_add_co_u32_e32 v2, vcc, s12, v2
	v_addc_co_u32_e32 v3, vcc, v0, v3, vcc
	global_load_dword v0, v[2:3], off
	s_waitcnt vmcnt(0)
	v_fmac_f32_e32 v1, s8, v0
	global_store_dword v[2:3], v1, off
.LBB336_40:
	s_endpgm
.LBB336_41:
	s_branch .LBB336_39
	.section	.rodata,"a",@progbits
	.p2align	6, 0x0
	.amdhsa_kernel _ZN9rocsparseL20bsrxmvn_17_32_kernelILj17Efii18rocsparse_bfloat16S1_fEEvT2_20rocsparse_direction_NS_24const_host_device_scalarIT0_EES2_PKS2_PKT1_SB_S8_PKT3_PKT4_S6_PT5_21rocsparse_index_base_b
		.amdhsa_group_segment_fixed_size 1156
		.amdhsa_private_segment_fixed_size 0
		.amdhsa_kernarg_size 96
		.amdhsa_user_sgpr_count 6
		.amdhsa_user_sgpr_private_segment_buffer 1
		.amdhsa_user_sgpr_dispatch_ptr 0
		.amdhsa_user_sgpr_queue_ptr 0
		.amdhsa_user_sgpr_kernarg_segment_ptr 1
		.amdhsa_user_sgpr_dispatch_id 0
		.amdhsa_user_sgpr_flat_scratch_init 0
		.amdhsa_user_sgpr_private_segment_size 0
		.amdhsa_uses_dynamic_stack 0
		.amdhsa_system_sgpr_private_segment_wavefront_offset 0
		.amdhsa_system_sgpr_workgroup_id_x 1
		.amdhsa_system_sgpr_workgroup_id_y 0
		.amdhsa_system_sgpr_workgroup_id_z 0
		.amdhsa_system_sgpr_workgroup_info 0
		.amdhsa_system_vgpr_workitem_id 0
		.amdhsa_next_free_vgpr 11
		.amdhsa_next_free_sgpr 22
		.amdhsa_reserve_vcc 1
		.amdhsa_reserve_flat_scratch 0
		.amdhsa_float_round_mode_32 0
		.amdhsa_float_round_mode_16_64 0
		.amdhsa_float_denorm_mode_32 3
		.amdhsa_float_denorm_mode_16_64 3
		.amdhsa_dx10_clamp 1
		.amdhsa_ieee_mode 1
		.amdhsa_fp16_overflow 0
		.amdhsa_exception_fp_ieee_invalid_op 0
		.amdhsa_exception_fp_denorm_src 0
		.amdhsa_exception_fp_ieee_div_zero 0
		.amdhsa_exception_fp_ieee_overflow 0
		.amdhsa_exception_fp_ieee_underflow 0
		.amdhsa_exception_fp_ieee_inexact 0
		.amdhsa_exception_int_div_zero 0
	.end_amdhsa_kernel
	.section	.text._ZN9rocsparseL20bsrxmvn_17_32_kernelILj17Efii18rocsparse_bfloat16S1_fEEvT2_20rocsparse_direction_NS_24const_host_device_scalarIT0_EES2_PKS2_PKT1_SB_S8_PKT3_PKT4_S6_PT5_21rocsparse_index_base_b,"axG",@progbits,_ZN9rocsparseL20bsrxmvn_17_32_kernelILj17Efii18rocsparse_bfloat16S1_fEEvT2_20rocsparse_direction_NS_24const_host_device_scalarIT0_EES2_PKS2_PKT1_SB_S8_PKT3_PKT4_S6_PT5_21rocsparse_index_base_b,comdat
.Lfunc_end336:
	.size	_ZN9rocsparseL20bsrxmvn_17_32_kernelILj17Efii18rocsparse_bfloat16S1_fEEvT2_20rocsparse_direction_NS_24const_host_device_scalarIT0_EES2_PKS2_PKT1_SB_S8_PKT3_PKT4_S6_PT5_21rocsparse_index_base_b, .Lfunc_end336-_ZN9rocsparseL20bsrxmvn_17_32_kernelILj17Efii18rocsparse_bfloat16S1_fEEvT2_20rocsparse_direction_NS_24const_host_device_scalarIT0_EES2_PKS2_PKT1_SB_S8_PKT3_PKT4_S6_PT5_21rocsparse_index_base_b
                                        ; -- End function
	.set _ZN9rocsparseL20bsrxmvn_17_32_kernelILj17Efii18rocsparse_bfloat16S1_fEEvT2_20rocsparse_direction_NS_24const_host_device_scalarIT0_EES2_PKS2_PKT1_SB_S8_PKT3_PKT4_S6_PT5_21rocsparse_index_base_b.num_vgpr, 11
	.set _ZN9rocsparseL20bsrxmvn_17_32_kernelILj17Efii18rocsparse_bfloat16S1_fEEvT2_20rocsparse_direction_NS_24const_host_device_scalarIT0_EES2_PKS2_PKT1_SB_S8_PKT3_PKT4_S6_PT5_21rocsparse_index_base_b.num_agpr, 0
	.set _ZN9rocsparseL20bsrxmvn_17_32_kernelILj17Efii18rocsparse_bfloat16S1_fEEvT2_20rocsparse_direction_NS_24const_host_device_scalarIT0_EES2_PKS2_PKT1_SB_S8_PKT3_PKT4_S6_PT5_21rocsparse_index_base_b.numbered_sgpr, 22
	.set _ZN9rocsparseL20bsrxmvn_17_32_kernelILj17Efii18rocsparse_bfloat16S1_fEEvT2_20rocsparse_direction_NS_24const_host_device_scalarIT0_EES2_PKS2_PKT1_SB_S8_PKT3_PKT4_S6_PT5_21rocsparse_index_base_b.num_named_barrier, 0
	.set _ZN9rocsparseL20bsrxmvn_17_32_kernelILj17Efii18rocsparse_bfloat16S1_fEEvT2_20rocsparse_direction_NS_24const_host_device_scalarIT0_EES2_PKS2_PKT1_SB_S8_PKT3_PKT4_S6_PT5_21rocsparse_index_base_b.private_seg_size, 0
	.set _ZN9rocsparseL20bsrxmvn_17_32_kernelILj17Efii18rocsparse_bfloat16S1_fEEvT2_20rocsparse_direction_NS_24const_host_device_scalarIT0_EES2_PKS2_PKT1_SB_S8_PKT3_PKT4_S6_PT5_21rocsparse_index_base_b.uses_vcc, 1
	.set _ZN9rocsparseL20bsrxmvn_17_32_kernelILj17Efii18rocsparse_bfloat16S1_fEEvT2_20rocsparse_direction_NS_24const_host_device_scalarIT0_EES2_PKS2_PKT1_SB_S8_PKT3_PKT4_S6_PT5_21rocsparse_index_base_b.uses_flat_scratch, 0
	.set _ZN9rocsparseL20bsrxmvn_17_32_kernelILj17Efii18rocsparse_bfloat16S1_fEEvT2_20rocsparse_direction_NS_24const_host_device_scalarIT0_EES2_PKS2_PKT1_SB_S8_PKT3_PKT4_S6_PT5_21rocsparse_index_base_b.has_dyn_sized_stack, 0
	.set _ZN9rocsparseL20bsrxmvn_17_32_kernelILj17Efii18rocsparse_bfloat16S1_fEEvT2_20rocsparse_direction_NS_24const_host_device_scalarIT0_EES2_PKS2_PKT1_SB_S8_PKT3_PKT4_S6_PT5_21rocsparse_index_base_b.has_recursion, 0
	.set _ZN9rocsparseL20bsrxmvn_17_32_kernelILj17Efii18rocsparse_bfloat16S1_fEEvT2_20rocsparse_direction_NS_24const_host_device_scalarIT0_EES2_PKS2_PKT1_SB_S8_PKT3_PKT4_S6_PT5_21rocsparse_index_base_b.has_indirect_call, 0
	.section	.AMDGPU.csdata,"",@progbits
; Kernel info:
; codeLenInByte = 1248
; TotalNumSgprs: 26
; NumVgprs: 11
; ScratchSize: 0
; MemoryBound: 0
; FloatMode: 240
; IeeeMode: 1
; LDSByteSize: 1156 bytes/workgroup (compile time only)
; SGPRBlocks: 3
; VGPRBlocks: 2
; NumSGPRsForWavesPerEU: 26
; NumVGPRsForWavesPerEU: 11
; Occupancy: 10
; WaveLimiterHint : 1
; COMPUTE_PGM_RSRC2:SCRATCH_EN: 0
; COMPUTE_PGM_RSRC2:USER_SGPR: 6
; COMPUTE_PGM_RSRC2:TRAP_HANDLER: 0
; COMPUTE_PGM_RSRC2:TGID_X_EN: 1
; COMPUTE_PGM_RSRC2:TGID_Y_EN: 0
; COMPUTE_PGM_RSRC2:TGID_Z_EN: 0
; COMPUTE_PGM_RSRC2:TIDIG_COMP_CNT: 0
	.section	.text._ZN9rocsparseL20bsrxmvn_17_32_kernelILj18Efii18rocsparse_bfloat16S1_fEEvT2_20rocsparse_direction_NS_24const_host_device_scalarIT0_EES2_PKS2_PKT1_SB_S8_PKT3_PKT4_S6_PT5_21rocsparse_index_base_b,"axG",@progbits,_ZN9rocsparseL20bsrxmvn_17_32_kernelILj18Efii18rocsparse_bfloat16S1_fEEvT2_20rocsparse_direction_NS_24const_host_device_scalarIT0_EES2_PKS2_PKT1_SB_S8_PKT3_PKT4_S6_PT5_21rocsparse_index_base_b,comdat
	.globl	_ZN9rocsparseL20bsrxmvn_17_32_kernelILj18Efii18rocsparse_bfloat16S1_fEEvT2_20rocsparse_direction_NS_24const_host_device_scalarIT0_EES2_PKS2_PKT1_SB_S8_PKT3_PKT4_S6_PT5_21rocsparse_index_base_b ; -- Begin function _ZN9rocsparseL20bsrxmvn_17_32_kernelILj18Efii18rocsparse_bfloat16S1_fEEvT2_20rocsparse_direction_NS_24const_host_device_scalarIT0_EES2_PKS2_PKT1_SB_S8_PKT3_PKT4_S6_PT5_21rocsparse_index_base_b
	.p2align	8
	.type	_ZN9rocsparseL20bsrxmvn_17_32_kernelILj18Efii18rocsparse_bfloat16S1_fEEvT2_20rocsparse_direction_NS_24const_host_device_scalarIT0_EES2_PKS2_PKT1_SB_S8_PKT3_PKT4_S6_PT5_21rocsparse_index_base_b,@function
_ZN9rocsparseL20bsrxmvn_17_32_kernelILj18Efii18rocsparse_bfloat16S1_fEEvT2_20rocsparse_direction_NS_24const_host_device_scalarIT0_EES2_PKS2_PKT1_SB_S8_PKT3_PKT4_S6_PT5_21rocsparse_index_base_b: ; @_ZN9rocsparseL20bsrxmvn_17_32_kernelILj18Efii18rocsparse_bfloat16S1_fEEvT2_20rocsparse_direction_NS_24const_host_device_scalarIT0_EES2_PKS2_PKT1_SB_S8_PKT3_PKT4_S6_PT5_21rocsparse_index_base_b
; %bb.0:
	s_load_dwordx2 s[14:15], s[4:5], 0x58
	s_load_dwordx2 s[10:11], s[4:5], 0x8
	;; [unrolled: 1-line block ×3, first 2 shown]
	s_waitcnt lgkmcnt(0)
	s_bitcmp1_b32 s15, 0
	s_cselect_b64 s[2:3], -1, 0
	s_xor_b64 s[0:1], s[2:3], -1
	s_and_b64 vcc, exec, s[2:3]
	s_cbranch_vccnz .LBB337_2
; %bb.1:
	s_load_dword s10, s[10:11], 0x0
.LBB337_2:
	s_andn2_b64 vcc, exec, s[0:1]
	s_cbranch_vccnz .LBB337_4
; %bb.3:
	s_load_dword s8, s[8:9], 0x0
.LBB337_4:
	s_waitcnt lgkmcnt(0)
	v_cmp_neq_f32_e64 s[0:1], s10, 0
	v_cmp_neq_f32_e64 s[2:3], s8, 1.0
	s_or_b64 s[0:1], s[0:1], s[2:3]
	s_andn2_b64 vcc, exec, s[0:1]
	s_cbranch_vccnz .LBB337_40
; %bb.5:
	s_load_dwordx4 s[0:3], s[4:5], 0x18
	s_load_dwordx2 s[18:19], s[4:5], 0x28
	s_waitcnt lgkmcnt(0)
	s_cmp_eq_u64 s[0:1], 0
	s_cbranch_scc1 .LBB337_7
; %bb.6:
	s_ashr_i32 s7, s6, 31
	s_lshl_b64 s[6:7], s[6:7], 2
	s_add_u32 s0, s0, s6
	s_addc_u32 s1, s1, s7
	s_load_dword s0, s[0:1], 0x0
	s_waitcnt lgkmcnt(0)
	s_sub_i32 s6, s0, s14
.LBB337_7:
	s_load_dword s0, s[4:5], 0x4
	s_load_dwordx2 s[12:13], s[4:5], 0x50
	v_mul_u32_u24_e32 v1, 0xe39, v0
	v_mov_b32_e32 v2, 18
	v_mul_lo_u16_sdwa v3, v1, v2 dst_sel:DWORD dst_unused:UNUSED_PAD src0_sel:WORD_1 src1_sel:DWORD
	s_waitcnt lgkmcnt(0)
	s_cmp_eq_u32 s0, 1
	s_cselect_b64 vcc, -1, 0
	s_cmp_lg_u32 s0, 1
	s_cselect_b64 s[16:17], -1, 0
	s_ashr_i32 s7, s6, 31
	s_lshl_b64 s[0:1], s[6:7], 2
	s_add_u32 s2, s2, s0
	s_addc_u32 s3, s3, s1
	s_load_dword s7, s[2:3], 0x0
	s_add_u32 s2, s2, 4
	s_addc_u32 s3, s3, 0
	s_add_u32 s0, s18, s0
	s_addc_u32 s1, s19, s1
	s_cmp_eq_u64 s[18:19], 0
	s_cselect_b32 s1, s3, s1
	s_cselect_b32 s0, s2, s0
	s_load_dword s9, s[0:1], 0x0
	v_sub_u16_e32 v7, v0, v3
	v_mov_b32_e32 v6, 0
	s_waitcnt lgkmcnt(0)
	s_cmp_ge_i32 s7, s9
	s_cbranch_scc1 .LBB337_12
; %bb.8:
	s_load_dwordx4 s[0:3], s[4:5], 0x30
	s_load_dwordx2 s[18:19], s[4:5], 0x40
	v_mov_b32_e32 v3, 15
	v_mul_lo_u16_sdwa v3, v1, v3 dst_sel:DWORD dst_unused:UNUSED_PAD src0_sel:WORD_1 src1_sel:DWORD
	v_mul_lo_u16_sdwa v2, v3, v2 dst_sel:DWORD dst_unused:UNUSED_PAD src0_sel:BYTE_1 src1_sel:DWORD
	s_sub_i32 s5, s7, s14
	s_sub_i32 s4, s9, s14
	v_sub_u16_sdwa v1, v1, v2 dst_sel:DWORD dst_unused:UNUSED_PAD src0_sel:WORD_1 src1_sel:DWORD
	s_mul_i32 s9, s5, 0x288
	v_and_b32_e32 v1, 0xff, v1
	s_mul_hi_i32 s7, s5, 0x288
	s_waitcnt lgkmcnt(0)
	s_add_u32 s2, s2, s9
	v_lshlrev_b32_e32 v2, 1, v0
	v_cndmask_b32_e32 v1, v7, v1, vcc
	s_addc_u32 s3, s3, s7
	v_add_co_u32_e32 v2, vcc, s2, v2
	s_movk_i32 s2, 0x195
	v_mov_b32_e32 v3, s3
	v_mul_u32_u24_sdwa v4, v0, s2 dst_sel:DWORD dst_unused:UNUSED_PAD src0_sel:WORD_0 src1_sel:DWORD
	v_mov_b32_e32 v6, 0
	v_addc_co_u32_e32 v3, vcc, 0, v3, vcc
	v_lshrrev_b32_e32 v8, 17, v4
	s_branch .LBB337_10
.LBB337_9:                              ;   in Loop: Header=BB337_10 Depth=1
	s_or_b64 exec, exec, s[2:3]
	s_add_i32 s5, s5, 1
	s_cmp_lt_i32 s5, s4
	s_cbranch_scc0 .LBB337_12
.LBB337_10:                             ; =>This Inner Loop Header: Depth=1
	v_add_u32_e32 v4, s5, v8
	v_cmp_gt_i32_e32 vcc, s4, v4
	s_and_saveexec_b64 s[2:3], vcc
	s_cbranch_execz .LBB337_9
; %bb.11:                               ;   in Loop: Header=BB337_10 Depth=1
	v_ashrrev_i32_e32 v5, 31, v4
	v_lshlrev_b64 v[4:5], 2, v[4:5]
	v_mov_b32_e32 v9, s1
	v_add_co_u32_e32 v4, vcc, s0, v4
	v_addc_co_u32_e32 v5, vcc, v9, v5, vcc
	global_load_dword v4, v[4:5], off
	v_mov_b32_e32 v10, s19
	global_load_ushort v9, v[2:3], off
	s_waitcnt vmcnt(1)
	v_subrev_u32_e32 v4, s14, v4
	v_mad_u64_u32 v[4:5], s[20:21], v4, 18, v[1:2]
	v_ashrrev_i32_e32 v5, 31, v4
	v_lshlrev_b64 v[4:5], 1, v[4:5]
	v_add_co_u32_e32 v4, vcc, s18, v4
	v_addc_co_u32_e32 v5, vcc, v10, v5, vcc
	global_load_ushort v4, v[4:5], off
	v_add_co_u32_e32 v2, vcc, 0x288, v2
	s_waitcnt vmcnt(1)
	v_lshlrev_b32_e32 v5, 16, v9
	v_addc_co_u32_e32 v3, vcc, 0, v3, vcc
	s_waitcnt vmcnt(0)
	v_lshlrev_b32_e32 v4, 16, v4
	v_fmac_f32_e32 v6, v5, v4
	s_branch .LBB337_9
.LBB337_12:
	v_lshlrev_b32_e32 v1, 2, v0
	s_and_b64 vcc, exec, s[16:17]
	ds_write_b32 v1, v6
	s_waitcnt lgkmcnt(0)
	s_barrier
	s_cbranch_vccz .LBB337_24
; %bb.13:
	v_cmp_gt_u16_e32 vcc, 2, v7
	s_and_saveexec_b64 s[0:1], vcc
	s_cbranch_execz .LBB337_15
; %bb.14:
	ds_read2_b32 v[2:3], v1 offset1:16
	s_waitcnt lgkmcnt(0)
	v_add_f32_e32 v2, v3, v2
	ds_write_b32 v1, v2
.LBB337_15:
	s_or_b64 exec, exec, s[0:1]
	v_cmp_gt_u16_e64 s[0:1], 8, v7
	s_waitcnt lgkmcnt(0)
	s_barrier
	s_and_saveexec_b64 s[2:3], s[0:1]
	s_cbranch_execz .LBB337_17
; %bb.16:
	ds_read2_b32 v[2:3], v1 offset1:8
	s_waitcnt lgkmcnt(0)
	v_add_f32_e32 v2, v3, v2
	ds_write_b32 v1, v2
.LBB337_17:
	s_or_b64 exec, exec, s[2:3]
	v_cmp_gt_u16_e64 s[0:1], 4, v7
	s_waitcnt lgkmcnt(0)
	s_barrier
	s_and_saveexec_b64 s[2:3], s[0:1]
	s_cbranch_execz .LBB337_19
; %bb.18:
	ds_read2_b32 v[2:3], v1 offset1:4
	s_waitcnt lgkmcnt(0)
	v_add_f32_e32 v2, v3, v2
	ds_write_b32 v1, v2
.LBB337_19:
	s_or_b64 exec, exec, s[2:3]
	s_waitcnt lgkmcnt(0)
	s_barrier
	s_and_saveexec_b64 s[0:1], vcc
	s_cbranch_execz .LBB337_21
; %bb.20:
	ds_read2_b32 v[2:3], v1 offset1:2
	s_waitcnt lgkmcnt(0)
	v_add_f32_e32 v2, v3, v2
	ds_write_b32 v1, v2
.LBB337_21:
	s_or_b64 exec, exec, s[0:1]
	v_cmp_gt_u32_e32 vcc, 18, v0
	v_mov_b32_e32 v2, v6
	s_waitcnt lgkmcnt(0)
	s_barrier
	s_and_saveexec_b64 s[0:1], vcc
	s_cbranch_execz .LBB337_23
; %bb.22:
	s_movk_i32 s2, 0x44
	v_mad_u32_u24 v2, v0, s2, v1
	ds_read_b64 v[2:3], v2
	s_waitcnt lgkmcnt(0)
	v_add_f32_e32 v2, v2, v3
.LBB337_23:
	s_or_b64 exec, exec, s[0:1]
	s_branch .LBB337_36
.LBB337_24:
                                        ; implicit-def: $vgpr2
	s_cbranch_execz .LBB337_36
; %bb.25:
	v_cmp_gt_u32_e32 vcc, 36, v0
	s_and_saveexec_b64 s[0:1], vcc
	s_cbranch_execz .LBB337_27
; %bb.26:
	ds_read_b32 v2, v1 offset:1152
	ds_read_b32 v3, v1
	s_waitcnt lgkmcnt(0)
	v_add_f32_e32 v2, v2, v3
	ds_write_b32 v1, v2
.LBB337_27:
	s_or_b64 exec, exec, s[0:1]
	s_movk_i32 s0, 0x90
	v_cmp_gt_u32_e64 s[0:1], s0, v0
	s_waitcnt lgkmcnt(0)
	s_barrier
	s_and_saveexec_b64 s[2:3], s[0:1]
	s_cbranch_execz .LBB337_29
; %bb.28:
	ds_read2_b32 v[2:3], v1 offset1:144
	s_waitcnt lgkmcnt(0)
	v_add_f32_e32 v2, v3, v2
	ds_write_b32 v1, v2
.LBB337_29:
	s_or_b64 exec, exec, s[2:3]
	s_movk_i32 s0, 0x48
	v_cmp_gt_u32_e64 s[0:1], s0, v0
	s_waitcnt lgkmcnt(0)
	s_barrier
	s_and_saveexec_b64 s[2:3], s[0:1]
	s_cbranch_execz .LBB337_31
; %bb.30:
	ds_read2_b32 v[2:3], v1 offset1:72
	s_waitcnt lgkmcnt(0)
	v_add_f32_e32 v2, v3, v2
	ds_write_b32 v1, v2
.LBB337_31:
	s_or_b64 exec, exec, s[2:3]
	s_waitcnt lgkmcnt(0)
	s_barrier
	s_and_saveexec_b64 s[0:1], vcc
	s_cbranch_execz .LBB337_33
; %bb.32:
	ds_read2_b32 v[2:3], v1 offset1:36
	s_waitcnt lgkmcnt(0)
	v_add_f32_e32 v2, v3, v2
	ds_write_b32 v1, v2
.LBB337_33:
	s_or_b64 exec, exec, s[0:1]
	v_cmp_gt_u32_e32 vcc, 18, v0
	s_waitcnt lgkmcnt(0)
	s_and_saveexec_b64 s[0:1], vcc
	s_cbranch_execz .LBB337_35
; %bb.34:
	ds_read2_b32 v[1:2], v1 offset1:18
	s_waitcnt lgkmcnt(0)
	v_add_f32_e32 v6, v1, v2
.LBB337_35:
	s_or_b64 exec, exec, s[0:1]
	v_mov_b32_e32 v2, v6
.LBB337_36:
	v_cmp_gt_u32_e32 vcc, 18, v0
	s_and_saveexec_b64 s[0:1], vcc
	s_cbranch_execz .LBB337_40
; %bb.37:
	v_cmp_eq_f32_e64 s[0:1], s8, 0
	s_and_b64 vcc, exec, s[0:1]
	v_mul_f32_e32 v1, s10, v2
	s_cbranch_vccz .LBB337_41
; %bb.38:
	v_mad_u64_u32 v[2:3], s[0:1], s6, 18, v[0:1]
	v_mov_b32_e32 v3, 0
	v_mov_b32_e32 v4, s13
	v_lshlrev_b64 v[2:3], 2, v[2:3]
	v_add_co_u32_e32 v2, vcc, s12, v2
	v_addc_co_u32_e32 v3, vcc, v4, v3, vcc
	global_store_dword v[2:3], v1, off
	s_cbranch_execnz .LBB337_40
.LBB337_39:
	v_mad_u64_u32 v[2:3], s[0:1], s6, 18, v[0:1]
	v_mov_b32_e32 v3, 0
	v_mov_b32_e32 v0, s13
	v_lshlrev_b64 v[2:3], 2, v[2:3]
	v_add_co_u32_e32 v2, vcc, s12, v2
	v_addc_co_u32_e32 v3, vcc, v0, v3, vcc
	global_load_dword v0, v[2:3], off
	s_waitcnt vmcnt(0)
	v_fmac_f32_e32 v1, s8, v0
	global_store_dword v[2:3], v1, off
.LBB337_40:
	s_endpgm
.LBB337_41:
	s_branch .LBB337_39
	.section	.rodata,"a",@progbits
	.p2align	6, 0x0
	.amdhsa_kernel _ZN9rocsparseL20bsrxmvn_17_32_kernelILj18Efii18rocsparse_bfloat16S1_fEEvT2_20rocsparse_direction_NS_24const_host_device_scalarIT0_EES2_PKS2_PKT1_SB_S8_PKT3_PKT4_S6_PT5_21rocsparse_index_base_b
		.amdhsa_group_segment_fixed_size 1296
		.amdhsa_private_segment_fixed_size 0
		.amdhsa_kernarg_size 96
		.amdhsa_user_sgpr_count 6
		.amdhsa_user_sgpr_private_segment_buffer 1
		.amdhsa_user_sgpr_dispatch_ptr 0
		.amdhsa_user_sgpr_queue_ptr 0
		.amdhsa_user_sgpr_kernarg_segment_ptr 1
		.amdhsa_user_sgpr_dispatch_id 0
		.amdhsa_user_sgpr_flat_scratch_init 0
		.amdhsa_user_sgpr_private_segment_size 0
		.amdhsa_uses_dynamic_stack 0
		.amdhsa_system_sgpr_private_segment_wavefront_offset 0
		.amdhsa_system_sgpr_workgroup_id_x 1
		.amdhsa_system_sgpr_workgroup_id_y 0
		.amdhsa_system_sgpr_workgroup_id_z 0
		.amdhsa_system_sgpr_workgroup_info 0
		.amdhsa_system_vgpr_workitem_id 0
		.amdhsa_next_free_vgpr 11
		.amdhsa_next_free_sgpr 22
		.amdhsa_reserve_vcc 1
		.amdhsa_reserve_flat_scratch 0
		.amdhsa_float_round_mode_32 0
		.amdhsa_float_round_mode_16_64 0
		.amdhsa_float_denorm_mode_32 3
		.amdhsa_float_denorm_mode_16_64 3
		.amdhsa_dx10_clamp 1
		.amdhsa_ieee_mode 1
		.amdhsa_fp16_overflow 0
		.amdhsa_exception_fp_ieee_invalid_op 0
		.amdhsa_exception_fp_denorm_src 0
		.amdhsa_exception_fp_ieee_div_zero 0
		.amdhsa_exception_fp_ieee_overflow 0
		.amdhsa_exception_fp_ieee_underflow 0
		.amdhsa_exception_fp_ieee_inexact 0
		.amdhsa_exception_int_div_zero 0
	.end_amdhsa_kernel
	.section	.text._ZN9rocsparseL20bsrxmvn_17_32_kernelILj18Efii18rocsparse_bfloat16S1_fEEvT2_20rocsparse_direction_NS_24const_host_device_scalarIT0_EES2_PKS2_PKT1_SB_S8_PKT3_PKT4_S6_PT5_21rocsparse_index_base_b,"axG",@progbits,_ZN9rocsparseL20bsrxmvn_17_32_kernelILj18Efii18rocsparse_bfloat16S1_fEEvT2_20rocsparse_direction_NS_24const_host_device_scalarIT0_EES2_PKS2_PKT1_SB_S8_PKT3_PKT4_S6_PT5_21rocsparse_index_base_b,comdat
.Lfunc_end337:
	.size	_ZN9rocsparseL20bsrxmvn_17_32_kernelILj18Efii18rocsparse_bfloat16S1_fEEvT2_20rocsparse_direction_NS_24const_host_device_scalarIT0_EES2_PKS2_PKT1_SB_S8_PKT3_PKT4_S6_PT5_21rocsparse_index_base_b, .Lfunc_end337-_ZN9rocsparseL20bsrxmvn_17_32_kernelILj18Efii18rocsparse_bfloat16S1_fEEvT2_20rocsparse_direction_NS_24const_host_device_scalarIT0_EES2_PKS2_PKT1_SB_S8_PKT3_PKT4_S6_PT5_21rocsparse_index_base_b
                                        ; -- End function
	.set _ZN9rocsparseL20bsrxmvn_17_32_kernelILj18Efii18rocsparse_bfloat16S1_fEEvT2_20rocsparse_direction_NS_24const_host_device_scalarIT0_EES2_PKS2_PKT1_SB_S8_PKT3_PKT4_S6_PT5_21rocsparse_index_base_b.num_vgpr, 11
	.set _ZN9rocsparseL20bsrxmvn_17_32_kernelILj18Efii18rocsparse_bfloat16S1_fEEvT2_20rocsparse_direction_NS_24const_host_device_scalarIT0_EES2_PKS2_PKT1_SB_S8_PKT3_PKT4_S6_PT5_21rocsparse_index_base_b.num_agpr, 0
	.set _ZN9rocsparseL20bsrxmvn_17_32_kernelILj18Efii18rocsparse_bfloat16S1_fEEvT2_20rocsparse_direction_NS_24const_host_device_scalarIT0_EES2_PKS2_PKT1_SB_S8_PKT3_PKT4_S6_PT5_21rocsparse_index_base_b.numbered_sgpr, 22
	.set _ZN9rocsparseL20bsrxmvn_17_32_kernelILj18Efii18rocsparse_bfloat16S1_fEEvT2_20rocsparse_direction_NS_24const_host_device_scalarIT0_EES2_PKS2_PKT1_SB_S8_PKT3_PKT4_S6_PT5_21rocsparse_index_base_b.num_named_barrier, 0
	.set _ZN9rocsparseL20bsrxmvn_17_32_kernelILj18Efii18rocsparse_bfloat16S1_fEEvT2_20rocsparse_direction_NS_24const_host_device_scalarIT0_EES2_PKS2_PKT1_SB_S8_PKT3_PKT4_S6_PT5_21rocsparse_index_base_b.private_seg_size, 0
	.set _ZN9rocsparseL20bsrxmvn_17_32_kernelILj18Efii18rocsparse_bfloat16S1_fEEvT2_20rocsparse_direction_NS_24const_host_device_scalarIT0_EES2_PKS2_PKT1_SB_S8_PKT3_PKT4_S6_PT5_21rocsparse_index_base_b.uses_vcc, 1
	.set _ZN9rocsparseL20bsrxmvn_17_32_kernelILj18Efii18rocsparse_bfloat16S1_fEEvT2_20rocsparse_direction_NS_24const_host_device_scalarIT0_EES2_PKS2_PKT1_SB_S8_PKT3_PKT4_S6_PT5_21rocsparse_index_base_b.uses_flat_scratch, 0
	.set _ZN9rocsparseL20bsrxmvn_17_32_kernelILj18Efii18rocsparse_bfloat16S1_fEEvT2_20rocsparse_direction_NS_24const_host_device_scalarIT0_EES2_PKS2_PKT1_SB_S8_PKT3_PKT4_S6_PT5_21rocsparse_index_base_b.has_dyn_sized_stack, 0
	.set _ZN9rocsparseL20bsrxmvn_17_32_kernelILj18Efii18rocsparse_bfloat16S1_fEEvT2_20rocsparse_direction_NS_24const_host_device_scalarIT0_EES2_PKS2_PKT1_SB_S8_PKT3_PKT4_S6_PT5_21rocsparse_index_base_b.has_recursion, 0
	.set _ZN9rocsparseL20bsrxmvn_17_32_kernelILj18Efii18rocsparse_bfloat16S1_fEEvT2_20rocsparse_direction_NS_24const_host_device_scalarIT0_EES2_PKS2_PKT1_SB_S8_PKT3_PKT4_S6_PT5_21rocsparse_index_base_b.has_indirect_call, 0
	.section	.AMDGPU.csdata,"",@progbits
; Kernel info:
; codeLenInByte = 1252
; TotalNumSgprs: 26
; NumVgprs: 11
; ScratchSize: 0
; MemoryBound: 0
; FloatMode: 240
; IeeeMode: 1
; LDSByteSize: 1296 bytes/workgroup (compile time only)
; SGPRBlocks: 3
; VGPRBlocks: 2
; NumSGPRsForWavesPerEU: 26
; NumVGPRsForWavesPerEU: 11
; Occupancy: 10
; WaveLimiterHint : 1
; COMPUTE_PGM_RSRC2:SCRATCH_EN: 0
; COMPUTE_PGM_RSRC2:USER_SGPR: 6
; COMPUTE_PGM_RSRC2:TRAP_HANDLER: 0
; COMPUTE_PGM_RSRC2:TGID_X_EN: 1
; COMPUTE_PGM_RSRC2:TGID_Y_EN: 0
; COMPUTE_PGM_RSRC2:TGID_Z_EN: 0
; COMPUTE_PGM_RSRC2:TIDIG_COMP_CNT: 0
	.section	.text._ZN9rocsparseL20bsrxmvn_17_32_kernelILj19Efii18rocsparse_bfloat16S1_fEEvT2_20rocsparse_direction_NS_24const_host_device_scalarIT0_EES2_PKS2_PKT1_SB_S8_PKT3_PKT4_S6_PT5_21rocsparse_index_base_b,"axG",@progbits,_ZN9rocsparseL20bsrxmvn_17_32_kernelILj19Efii18rocsparse_bfloat16S1_fEEvT2_20rocsparse_direction_NS_24const_host_device_scalarIT0_EES2_PKS2_PKT1_SB_S8_PKT3_PKT4_S6_PT5_21rocsparse_index_base_b,comdat
	.globl	_ZN9rocsparseL20bsrxmvn_17_32_kernelILj19Efii18rocsparse_bfloat16S1_fEEvT2_20rocsparse_direction_NS_24const_host_device_scalarIT0_EES2_PKS2_PKT1_SB_S8_PKT3_PKT4_S6_PT5_21rocsparse_index_base_b ; -- Begin function _ZN9rocsparseL20bsrxmvn_17_32_kernelILj19Efii18rocsparse_bfloat16S1_fEEvT2_20rocsparse_direction_NS_24const_host_device_scalarIT0_EES2_PKS2_PKT1_SB_S8_PKT3_PKT4_S6_PT5_21rocsparse_index_base_b
	.p2align	8
	.type	_ZN9rocsparseL20bsrxmvn_17_32_kernelILj19Efii18rocsparse_bfloat16S1_fEEvT2_20rocsparse_direction_NS_24const_host_device_scalarIT0_EES2_PKS2_PKT1_SB_S8_PKT3_PKT4_S6_PT5_21rocsparse_index_base_b,@function
_ZN9rocsparseL20bsrxmvn_17_32_kernelILj19Efii18rocsparse_bfloat16S1_fEEvT2_20rocsparse_direction_NS_24const_host_device_scalarIT0_EES2_PKS2_PKT1_SB_S8_PKT3_PKT4_S6_PT5_21rocsparse_index_base_b: ; @_ZN9rocsparseL20bsrxmvn_17_32_kernelILj19Efii18rocsparse_bfloat16S1_fEEvT2_20rocsparse_direction_NS_24const_host_device_scalarIT0_EES2_PKS2_PKT1_SB_S8_PKT3_PKT4_S6_PT5_21rocsparse_index_base_b
; %bb.0:
	s_load_dwordx2 s[14:15], s[4:5], 0x58
	s_load_dwordx2 s[10:11], s[4:5], 0x8
	;; [unrolled: 1-line block ×3, first 2 shown]
	s_waitcnt lgkmcnt(0)
	s_bitcmp1_b32 s15, 0
	s_cselect_b64 s[2:3], -1, 0
	s_xor_b64 s[0:1], s[2:3], -1
	s_and_b64 vcc, exec, s[2:3]
	s_cbranch_vccnz .LBB338_2
; %bb.1:
	s_load_dword s10, s[10:11], 0x0
.LBB338_2:
	s_andn2_b64 vcc, exec, s[0:1]
	s_cbranch_vccnz .LBB338_4
; %bb.3:
	s_load_dword s8, s[8:9], 0x0
.LBB338_4:
	s_waitcnt lgkmcnt(0)
	v_cmp_neq_f32_e64 s[0:1], s10, 0
	v_cmp_neq_f32_e64 s[2:3], s8, 1.0
	s_or_b64 s[0:1], s[0:1], s[2:3]
	s_andn2_b64 vcc, exec, s[0:1]
	s_cbranch_vccnz .LBB338_40
; %bb.5:
	s_load_dwordx4 s[0:3], s[4:5], 0x18
	s_load_dwordx2 s[18:19], s[4:5], 0x28
	s_waitcnt lgkmcnt(0)
	s_cmp_eq_u64 s[0:1], 0
	s_cbranch_scc1 .LBB338_7
; %bb.6:
	s_ashr_i32 s7, s6, 31
	s_lshl_b64 s[6:7], s[6:7], 2
	s_add_u32 s0, s0, s6
	s_addc_u32 s1, s1, s7
	s_load_dword s0, s[0:1], 0x0
	s_waitcnt lgkmcnt(0)
	s_sub_i32 s6, s0, s14
.LBB338_7:
	s_load_dword s0, s[4:5], 0x4
	s_load_dwordx2 s[12:13], s[4:5], 0x50
	v_mul_u32_u24_e32 v1, 0xd7a, v0
	v_mov_b32_e32 v2, 19
	v_mul_lo_u16_sdwa v3, v1, v2 dst_sel:DWORD dst_unused:UNUSED_PAD src0_sel:WORD_1 src1_sel:DWORD
	s_waitcnt lgkmcnt(0)
	s_cmp_eq_u32 s0, 1
	s_cselect_b64 vcc, -1, 0
	s_cmp_lg_u32 s0, 1
	s_cselect_b64 s[16:17], -1, 0
	s_ashr_i32 s7, s6, 31
	s_lshl_b64 s[0:1], s[6:7], 2
	s_add_u32 s2, s2, s0
	s_addc_u32 s3, s3, s1
	s_load_dword s7, s[2:3], 0x0
	s_add_u32 s2, s2, 4
	s_addc_u32 s3, s3, 0
	s_add_u32 s0, s18, s0
	s_addc_u32 s1, s19, s1
	s_cmp_eq_u64 s[18:19], 0
	s_cselect_b32 s1, s3, s1
	s_cselect_b32 s0, s2, s0
	s_load_dword s9, s[0:1], 0x0
	v_sub_u16_e32 v7, v0, v3
	v_mov_b32_e32 v6, 0
	s_waitcnt lgkmcnt(0)
	s_cmp_ge_i32 s7, s9
	s_cbranch_scc1 .LBB338_12
; %bb.8:
	s_load_dwordx4 s[0:3], s[4:5], 0x30
	s_load_dwordx2 s[18:19], s[4:5], 0x40
	v_mov_b32_e32 v3, 14
	v_mul_lo_u16_sdwa v3, v1, v3 dst_sel:DWORD dst_unused:UNUSED_PAD src0_sel:WORD_1 src1_sel:DWORD
	s_sub_i32 s5, s7, s14
	s_sub_i32 s4, s9, s14
	v_mul_lo_u16_sdwa v2, v3, v2 dst_sel:DWORD dst_unused:UNUSED_PAD src0_sel:BYTE_1 src1_sel:DWORD
	s_mul_i32 s9, s5, 0x2d2
	v_sub_u16_sdwa v1, v1, v2 dst_sel:DWORD dst_unused:UNUSED_PAD src0_sel:WORD_1 src1_sel:DWORD
	s_mul_hi_i32 s7, s5, 0x2d2
	s_waitcnt lgkmcnt(0)
	s_add_u32 s2, s2, s9
	v_and_b32_e32 v1, 0xff, v1
	s_addc_u32 s3, s3, s7
	v_lshlrev_b32_e32 v2, 1, v0
	v_cndmask_b32_e32 v1, v7, v1, vcc
	v_mov_b32_e32 v3, s3
	v_add_co_u32_e32 v2, vcc, s2, v2
	s_movk_i32 s2, 0xb6
	v_mov_b32_e32 v6, 0
	v_addc_co_u32_e32 v3, vcc, 0, v3, vcc
	v_mul_u32_u24_sdwa v8, v0, s2 dst_sel:DWORD dst_unused:UNUSED_PAD src0_sel:WORD_0 src1_sel:DWORD
	s_branch .LBB338_10
.LBB338_9:                              ;   in Loop: Header=BB338_10 Depth=1
	s_or_b64 exec, exec, s[2:3]
	s_add_i32 s5, s5, 1
	s_cmp_lt_i32 s5, s4
	s_cbranch_scc0 .LBB338_12
.LBB338_10:                             ; =>This Inner Loop Header: Depth=1
	v_add_u32_sdwa v4, v8, s5 dst_sel:DWORD dst_unused:UNUSED_PAD src0_sel:WORD_1 src1_sel:DWORD
	v_cmp_gt_i32_e32 vcc, s4, v4
	s_and_saveexec_b64 s[2:3], vcc
	s_cbranch_execz .LBB338_9
; %bb.11:                               ;   in Loop: Header=BB338_10 Depth=1
	v_ashrrev_i32_e32 v5, 31, v4
	v_lshlrev_b64 v[4:5], 2, v[4:5]
	v_mov_b32_e32 v9, s1
	v_add_co_u32_e32 v4, vcc, s0, v4
	v_addc_co_u32_e32 v5, vcc, v9, v5, vcc
	global_load_dword v4, v[4:5], off
	v_mov_b32_e32 v10, s19
	global_load_ushort v9, v[2:3], off
	s_waitcnt vmcnt(1)
	v_subrev_u32_e32 v4, s14, v4
	v_mad_u64_u32 v[4:5], s[20:21], v4, 19, v[1:2]
	v_ashrrev_i32_e32 v5, 31, v4
	v_lshlrev_b64 v[4:5], 1, v[4:5]
	v_add_co_u32_e32 v4, vcc, s18, v4
	v_addc_co_u32_e32 v5, vcc, v10, v5, vcc
	global_load_ushort v4, v[4:5], off
	v_add_co_u32_e32 v2, vcc, 0x2d2, v2
	s_waitcnt vmcnt(1)
	v_lshlrev_b32_e32 v5, 16, v9
	v_addc_co_u32_e32 v3, vcc, 0, v3, vcc
	s_waitcnt vmcnt(0)
	v_lshlrev_b32_e32 v4, 16, v4
	v_fmac_f32_e32 v6, v5, v4
	s_branch .LBB338_9
.LBB338_12:
	v_lshlrev_b32_e32 v1, 2, v0
	s_and_b64 vcc, exec, s[16:17]
	ds_write_b32 v1, v6
	s_waitcnt lgkmcnt(0)
	s_barrier
	s_cbranch_vccz .LBB338_24
; %bb.13:
	v_cmp_gt_u16_e32 vcc, 3, v7
	s_and_saveexec_b64 s[0:1], vcc
	s_cbranch_execz .LBB338_15
; %bb.14:
	ds_read2_b32 v[2:3], v1 offset1:16
	s_waitcnt lgkmcnt(0)
	v_add_f32_e32 v2, v3, v2
	ds_write_b32 v1, v2
.LBB338_15:
	s_or_b64 exec, exec, s[0:1]
	v_cmp_gt_u16_e32 vcc, 8, v7
	s_waitcnt lgkmcnt(0)
	s_barrier
	s_and_saveexec_b64 s[0:1], vcc
	s_cbranch_execz .LBB338_17
; %bb.16:
	ds_read2_b32 v[2:3], v1 offset1:8
	s_waitcnt lgkmcnt(0)
	v_add_f32_e32 v2, v3, v2
	ds_write_b32 v1, v2
.LBB338_17:
	s_or_b64 exec, exec, s[0:1]
	v_cmp_gt_u16_e32 vcc, 4, v7
	s_waitcnt lgkmcnt(0)
	s_barrier
	;; [unrolled: 12-line block ×3, first 2 shown]
	s_and_saveexec_b64 s[0:1], vcc
	s_cbranch_execz .LBB338_21
; %bb.20:
	ds_read2_b32 v[2:3], v1 offset1:2
	s_waitcnt lgkmcnt(0)
	v_add_f32_e32 v2, v3, v2
	ds_write_b32 v1, v2
.LBB338_21:
	s_or_b64 exec, exec, s[0:1]
	v_cmp_gt_u32_e32 vcc, 19, v0
	v_mov_b32_e32 v2, v6
	s_waitcnt lgkmcnt(0)
	s_barrier
	s_and_saveexec_b64 s[0:1], vcc
	s_cbranch_execz .LBB338_23
; %bb.22:
	s_movk_i32 s2, 0x48
	v_mad_u32_u24 v2, v0, s2, v1
	ds_read2_b32 v[2:3], v2 offset1:1
	s_waitcnt lgkmcnt(0)
	v_add_f32_e32 v2, v2, v3
.LBB338_23:
	s_or_b64 exec, exec, s[0:1]
	s_branch .LBB338_36
.LBB338_24:
                                        ; implicit-def: $vgpr2
	s_cbranch_execz .LBB338_36
; %bb.25:
	v_cmp_gt_u32_e32 vcc, 57, v0
	s_and_saveexec_b64 s[0:1], vcc
	s_cbranch_execz .LBB338_27
; %bb.26:
	ds_read_b32 v2, v1 offset:1216
	ds_read_b32 v3, v1
	s_waitcnt lgkmcnt(0)
	v_add_f32_e32 v2, v2, v3
	ds_write_b32 v1, v2
.LBB338_27:
	s_or_b64 exec, exec, s[0:1]
	s_movk_i32 s0, 0x98
	v_cmp_gt_u32_e32 vcc, s0, v0
	s_waitcnt lgkmcnt(0)
	s_barrier
	s_and_saveexec_b64 s[0:1], vcc
	s_cbranch_execz .LBB338_29
; %bb.28:
	ds_read2_b32 v[2:3], v1 offset1:152
	s_waitcnt lgkmcnt(0)
	v_add_f32_e32 v2, v3, v2
	ds_write_b32 v1, v2
.LBB338_29:
	s_or_b64 exec, exec, s[0:1]
	s_movk_i32 s0, 0x4c
	v_cmp_gt_u32_e32 vcc, s0, v0
	s_waitcnt lgkmcnt(0)
	s_barrier
	s_and_saveexec_b64 s[0:1], vcc
	s_cbranch_execz .LBB338_31
; %bb.30:
	ds_read2_b32 v[2:3], v1 offset1:76
	s_waitcnt lgkmcnt(0)
	v_add_f32_e32 v2, v3, v2
	ds_write_b32 v1, v2
.LBB338_31:
	s_or_b64 exec, exec, s[0:1]
	v_cmp_gt_u32_e32 vcc, 38, v0
	s_waitcnt lgkmcnt(0)
	s_barrier
	s_and_saveexec_b64 s[0:1], vcc
	s_cbranch_execz .LBB338_33
; %bb.32:
	ds_read2_b32 v[2:3], v1 offset1:38
	s_waitcnt lgkmcnt(0)
	v_add_f32_e32 v2, v3, v2
	ds_write_b32 v1, v2
.LBB338_33:
	s_or_b64 exec, exec, s[0:1]
	v_cmp_gt_u32_e32 vcc, 19, v0
	s_waitcnt lgkmcnt(0)
	s_and_saveexec_b64 s[0:1], vcc
	s_cbranch_execz .LBB338_35
; %bb.34:
	ds_read2_b32 v[1:2], v1 offset1:19
	s_waitcnt lgkmcnt(0)
	v_add_f32_e32 v6, v1, v2
.LBB338_35:
	s_or_b64 exec, exec, s[0:1]
	v_mov_b32_e32 v2, v6
.LBB338_36:
	v_cmp_gt_u32_e32 vcc, 19, v0
	s_and_saveexec_b64 s[0:1], vcc
	s_cbranch_execz .LBB338_40
; %bb.37:
	v_cmp_eq_f32_e64 s[0:1], s8, 0
	s_and_b64 vcc, exec, s[0:1]
	v_mul_f32_e32 v1, s10, v2
	s_cbranch_vccz .LBB338_41
; %bb.38:
	v_mad_u64_u32 v[2:3], s[0:1], s6, 19, v[0:1]
	v_mov_b32_e32 v3, 0
	v_mov_b32_e32 v4, s13
	v_lshlrev_b64 v[2:3], 2, v[2:3]
	v_add_co_u32_e32 v2, vcc, s12, v2
	v_addc_co_u32_e32 v3, vcc, v4, v3, vcc
	global_store_dword v[2:3], v1, off
	s_cbranch_execnz .LBB338_40
.LBB338_39:
	v_mad_u64_u32 v[2:3], s[0:1], s6, 19, v[0:1]
	v_mov_b32_e32 v3, 0
	v_mov_b32_e32 v0, s13
	v_lshlrev_b64 v[2:3], 2, v[2:3]
	v_add_co_u32_e32 v2, vcc, s12, v2
	v_addc_co_u32_e32 v3, vcc, v0, v3, vcc
	global_load_dword v0, v[2:3], off
	s_waitcnt vmcnt(0)
	v_fmac_f32_e32 v1, s8, v0
	global_store_dword v[2:3], v1, off
.LBB338_40:
	s_endpgm
.LBB338_41:
	s_branch .LBB338_39
	.section	.rodata,"a",@progbits
	.p2align	6, 0x0
	.amdhsa_kernel _ZN9rocsparseL20bsrxmvn_17_32_kernelILj19Efii18rocsparse_bfloat16S1_fEEvT2_20rocsparse_direction_NS_24const_host_device_scalarIT0_EES2_PKS2_PKT1_SB_S8_PKT3_PKT4_S6_PT5_21rocsparse_index_base_b
		.amdhsa_group_segment_fixed_size 1444
		.amdhsa_private_segment_fixed_size 0
		.amdhsa_kernarg_size 96
		.amdhsa_user_sgpr_count 6
		.amdhsa_user_sgpr_private_segment_buffer 1
		.amdhsa_user_sgpr_dispatch_ptr 0
		.amdhsa_user_sgpr_queue_ptr 0
		.amdhsa_user_sgpr_kernarg_segment_ptr 1
		.amdhsa_user_sgpr_dispatch_id 0
		.amdhsa_user_sgpr_flat_scratch_init 0
		.amdhsa_user_sgpr_private_segment_size 0
		.amdhsa_uses_dynamic_stack 0
		.amdhsa_system_sgpr_private_segment_wavefront_offset 0
		.amdhsa_system_sgpr_workgroup_id_x 1
		.amdhsa_system_sgpr_workgroup_id_y 0
		.amdhsa_system_sgpr_workgroup_id_z 0
		.amdhsa_system_sgpr_workgroup_info 0
		.amdhsa_system_vgpr_workitem_id 0
		.amdhsa_next_free_vgpr 11
		.amdhsa_next_free_sgpr 22
		.amdhsa_reserve_vcc 1
		.amdhsa_reserve_flat_scratch 0
		.amdhsa_float_round_mode_32 0
		.amdhsa_float_round_mode_16_64 0
		.amdhsa_float_denorm_mode_32 3
		.amdhsa_float_denorm_mode_16_64 3
		.amdhsa_dx10_clamp 1
		.amdhsa_ieee_mode 1
		.amdhsa_fp16_overflow 0
		.amdhsa_exception_fp_ieee_invalid_op 0
		.amdhsa_exception_fp_denorm_src 0
		.amdhsa_exception_fp_ieee_div_zero 0
		.amdhsa_exception_fp_ieee_overflow 0
		.amdhsa_exception_fp_ieee_underflow 0
		.amdhsa_exception_fp_ieee_inexact 0
		.amdhsa_exception_int_div_zero 0
	.end_amdhsa_kernel
	.section	.text._ZN9rocsparseL20bsrxmvn_17_32_kernelILj19Efii18rocsparse_bfloat16S1_fEEvT2_20rocsparse_direction_NS_24const_host_device_scalarIT0_EES2_PKS2_PKT1_SB_S8_PKT3_PKT4_S6_PT5_21rocsparse_index_base_b,"axG",@progbits,_ZN9rocsparseL20bsrxmvn_17_32_kernelILj19Efii18rocsparse_bfloat16S1_fEEvT2_20rocsparse_direction_NS_24const_host_device_scalarIT0_EES2_PKS2_PKT1_SB_S8_PKT3_PKT4_S6_PT5_21rocsparse_index_base_b,comdat
.Lfunc_end338:
	.size	_ZN9rocsparseL20bsrxmvn_17_32_kernelILj19Efii18rocsparse_bfloat16S1_fEEvT2_20rocsparse_direction_NS_24const_host_device_scalarIT0_EES2_PKS2_PKT1_SB_S8_PKT3_PKT4_S6_PT5_21rocsparse_index_base_b, .Lfunc_end338-_ZN9rocsparseL20bsrxmvn_17_32_kernelILj19Efii18rocsparse_bfloat16S1_fEEvT2_20rocsparse_direction_NS_24const_host_device_scalarIT0_EES2_PKS2_PKT1_SB_S8_PKT3_PKT4_S6_PT5_21rocsparse_index_base_b
                                        ; -- End function
	.set _ZN9rocsparseL20bsrxmvn_17_32_kernelILj19Efii18rocsparse_bfloat16S1_fEEvT2_20rocsparse_direction_NS_24const_host_device_scalarIT0_EES2_PKS2_PKT1_SB_S8_PKT3_PKT4_S6_PT5_21rocsparse_index_base_b.num_vgpr, 11
	.set _ZN9rocsparseL20bsrxmvn_17_32_kernelILj19Efii18rocsparse_bfloat16S1_fEEvT2_20rocsparse_direction_NS_24const_host_device_scalarIT0_EES2_PKS2_PKT1_SB_S8_PKT3_PKT4_S6_PT5_21rocsparse_index_base_b.num_agpr, 0
	.set _ZN9rocsparseL20bsrxmvn_17_32_kernelILj19Efii18rocsparse_bfloat16S1_fEEvT2_20rocsparse_direction_NS_24const_host_device_scalarIT0_EES2_PKS2_PKT1_SB_S8_PKT3_PKT4_S6_PT5_21rocsparse_index_base_b.numbered_sgpr, 22
	.set _ZN9rocsparseL20bsrxmvn_17_32_kernelILj19Efii18rocsparse_bfloat16S1_fEEvT2_20rocsparse_direction_NS_24const_host_device_scalarIT0_EES2_PKS2_PKT1_SB_S8_PKT3_PKT4_S6_PT5_21rocsparse_index_base_b.num_named_barrier, 0
	.set _ZN9rocsparseL20bsrxmvn_17_32_kernelILj19Efii18rocsparse_bfloat16S1_fEEvT2_20rocsparse_direction_NS_24const_host_device_scalarIT0_EES2_PKS2_PKT1_SB_S8_PKT3_PKT4_S6_PT5_21rocsparse_index_base_b.private_seg_size, 0
	.set _ZN9rocsparseL20bsrxmvn_17_32_kernelILj19Efii18rocsparse_bfloat16S1_fEEvT2_20rocsparse_direction_NS_24const_host_device_scalarIT0_EES2_PKS2_PKT1_SB_S8_PKT3_PKT4_S6_PT5_21rocsparse_index_base_b.uses_vcc, 1
	.set _ZN9rocsparseL20bsrxmvn_17_32_kernelILj19Efii18rocsparse_bfloat16S1_fEEvT2_20rocsparse_direction_NS_24const_host_device_scalarIT0_EES2_PKS2_PKT1_SB_S8_PKT3_PKT4_S6_PT5_21rocsparse_index_base_b.uses_flat_scratch, 0
	.set _ZN9rocsparseL20bsrxmvn_17_32_kernelILj19Efii18rocsparse_bfloat16S1_fEEvT2_20rocsparse_direction_NS_24const_host_device_scalarIT0_EES2_PKS2_PKT1_SB_S8_PKT3_PKT4_S6_PT5_21rocsparse_index_base_b.has_dyn_sized_stack, 0
	.set _ZN9rocsparseL20bsrxmvn_17_32_kernelILj19Efii18rocsparse_bfloat16S1_fEEvT2_20rocsparse_direction_NS_24const_host_device_scalarIT0_EES2_PKS2_PKT1_SB_S8_PKT3_PKT4_S6_PT5_21rocsparse_index_base_b.has_recursion, 0
	.set _ZN9rocsparseL20bsrxmvn_17_32_kernelILj19Efii18rocsparse_bfloat16S1_fEEvT2_20rocsparse_direction_NS_24const_host_device_scalarIT0_EES2_PKS2_PKT1_SB_S8_PKT3_PKT4_S6_PT5_21rocsparse_index_base_b.has_indirect_call, 0
	.section	.AMDGPU.csdata,"",@progbits
; Kernel info:
; codeLenInByte = 1244
; TotalNumSgprs: 26
; NumVgprs: 11
; ScratchSize: 0
; MemoryBound: 0
; FloatMode: 240
; IeeeMode: 1
; LDSByteSize: 1444 bytes/workgroup (compile time only)
; SGPRBlocks: 3
; VGPRBlocks: 2
; NumSGPRsForWavesPerEU: 26
; NumVGPRsForWavesPerEU: 11
; Occupancy: 10
; WaveLimiterHint : 1
; COMPUTE_PGM_RSRC2:SCRATCH_EN: 0
; COMPUTE_PGM_RSRC2:USER_SGPR: 6
; COMPUTE_PGM_RSRC2:TRAP_HANDLER: 0
; COMPUTE_PGM_RSRC2:TGID_X_EN: 1
; COMPUTE_PGM_RSRC2:TGID_Y_EN: 0
; COMPUTE_PGM_RSRC2:TGID_Z_EN: 0
; COMPUTE_PGM_RSRC2:TIDIG_COMP_CNT: 0
	.section	.text._ZN9rocsparseL20bsrxmvn_17_32_kernelILj20Efii18rocsparse_bfloat16S1_fEEvT2_20rocsparse_direction_NS_24const_host_device_scalarIT0_EES2_PKS2_PKT1_SB_S8_PKT3_PKT4_S6_PT5_21rocsparse_index_base_b,"axG",@progbits,_ZN9rocsparseL20bsrxmvn_17_32_kernelILj20Efii18rocsparse_bfloat16S1_fEEvT2_20rocsparse_direction_NS_24const_host_device_scalarIT0_EES2_PKS2_PKT1_SB_S8_PKT3_PKT4_S6_PT5_21rocsparse_index_base_b,comdat
	.globl	_ZN9rocsparseL20bsrxmvn_17_32_kernelILj20Efii18rocsparse_bfloat16S1_fEEvT2_20rocsparse_direction_NS_24const_host_device_scalarIT0_EES2_PKS2_PKT1_SB_S8_PKT3_PKT4_S6_PT5_21rocsparse_index_base_b ; -- Begin function _ZN9rocsparseL20bsrxmvn_17_32_kernelILj20Efii18rocsparse_bfloat16S1_fEEvT2_20rocsparse_direction_NS_24const_host_device_scalarIT0_EES2_PKS2_PKT1_SB_S8_PKT3_PKT4_S6_PT5_21rocsparse_index_base_b
	.p2align	8
	.type	_ZN9rocsparseL20bsrxmvn_17_32_kernelILj20Efii18rocsparse_bfloat16S1_fEEvT2_20rocsparse_direction_NS_24const_host_device_scalarIT0_EES2_PKS2_PKT1_SB_S8_PKT3_PKT4_S6_PT5_21rocsparse_index_base_b,@function
_ZN9rocsparseL20bsrxmvn_17_32_kernelILj20Efii18rocsparse_bfloat16S1_fEEvT2_20rocsparse_direction_NS_24const_host_device_scalarIT0_EES2_PKS2_PKT1_SB_S8_PKT3_PKT4_S6_PT5_21rocsparse_index_base_b: ; @_ZN9rocsparseL20bsrxmvn_17_32_kernelILj20Efii18rocsparse_bfloat16S1_fEEvT2_20rocsparse_direction_NS_24const_host_device_scalarIT0_EES2_PKS2_PKT1_SB_S8_PKT3_PKT4_S6_PT5_21rocsparse_index_base_b
; %bb.0:
	s_load_dwordx2 s[14:15], s[4:5], 0x58
	s_load_dwordx2 s[10:11], s[4:5], 0x8
	;; [unrolled: 1-line block ×3, first 2 shown]
	s_waitcnt lgkmcnt(0)
	s_bitcmp1_b32 s15, 0
	s_cselect_b64 s[2:3], -1, 0
	s_xor_b64 s[0:1], s[2:3], -1
	s_and_b64 vcc, exec, s[2:3]
	s_cbranch_vccnz .LBB339_2
; %bb.1:
	s_load_dword s10, s[10:11], 0x0
.LBB339_2:
	s_andn2_b64 vcc, exec, s[0:1]
	s_cbranch_vccnz .LBB339_4
; %bb.3:
	s_load_dword s8, s[8:9], 0x0
.LBB339_4:
	s_waitcnt lgkmcnt(0)
	v_cmp_neq_f32_e64 s[0:1], s10, 0
	v_cmp_neq_f32_e64 s[2:3], s8, 1.0
	s_or_b64 s[0:1], s[0:1], s[2:3]
	s_andn2_b64 vcc, exec, s[0:1]
	s_cbranch_vccnz .LBB339_40
; %bb.5:
	s_load_dwordx4 s[0:3], s[4:5], 0x18
	s_load_dwordx2 s[18:19], s[4:5], 0x28
	s_waitcnt lgkmcnt(0)
	s_cmp_eq_u64 s[0:1], 0
	s_cbranch_scc1 .LBB339_7
; %bb.6:
	s_ashr_i32 s7, s6, 31
	s_lshl_b64 s[6:7], s[6:7], 2
	s_add_u32 s0, s0, s6
	s_addc_u32 s1, s1, s7
	s_load_dword s0, s[0:1], 0x0
	s_waitcnt lgkmcnt(0)
	s_sub_i32 s6, s0, s14
.LBB339_7:
	s_load_dword s0, s[4:5], 0x4
	s_load_dwordx2 s[12:13], s[4:5], 0x50
	v_mul_u32_u24_e32 v1, 0xccd, v0
	v_mov_b32_e32 v2, 20
	v_mul_lo_u16_sdwa v3, v1, v2 dst_sel:DWORD dst_unused:UNUSED_PAD src0_sel:WORD_1 src1_sel:DWORD
	s_waitcnt lgkmcnt(0)
	s_cmp_eq_u32 s0, 1
	s_cselect_b64 vcc, -1, 0
	s_cmp_lg_u32 s0, 1
	s_cselect_b64 s[16:17], -1, 0
	s_ashr_i32 s7, s6, 31
	s_lshl_b64 s[0:1], s[6:7], 2
	s_add_u32 s2, s2, s0
	s_addc_u32 s3, s3, s1
	s_load_dword s7, s[2:3], 0x0
	s_add_u32 s2, s2, 4
	s_addc_u32 s3, s3, 0
	s_add_u32 s0, s18, s0
	s_addc_u32 s1, s19, s1
	s_cmp_eq_u64 s[18:19], 0
	s_cselect_b32 s1, s3, s1
	s_cselect_b32 s0, s2, s0
	s_load_dword s9, s[0:1], 0x0
	v_sub_u16_e32 v7, v0, v3
	v_mov_b32_e32 v6, 0
	s_waitcnt lgkmcnt(0)
	s_cmp_ge_i32 s7, s9
	s_cbranch_scc1 .LBB339_12
; %bb.8:
	s_load_dwordx4 s[0:3], s[4:5], 0x30
	s_load_dwordx2 s[18:19], s[4:5], 0x40
	v_mov_b32_e32 v3, 13
	v_mul_lo_u16_sdwa v3, v1, v3 dst_sel:DWORD dst_unused:UNUSED_PAD src0_sel:WORD_1 src1_sel:DWORD
	s_sub_i32 s5, s7, s14
	s_sub_i32 s4, s9, s14
	v_mul_lo_u16_sdwa v2, v3, v2 dst_sel:DWORD dst_unused:UNUSED_PAD src0_sel:BYTE_1 src1_sel:DWORD
	s_mul_i32 s9, s5, 0x320
	v_sub_u16_sdwa v1, v1, v2 dst_sel:DWORD dst_unused:UNUSED_PAD src0_sel:WORD_1 src1_sel:DWORD
	s_mul_hi_i32 s7, s5, 0x320
	s_waitcnt lgkmcnt(0)
	s_add_u32 s2, s2, s9
	v_and_b32_e32 v1, 0xff, v1
	s_addc_u32 s3, s3, s7
	v_lshlrev_b32_e32 v2, 1, v0
	v_cndmask_b32_e32 v1, v7, v1, vcc
	v_mov_b32_e32 v3, s3
	v_add_co_u32_e32 v2, vcc, s2, v2
	s_movk_i32 s2, 0xa4
	v_mov_b32_e32 v6, 0
	v_addc_co_u32_e32 v3, vcc, 0, v3, vcc
	v_mul_u32_u24_sdwa v8, v0, s2 dst_sel:DWORD dst_unused:UNUSED_PAD src0_sel:WORD_0 src1_sel:DWORD
	s_branch .LBB339_10
.LBB339_9:                              ;   in Loop: Header=BB339_10 Depth=1
	s_or_b64 exec, exec, s[2:3]
	s_add_i32 s5, s5, 1
	s_cmp_lt_i32 s5, s4
	s_cbranch_scc0 .LBB339_12
.LBB339_10:                             ; =>This Inner Loop Header: Depth=1
	v_add_u32_sdwa v4, v8, s5 dst_sel:DWORD dst_unused:UNUSED_PAD src0_sel:WORD_1 src1_sel:DWORD
	v_cmp_gt_i32_e32 vcc, s4, v4
	s_and_saveexec_b64 s[2:3], vcc
	s_cbranch_execz .LBB339_9
; %bb.11:                               ;   in Loop: Header=BB339_10 Depth=1
	v_ashrrev_i32_e32 v5, 31, v4
	v_lshlrev_b64 v[4:5], 2, v[4:5]
	v_mov_b32_e32 v9, s1
	v_add_co_u32_e32 v4, vcc, s0, v4
	v_addc_co_u32_e32 v5, vcc, v9, v5, vcc
	global_load_dword v4, v[4:5], off
	v_mov_b32_e32 v10, s19
	global_load_ushort v9, v[2:3], off
	s_waitcnt vmcnt(1)
	v_subrev_u32_e32 v4, s14, v4
	v_mad_u64_u32 v[4:5], s[20:21], v4, 20, v[1:2]
	v_ashrrev_i32_e32 v5, 31, v4
	v_lshlrev_b64 v[4:5], 1, v[4:5]
	v_add_co_u32_e32 v4, vcc, s18, v4
	v_addc_co_u32_e32 v5, vcc, v10, v5, vcc
	global_load_ushort v4, v[4:5], off
	v_add_co_u32_e32 v2, vcc, 0x320, v2
	s_waitcnt vmcnt(1)
	v_lshlrev_b32_e32 v5, 16, v9
	v_addc_co_u32_e32 v3, vcc, 0, v3, vcc
	s_waitcnt vmcnt(0)
	v_lshlrev_b32_e32 v4, 16, v4
	v_fmac_f32_e32 v6, v5, v4
	s_branch .LBB339_9
.LBB339_12:
	v_lshlrev_b32_e32 v1, 2, v0
	s_and_b64 vcc, exec, s[16:17]
	ds_write_b32 v1, v6
	s_waitcnt lgkmcnt(0)
	s_barrier
	s_cbranch_vccz .LBB339_24
; %bb.13:
	v_cmp_gt_u16_e32 vcc, 4, v7
	s_and_saveexec_b64 s[0:1], vcc
	s_cbranch_execz .LBB339_15
; %bb.14:
	ds_read2_b32 v[2:3], v1 offset1:16
	s_waitcnt lgkmcnt(0)
	v_add_f32_e32 v2, v3, v2
	ds_write_b32 v1, v2
.LBB339_15:
	s_or_b64 exec, exec, s[0:1]
	v_cmp_gt_u16_e64 s[0:1], 8, v7
	s_waitcnt lgkmcnt(0)
	s_barrier
	s_and_saveexec_b64 s[2:3], s[0:1]
	s_cbranch_execz .LBB339_17
; %bb.16:
	ds_read2_b32 v[2:3], v1 offset1:8
	s_waitcnt lgkmcnt(0)
	v_add_f32_e32 v2, v3, v2
	ds_write_b32 v1, v2
.LBB339_17:
	s_or_b64 exec, exec, s[2:3]
	s_waitcnt lgkmcnt(0)
	s_barrier
	s_and_saveexec_b64 s[0:1], vcc
	s_cbranch_execz .LBB339_19
; %bb.18:
	ds_read2_b32 v[2:3], v1 offset1:4
	s_waitcnt lgkmcnt(0)
	v_add_f32_e32 v2, v3, v2
	ds_write_b32 v1, v2
.LBB339_19:
	s_or_b64 exec, exec, s[0:1]
	v_cmp_gt_u16_e32 vcc, 2, v7
	s_waitcnt lgkmcnt(0)
	s_barrier
	s_and_saveexec_b64 s[0:1], vcc
	s_cbranch_execz .LBB339_21
; %bb.20:
	ds_read2_b32 v[2:3], v1 offset1:2
	s_waitcnt lgkmcnt(0)
	v_add_f32_e32 v2, v3, v2
	ds_write_b32 v1, v2
.LBB339_21:
	s_or_b64 exec, exec, s[0:1]
	v_cmp_gt_u32_e32 vcc, 20, v0
	v_mov_b32_e32 v2, v6
	s_waitcnt lgkmcnt(0)
	s_barrier
	s_and_saveexec_b64 s[0:1], vcc
	s_cbranch_execz .LBB339_23
; %bb.22:
	s_movk_i32 s2, 0x4c
	v_mad_u32_u24 v2, v0, s2, v1
	ds_read_b64 v[2:3], v2
	s_waitcnt lgkmcnt(0)
	v_add_f32_e32 v2, v2, v3
.LBB339_23:
	s_or_b64 exec, exec, s[0:1]
	s_branch .LBB339_36
.LBB339_24:
                                        ; implicit-def: $vgpr2
	s_cbranch_execz .LBB339_36
; %bb.25:
	s_movk_i32 s0, 0x50
	v_cmp_gt_u32_e32 vcc, s0, v0
	s_and_saveexec_b64 s[0:1], vcc
	s_cbranch_execz .LBB339_27
; %bb.26:
	ds_read2st64_b32 v[2:3], v1 offset1:5
	s_waitcnt lgkmcnt(0)
	v_add_f32_e32 v2, v3, v2
	ds_write_b32 v1, v2
.LBB339_27:
	s_or_b64 exec, exec, s[0:1]
	s_movk_i32 s0, 0xa0
	v_cmp_gt_u32_e64 s[0:1], s0, v0
	s_waitcnt lgkmcnt(0)
	s_barrier
	s_and_saveexec_b64 s[2:3], s[0:1]
	s_cbranch_execz .LBB339_29
; %bb.28:
	ds_read2_b32 v[2:3], v1 offset1:160
	s_waitcnt lgkmcnt(0)
	v_add_f32_e32 v2, v3, v2
	ds_write_b32 v1, v2
.LBB339_29:
	s_or_b64 exec, exec, s[2:3]
	s_waitcnt lgkmcnt(0)
	s_barrier
	s_and_saveexec_b64 s[0:1], vcc
	s_cbranch_execz .LBB339_31
; %bb.30:
	ds_read2_b32 v[2:3], v1 offset1:80
	s_waitcnt lgkmcnt(0)
	v_add_f32_e32 v2, v3, v2
	ds_write_b32 v1, v2
.LBB339_31:
	s_or_b64 exec, exec, s[0:1]
	v_cmp_gt_u32_e32 vcc, 40, v0
	s_waitcnt lgkmcnt(0)
	s_barrier
	s_and_saveexec_b64 s[0:1], vcc
	s_cbranch_execz .LBB339_33
; %bb.32:
	ds_read2_b32 v[2:3], v1 offset1:40
	s_waitcnt lgkmcnt(0)
	v_add_f32_e32 v2, v3, v2
	ds_write_b32 v1, v2
.LBB339_33:
	s_or_b64 exec, exec, s[0:1]
	v_cmp_gt_u32_e32 vcc, 20, v0
	s_waitcnt lgkmcnt(0)
	s_and_saveexec_b64 s[0:1], vcc
	s_cbranch_execz .LBB339_35
; %bb.34:
	ds_read2_b32 v[1:2], v1 offset1:20
	s_waitcnt lgkmcnt(0)
	v_add_f32_e32 v6, v1, v2
.LBB339_35:
	s_or_b64 exec, exec, s[0:1]
	v_mov_b32_e32 v2, v6
.LBB339_36:
	v_cmp_gt_u32_e32 vcc, 20, v0
	s_and_saveexec_b64 s[0:1], vcc
	s_cbranch_execz .LBB339_40
; %bb.37:
	v_cmp_eq_f32_e64 s[0:1], s8, 0
	s_and_b64 vcc, exec, s[0:1]
	v_mul_f32_e32 v1, s10, v2
	s_cbranch_vccz .LBB339_41
; %bb.38:
	v_mad_u64_u32 v[2:3], s[0:1], s6, 20, v[0:1]
	v_mov_b32_e32 v3, 0
	v_mov_b32_e32 v4, s13
	v_lshlrev_b64 v[2:3], 2, v[2:3]
	v_add_co_u32_e32 v2, vcc, s12, v2
	v_addc_co_u32_e32 v3, vcc, v4, v3, vcc
	global_store_dword v[2:3], v1, off
	s_cbranch_execnz .LBB339_40
.LBB339_39:
	v_mad_u64_u32 v[2:3], s[0:1], s6, 20, v[0:1]
	v_mov_b32_e32 v3, 0
	v_mov_b32_e32 v0, s13
	v_lshlrev_b64 v[2:3], 2, v[2:3]
	v_add_co_u32_e32 v2, vcc, s12, v2
	v_addc_co_u32_e32 v3, vcc, v0, v3, vcc
	global_load_dword v0, v[2:3], off
	s_waitcnt vmcnt(0)
	v_fmac_f32_e32 v1, s8, v0
	global_store_dword v[2:3], v1, off
.LBB339_40:
	s_endpgm
.LBB339_41:
	s_branch .LBB339_39
	.section	.rodata,"a",@progbits
	.p2align	6, 0x0
	.amdhsa_kernel _ZN9rocsparseL20bsrxmvn_17_32_kernelILj20Efii18rocsparse_bfloat16S1_fEEvT2_20rocsparse_direction_NS_24const_host_device_scalarIT0_EES2_PKS2_PKT1_SB_S8_PKT3_PKT4_S6_PT5_21rocsparse_index_base_b
		.amdhsa_group_segment_fixed_size 1600
		.amdhsa_private_segment_fixed_size 0
		.amdhsa_kernarg_size 96
		.amdhsa_user_sgpr_count 6
		.amdhsa_user_sgpr_private_segment_buffer 1
		.amdhsa_user_sgpr_dispatch_ptr 0
		.amdhsa_user_sgpr_queue_ptr 0
		.amdhsa_user_sgpr_kernarg_segment_ptr 1
		.amdhsa_user_sgpr_dispatch_id 0
		.amdhsa_user_sgpr_flat_scratch_init 0
		.amdhsa_user_sgpr_private_segment_size 0
		.amdhsa_uses_dynamic_stack 0
		.amdhsa_system_sgpr_private_segment_wavefront_offset 0
		.amdhsa_system_sgpr_workgroup_id_x 1
		.amdhsa_system_sgpr_workgroup_id_y 0
		.amdhsa_system_sgpr_workgroup_id_z 0
		.amdhsa_system_sgpr_workgroup_info 0
		.amdhsa_system_vgpr_workitem_id 0
		.amdhsa_next_free_vgpr 11
		.amdhsa_next_free_sgpr 22
		.amdhsa_reserve_vcc 1
		.amdhsa_reserve_flat_scratch 0
		.amdhsa_float_round_mode_32 0
		.amdhsa_float_round_mode_16_64 0
		.amdhsa_float_denorm_mode_32 3
		.amdhsa_float_denorm_mode_16_64 3
		.amdhsa_dx10_clamp 1
		.amdhsa_ieee_mode 1
		.amdhsa_fp16_overflow 0
		.amdhsa_exception_fp_ieee_invalid_op 0
		.amdhsa_exception_fp_denorm_src 0
		.amdhsa_exception_fp_ieee_div_zero 0
		.amdhsa_exception_fp_ieee_overflow 0
		.amdhsa_exception_fp_ieee_underflow 0
		.amdhsa_exception_fp_ieee_inexact 0
		.amdhsa_exception_int_div_zero 0
	.end_amdhsa_kernel
	.section	.text._ZN9rocsparseL20bsrxmvn_17_32_kernelILj20Efii18rocsparse_bfloat16S1_fEEvT2_20rocsparse_direction_NS_24const_host_device_scalarIT0_EES2_PKS2_PKT1_SB_S8_PKT3_PKT4_S6_PT5_21rocsparse_index_base_b,"axG",@progbits,_ZN9rocsparseL20bsrxmvn_17_32_kernelILj20Efii18rocsparse_bfloat16S1_fEEvT2_20rocsparse_direction_NS_24const_host_device_scalarIT0_EES2_PKS2_PKT1_SB_S8_PKT3_PKT4_S6_PT5_21rocsparse_index_base_b,comdat
.Lfunc_end339:
	.size	_ZN9rocsparseL20bsrxmvn_17_32_kernelILj20Efii18rocsparse_bfloat16S1_fEEvT2_20rocsparse_direction_NS_24const_host_device_scalarIT0_EES2_PKS2_PKT1_SB_S8_PKT3_PKT4_S6_PT5_21rocsparse_index_base_b, .Lfunc_end339-_ZN9rocsparseL20bsrxmvn_17_32_kernelILj20Efii18rocsparse_bfloat16S1_fEEvT2_20rocsparse_direction_NS_24const_host_device_scalarIT0_EES2_PKS2_PKT1_SB_S8_PKT3_PKT4_S6_PT5_21rocsparse_index_base_b
                                        ; -- End function
	.set _ZN9rocsparseL20bsrxmvn_17_32_kernelILj20Efii18rocsparse_bfloat16S1_fEEvT2_20rocsparse_direction_NS_24const_host_device_scalarIT0_EES2_PKS2_PKT1_SB_S8_PKT3_PKT4_S6_PT5_21rocsparse_index_base_b.num_vgpr, 11
	.set _ZN9rocsparseL20bsrxmvn_17_32_kernelILj20Efii18rocsparse_bfloat16S1_fEEvT2_20rocsparse_direction_NS_24const_host_device_scalarIT0_EES2_PKS2_PKT1_SB_S8_PKT3_PKT4_S6_PT5_21rocsparse_index_base_b.num_agpr, 0
	.set _ZN9rocsparseL20bsrxmvn_17_32_kernelILj20Efii18rocsparse_bfloat16S1_fEEvT2_20rocsparse_direction_NS_24const_host_device_scalarIT0_EES2_PKS2_PKT1_SB_S8_PKT3_PKT4_S6_PT5_21rocsparse_index_base_b.numbered_sgpr, 22
	.set _ZN9rocsparseL20bsrxmvn_17_32_kernelILj20Efii18rocsparse_bfloat16S1_fEEvT2_20rocsparse_direction_NS_24const_host_device_scalarIT0_EES2_PKS2_PKT1_SB_S8_PKT3_PKT4_S6_PT5_21rocsparse_index_base_b.num_named_barrier, 0
	.set _ZN9rocsparseL20bsrxmvn_17_32_kernelILj20Efii18rocsparse_bfloat16S1_fEEvT2_20rocsparse_direction_NS_24const_host_device_scalarIT0_EES2_PKS2_PKT1_SB_S8_PKT3_PKT4_S6_PT5_21rocsparse_index_base_b.private_seg_size, 0
	.set _ZN9rocsparseL20bsrxmvn_17_32_kernelILj20Efii18rocsparse_bfloat16S1_fEEvT2_20rocsparse_direction_NS_24const_host_device_scalarIT0_EES2_PKS2_PKT1_SB_S8_PKT3_PKT4_S6_PT5_21rocsparse_index_base_b.uses_vcc, 1
	.set _ZN9rocsparseL20bsrxmvn_17_32_kernelILj20Efii18rocsparse_bfloat16S1_fEEvT2_20rocsparse_direction_NS_24const_host_device_scalarIT0_EES2_PKS2_PKT1_SB_S8_PKT3_PKT4_S6_PT5_21rocsparse_index_base_b.uses_flat_scratch, 0
	.set _ZN9rocsparseL20bsrxmvn_17_32_kernelILj20Efii18rocsparse_bfloat16S1_fEEvT2_20rocsparse_direction_NS_24const_host_device_scalarIT0_EES2_PKS2_PKT1_SB_S8_PKT3_PKT4_S6_PT5_21rocsparse_index_base_b.has_dyn_sized_stack, 0
	.set _ZN9rocsparseL20bsrxmvn_17_32_kernelILj20Efii18rocsparse_bfloat16S1_fEEvT2_20rocsparse_direction_NS_24const_host_device_scalarIT0_EES2_PKS2_PKT1_SB_S8_PKT3_PKT4_S6_PT5_21rocsparse_index_base_b.has_recursion, 0
	.set _ZN9rocsparseL20bsrxmvn_17_32_kernelILj20Efii18rocsparse_bfloat16S1_fEEvT2_20rocsparse_direction_NS_24const_host_device_scalarIT0_EES2_PKS2_PKT1_SB_S8_PKT3_PKT4_S6_PT5_21rocsparse_index_base_b.has_indirect_call, 0
	.section	.AMDGPU.csdata,"",@progbits
; Kernel info:
; codeLenInByte = 1236
; TotalNumSgprs: 26
; NumVgprs: 11
; ScratchSize: 0
; MemoryBound: 0
; FloatMode: 240
; IeeeMode: 1
; LDSByteSize: 1600 bytes/workgroup (compile time only)
; SGPRBlocks: 3
; VGPRBlocks: 2
; NumSGPRsForWavesPerEU: 26
; NumVGPRsForWavesPerEU: 11
; Occupancy: 10
; WaveLimiterHint : 1
; COMPUTE_PGM_RSRC2:SCRATCH_EN: 0
; COMPUTE_PGM_RSRC2:USER_SGPR: 6
; COMPUTE_PGM_RSRC2:TRAP_HANDLER: 0
; COMPUTE_PGM_RSRC2:TGID_X_EN: 1
; COMPUTE_PGM_RSRC2:TGID_Y_EN: 0
; COMPUTE_PGM_RSRC2:TGID_Z_EN: 0
; COMPUTE_PGM_RSRC2:TIDIG_COMP_CNT: 0
	.section	.text._ZN9rocsparseL20bsrxmvn_17_32_kernelILj21Efii18rocsparse_bfloat16S1_fEEvT2_20rocsparse_direction_NS_24const_host_device_scalarIT0_EES2_PKS2_PKT1_SB_S8_PKT3_PKT4_S6_PT5_21rocsparse_index_base_b,"axG",@progbits,_ZN9rocsparseL20bsrxmvn_17_32_kernelILj21Efii18rocsparse_bfloat16S1_fEEvT2_20rocsparse_direction_NS_24const_host_device_scalarIT0_EES2_PKS2_PKT1_SB_S8_PKT3_PKT4_S6_PT5_21rocsparse_index_base_b,comdat
	.globl	_ZN9rocsparseL20bsrxmvn_17_32_kernelILj21Efii18rocsparse_bfloat16S1_fEEvT2_20rocsparse_direction_NS_24const_host_device_scalarIT0_EES2_PKS2_PKT1_SB_S8_PKT3_PKT4_S6_PT5_21rocsparse_index_base_b ; -- Begin function _ZN9rocsparseL20bsrxmvn_17_32_kernelILj21Efii18rocsparse_bfloat16S1_fEEvT2_20rocsparse_direction_NS_24const_host_device_scalarIT0_EES2_PKS2_PKT1_SB_S8_PKT3_PKT4_S6_PT5_21rocsparse_index_base_b
	.p2align	8
	.type	_ZN9rocsparseL20bsrxmvn_17_32_kernelILj21Efii18rocsparse_bfloat16S1_fEEvT2_20rocsparse_direction_NS_24const_host_device_scalarIT0_EES2_PKS2_PKT1_SB_S8_PKT3_PKT4_S6_PT5_21rocsparse_index_base_b,@function
_ZN9rocsparseL20bsrxmvn_17_32_kernelILj21Efii18rocsparse_bfloat16S1_fEEvT2_20rocsparse_direction_NS_24const_host_device_scalarIT0_EES2_PKS2_PKT1_SB_S8_PKT3_PKT4_S6_PT5_21rocsparse_index_base_b: ; @_ZN9rocsparseL20bsrxmvn_17_32_kernelILj21Efii18rocsparse_bfloat16S1_fEEvT2_20rocsparse_direction_NS_24const_host_device_scalarIT0_EES2_PKS2_PKT1_SB_S8_PKT3_PKT4_S6_PT5_21rocsparse_index_base_b
; %bb.0:
	s_load_dwordx2 s[14:15], s[4:5], 0x58
	s_load_dwordx2 s[10:11], s[4:5], 0x8
	;; [unrolled: 1-line block ×3, first 2 shown]
	s_waitcnt lgkmcnt(0)
	s_bitcmp1_b32 s15, 0
	s_cselect_b64 s[2:3], -1, 0
	s_xor_b64 s[0:1], s[2:3], -1
	s_and_b64 vcc, exec, s[2:3]
	s_cbranch_vccnz .LBB340_2
; %bb.1:
	s_load_dword s10, s[10:11], 0x0
.LBB340_2:
	s_andn2_b64 vcc, exec, s[0:1]
	s_cbranch_vccnz .LBB340_4
; %bb.3:
	s_load_dword s8, s[8:9], 0x0
.LBB340_4:
	s_waitcnt lgkmcnt(0)
	v_cmp_neq_f32_e64 s[0:1], s10, 0
	v_cmp_neq_f32_e64 s[2:3], s8, 1.0
	s_or_b64 s[0:1], s[0:1], s[2:3]
	s_andn2_b64 vcc, exec, s[0:1]
	s_cbranch_vccnz .LBB340_40
; %bb.5:
	s_load_dwordx4 s[0:3], s[4:5], 0x18
	s_load_dwordx2 s[18:19], s[4:5], 0x28
	s_waitcnt lgkmcnt(0)
	s_cmp_eq_u64 s[0:1], 0
	s_cbranch_scc1 .LBB340_7
; %bb.6:
	s_ashr_i32 s7, s6, 31
	s_lshl_b64 s[6:7], s[6:7], 2
	s_add_u32 s0, s0, s6
	s_addc_u32 s1, s1, s7
	s_load_dword s0, s[0:1], 0x0
	s_waitcnt lgkmcnt(0)
	s_sub_i32 s6, s0, s14
.LBB340_7:
	s_load_dword s0, s[4:5], 0x4
	s_load_dwordx2 s[12:13], s[4:5], 0x50
	v_mul_u32_u24_e32 v1, 0xc31, v0
	v_mov_b32_e32 v2, 21
	v_mul_lo_u16_sdwa v2, v1, v2 dst_sel:DWORD dst_unused:UNUSED_PAD src0_sel:WORD_1 src1_sel:DWORD
	s_waitcnt lgkmcnt(0)
	s_cmp_eq_u32 s0, 1
	s_cselect_b64 vcc, -1, 0
	s_cmp_lg_u32 s0, 1
	s_cselect_b64 s[16:17], -1, 0
	s_ashr_i32 s7, s6, 31
	s_lshl_b64 s[0:1], s[6:7], 2
	s_add_u32 s2, s2, s0
	s_addc_u32 s3, s3, s1
	s_load_dword s7, s[2:3], 0x0
	s_add_u32 s2, s2, 4
	s_addc_u32 s3, s3, 0
	s_add_u32 s0, s18, s0
	s_addc_u32 s1, s19, s1
	s_cmp_eq_u64 s[18:19], 0
	s_cselect_b32 s1, s3, s1
	s_cselect_b32 s0, s2, s0
	s_load_dword s9, s[0:1], 0x0
	v_sub_u16_e32 v7, v0, v2
	v_mov_b32_e32 v6, 0
	s_waitcnt lgkmcnt(0)
	s_cmp_ge_i32 s7, s9
	s_cbranch_scc1 .LBB340_12
; %bb.8:
	v_mov_b32_e32 v2, 25
	s_load_dwordx4 s[0:3], s[4:5], 0x30
	s_load_dwordx2 s[18:19], s[4:5], 0x40
	v_mul_lo_u16_sdwa v2, v1, v2 dst_sel:DWORD dst_unused:UNUSED_PAD src0_sel:WORD_1 src1_sel:DWORD
	v_lshrrev_b16_e32 v2, 9, v2
	v_mul_lo_u16_e32 v2, 21, v2
	s_sub_i32 s5, s7, s14
	s_sub_i32 s4, s9, s14
	v_sub_u16_sdwa v1, v1, v2 dst_sel:DWORD dst_unused:UNUSED_PAD src0_sel:WORD_1 src1_sel:DWORD
	s_mul_i32 s9, s5, 0x372
	v_and_b32_e32 v1, 0xff, v1
	s_mul_hi_i32 s7, s5, 0x372
	s_waitcnt lgkmcnt(0)
	s_add_u32 s2, s2, s9
	v_lshlrev_b32_e32 v2, 1, v0
	v_cndmask_b32_e32 v1, v7, v1, vcc
	s_addc_u32 s3, s3, s7
	v_add_co_u32_e32 v2, vcc, s2, v2
	s_movk_i32 s2, 0x253
	v_mov_b32_e32 v3, s3
	v_mul_u32_u24_sdwa v4, v0, s2 dst_sel:DWORD dst_unused:UNUSED_PAD src0_sel:WORD_0 src1_sel:DWORD
	v_mov_b32_e32 v6, 0
	v_addc_co_u32_e32 v3, vcc, 0, v3, vcc
	v_lshrrev_b32_e32 v8, 18, v4
	s_branch .LBB340_10
.LBB340_9:                              ;   in Loop: Header=BB340_10 Depth=1
	s_or_b64 exec, exec, s[2:3]
	s_add_i32 s5, s5, 1
	s_cmp_lt_i32 s5, s4
	s_cbranch_scc0 .LBB340_12
.LBB340_10:                             ; =>This Inner Loop Header: Depth=1
	v_add_u32_e32 v4, s5, v8
	v_cmp_gt_i32_e32 vcc, s4, v4
	s_and_saveexec_b64 s[2:3], vcc
	s_cbranch_execz .LBB340_9
; %bb.11:                               ;   in Loop: Header=BB340_10 Depth=1
	v_ashrrev_i32_e32 v5, 31, v4
	v_lshlrev_b64 v[4:5], 2, v[4:5]
	v_mov_b32_e32 v9, s1
	v_add_co_u32_e32 v4, vcc, s0, v4
	v_addc_co_u32_e32 v5, vcc, v9, v5, vcc
	global_load_dword v4, v[4:5], off
	v_mov_b32_e32 v10, s19
	global_load_ushort v9, v[2:3], off
	s_waitcnt vmcnt(1)
	v_subrev_u32_e32 v4, s14, v4
	v_mad_u64_u32 v[4:5], s[20:21], v4, 21, v[1:2]
	v_ashrrev_i32_e32 v5, 31, v4
	v_lshlrev_b64 v[4:5], 1, v[4:5]
	v_add_co_u32_e32 v4, vcc, s18, v4
	v_addc_co_u32_e32 v5, vcc, v10, v5, vcc
	global_load_ushort v4, v[4:5], off
	v_add_co_u32_e32 v2, vcc, 0x372, v2
	s_waitcnt vmcnt(1)
	v_lshlrev_b32_e32 v5, 16, v9
	v_addc_co_u32_e32 v3, vcc, 0, v3, vcc
	s_waitcnt vmcnt(0)
	v_lshlrev_b32_e32 v4, 16, v4
	v_fmac_f32_e32 v6, v5, v4
	s_branch .LBB340_9
.LBB340_12:
	v_lshlrev_b32_e32 v1, 2, v0
	s_and_b64 vcc, exec, s[16:17]
	ds_write_b32 v1, v6
	s_waitcnt lgkmcnt(0)
	s_barrier
	s_cbranch_vccz .LBB340_24
; %bb.13:
	v_cmp_gt_u16_e32 vcc, 5, v7
	s_and_saveexec_b64 s[0:1], vcc
	s_cbranch_execz .LBB340_15
; %bb.14:
	ds_read2_b32 v[2:3], v1 offset1:16
	s_waitcnt lgkmcnt(0)
	v_add_f32_e32 v2, v3, v2
	ds_write_b32 v1, v2
.LBB340_15:
	s_or_b64 exec, exec, s[0:1]
	v_cmp_gt_u16_e32 vcc, 8, v7
	s_waitcnt lgkmcnt(0)
	s_barrier
	s_and_saveexec_b64 s[0:1], vcc
	s_cbranch_execz .LBB340_17
; %bb.16:
	ds_read2_b32 v[2:3], v1 offset1:8
	s_waitcnt lgkmcnt(0)
	v_add_f32_e32 v2, v3, v2
	ds_write_b32 v1, v2
.LBB340_17:
	s_or_b64 exec, exec, s[0:1]
	v_cmp_gt_u16_e32 vcc, 4, v7
	s_waitcnt lgkmcnt(0)
	s_barrier
	;; [unrolled: 12-line block ×3, first 2 shown]
	s_and_saveexec_b64 s[0:1], vcc
	s_cbranch_execz .LBB340_21
; %bb.20:
	ds_read2_b32 v[2:3], v1 offset1:2
	s_waitcnt lgkmcnt(0)
	v_add_f32_e32 v2, v3, v2
	ds_write_b32 v1, v2
.LBB340_21:
	s_or_b64 exec, exec, s[0:1]
	v_cmp_gt_u32_e32 vcc, 21, v0
	v_mov_b32_e32 v2, v6
	s_waitcnt lgkmcnt(0)
	s_barrier
	s_and_saveexec_b64 s[0:1], vcc
	s_cbranch_execz .LBB340_23
; %bb.22:
	s_movk_i32 s2, 0x50
	v_mad_u32_u24 v2, v0, s2, v1
	ds_read2_b32 v[2:3], v2 offset1:1
	s_waitcnt lgkmcnt(0)
	v_add_f32_e32 v2, v2, v3
.LBB340_23:
	s_or_b64 exec, exec, s[0:1]
	s_branch .LBB340_36
.LBB340_24:
                                        ; implicit-def: $vgpr2
	s_cbranch_execz .LBB340_36
; %bb.25:
	s_movk_i32 s0, 0x69
	v_cmp_gt_u32_e32 vcc, s0, v0
	s_and_saveexec_b64 s[0:1], vcc
	s_cbranch_execz .LBB340_27
; %bb.26:
	ds_read_b32 v2, v1 offset:1344
	ds_read_b32 v3, v1
	s_waitcnt lgkmcnt(0)
	v_add_f32_e32 v2, v2, v3
	ds_write_b32 v1, v2
.LBB340_27:
	s_or_b64 exec, exec, s[0:1]
	s_movk_i32 s0, 0xa8
	v_cmp_gt_u32_e32 vcc, s0, v0
	s_waitcnt lgkmcnt(0)
	s_barrier
	s_and_saveexec_b64 s[0:1], vcc
	s_cbranch_execz .LBB340_29
; %bb.28:
	ds_read2_b32 v[2:3], v1 offset1:168
	s_waitcnt lgkmcnt(0)
	v_add_f32_e32 v2, v3, v2
	ds_write_b32 v1, v2
.LBB340_29:
	s_or_b64 exec, exec, s[0:1]
	s_movk_i32 s0, 0x54
	v_cmp_gt_u32_e32 vcc, s0, v0
	s_waitcnt lgkmcnt(0)
	s_barrier
	s_and_saveexec_b64 s[0:1], vcc
	s_cbranch_execz .LBB340_31
; %bb.30:
	ds_read2_b32 v[2:3], v1 offset1:84
	s_waitcnt lgkmcnt(0)
	v_add_f32_e32 v2, v3, v2
	ds_write_b32 v1, v2
.LBB340_31:
	s_or_b64 exec, exec, s[0:1]
	v_cmp_gt_u32_e32 vcc, 42, v0
	s_waitcnt lgkmcnt(0)
	s_barrier
	s_and_saveexec_b64 s[0:1], vcc
	s_cbranch_execz .LBB340_33
; %bb.32:
	ds_read2_b32 v[2:3], v1 offset1:42
	s_waitcnt lgkmcnt(0)
	v_add_f32_e32 v2, v3, v2
	ds_write_b32 v1, v2
.LBB340_33:
	s_or_b64 exec, exec, s[0:1]
	v_cmp_gt_u32_e32 vcc, 21, v0
	s_waitcnt lgkmcnt(0)
	s_and_saveexec_b64 s[0:1], vcc
	s_cbranch_execz .LBB340_35
; %bb.34:
	ds_read2_b32 v[1:2], v1 offset1:21
	s_waitcnt lgkmcnt(0)
	v_add_f32_e32 v6, v1, v2
.LBB340_35:
	s_or_b64 exec, exec, s[0:1]
	v_mov_b32_e32 v2, v6
.LBB340_36:
	v_cmp_gt_u32_e32 vcc, 21, v0
	s_and_saveexec_b64 s[0:1], vcc
	s_cbranch_execz .LBB340_40
; %bb.37:
	v_cmp_eq_f32_e64 s[0:1], s8, 0
	s_and_b64 vcc, exec, s[0:1]
	v_mul_f32_e32 v1, s10, v2
	s_cbranch_vccz .LBB340_41
; %bb.38:
	v_mad_u64_u32 v[2:3], s[0:1], s6, 21, v[0:1]
	v_mov_b32_e32 v3, 0
	v_mov_b32_e32 v4, s13
	v_lshlrev_b64 v[2:3], 2, v[2:3]
	v_add_co_u32_e32 v2, vcc, s12, v2
	v_addc_co_u32_e32 v3, vcc, v4, v3, vcc
	global_store_dword v[2:3], v1, off
	s_cbranch_execnz .LBB340_40
.LBB340_39:
	v_mad_u64_u32 v[2:3], s[0:1], s6, 21, v[0:1]
	v_mov_b32_e32 v3, 0
	v_mov_b32_e32 v0, s13
	v_lshlrev_b64 v[2:3], 2, v[2:3]
	v_add_co_u32_e32 v2, vcc, s12, v2
	v_addc_co_u32_e32 v3, vcc, v0, v3, vcc
	global_load_dword v0, v[2:3], off
	s_waitcnt vmcnt(0)
	v_fmac_f32_e32 v1, s8, v0
	global_store_dword v[2:3], v1, off
.LBB340_40:
	s_endpgm
.LBB340_41:
	s_branch .LBB340_39
	.section	.rodata,"a",@progbits
	.p2align	6, 0x0
	.amdhsa_kernel _ZN9rocsparseL20bsrxmvn_17_32_kernelILj21Efii18rocsparse_bfloat16S1_fEEvT2_20rocsparse_direction_NS_24const_host_device_scalarIT0_EES2_PKS2_PKT1_SB_S8_PKT3_PKT4_S6_PT5_21rocsparse_index_base_b
		.amdhsa_group_segment_fixed_size 1764
		.amdhsa_private_segment_fixed_size 0
		.amdhsa_kernarg_size 96
		.amdhsa_user_sgpr_count 6
		.amdhsa_user_sgpr_private_segment_buffer 1
		.amdhsa_user_sgpr_dispatch_ptr 0
		.amdhsa_user_sgpr_queue_ptr 0
		.amdhsa_user_sgpr_kernarg_segment_ptr 1
		.amdhsa_user_sgpr_dispatch_id 0
		.amdhsa_user_sgpr_flat_scratch_init 0
		.amdhsa_user_sgpr_private_segment_size 0
		.amdhsa_uses_dynamic_stack 0
		.amdhsa_system_sgpr_private_segment_wavefront_offset 0
		.amdhsa_system_sgpr_workgroup_id_x 1
		.amdhsa_system_sgpr_workgroup_id_y 0
		.amdhsa_system_sgpr_workgroup_id_z 0
		.amdhsa_system_sgpr_workgroup_info 0
		.amdhsa_system_vgpr_workitem_id 0
		.amdhsa_next_free_vgpr 11
		.amdhsa_next_free_sgpr 22
		.amdhsa_reserve_vcc 1
		.amdhsa_reserve_flat_scratch 0
		.amdhsa_float_round_mode_32 0
		.amdhsa_float_round_mode_16_64 0
		.amdhsa_float_denorm_mode_32 3
		.amdhsa_float_denorm_mode_16_64 3
		.amdhsa_dx10_clamp 1
		.amdhsa_ieee_mode 1
		.amdhsa_fp16_overflow 0
		.amdhsa_exception_fp_ieee_invalid_op 0
		.amdhsa_exception_fp_denorm_src 0
		.amdhsa_exception_fp_ieee_div_zero 0
		.amdhsa_exception_fp_ieee_overflow 0
		.amdhsa_exception_fp_ieee_underflow 0
		.amdhsa_exception_fp_ieee_inexact 0
		.amdhsa_exception_int_div_zero 0
	.end_amdhsa_kernel
	.section	.text._ZN9rocsparseL20bsrxmvn_17_32_kernelILj21Efii18rocsparse_bfloat16S1_fEEvT2_20rocsparse_direction_NS_24const_host_device_scalarIT0_EES2_PKS2_PKT1_SB_S8_PKT3_PKT4_S6_PT5_21rocsparse_index_base_b,"axG",@progbits,_ZN9rocsparseL20bsrxmvn_17_32_kernelILj21Efii18rocsparse_bfloat16S1_fEEvT2_20rocsparse_direction_NS_24const_host_device_scalarIT0_EES2_PKS2_PKT1_SB_S8_PKT3_PKT4_S6_PT5_21rocsparse_index_base_b,comdat
.Lfunc_end340:
	.size	_ZN9rocsparseL20bsrxmvn_17_32_kernelILj21Efii18rocsparse_bfloat16S1_fEEvT2_20rocsparse_direction_NS_24const_host_device_scalarIT0_EES2_PKS2_PKT1_SB_S8_PKT3_PKT4_S6_PT5_21rocsparse_index_base_b, .Lfunc_end340-_ZN9rocsparseL20bsrxmvn_17_32_kernelILj21Efii18rocsparse_bfloat16S1_fEEvT2_20rocsparse_direction_NS_24const_host_device_scalarIT0_EES2_PKS2_PKT1_SB_S8_PKT3_PKT4_S6_PT5_21rocsparse_index_base_b
                                        ; -- End function
	.set _ZN9rocsparseL20bsrxmvn_17_32_kernelILj21Efii18rocsparse_bfloat16S1_fEEvT2_20rocsparse_direction_NS_24const_host_device_scalarIT0_EES2_PKS2_PKT1_SB_S8_PKT3_PKT4_S6_PT5_21rocsparse_index_base_b.num_vgpr, 11
	.set _ZN9rocsparseL20bsrxmvn_17_32_kernelILj21Efii18rocsparse_bfloat16S1_fEEvT2_20rocsparse_direction_NS_24const_host_device_scalarIT0_EES2_PKS2_PKT1_SB_S8_PKT3_PKT4_S6_PT5_21rocsparse_index_base_b.num_agpr, 0
	.set _ZN9rocsparseL20bsrxmvn_17_32_kernelILj21Efii18rocsparse_bfloat16S1_fEEvT2_20rocsparse_direction_NS_24const_host_device_scalarIT0_EES2_PKS2_PKT1_SB_S8_PKT3_PKT4_S6_PT5_21rocsparse_index_base_b.numbered_sgpr, 22
	.set _ZN9rocsparseL20bsrxmvn_17_32_kernelILj21Efii18rocsparse_bfloat16S1_fEEvT2_20rocsparse_direction_NS_24const_host_device_scalarIT0_EES2_PKS2_PKT1_SB_S8_PKT3_PKT4_S6_PT5_21rocsparse_index_base_b.num_named_barrier, 0
	.set _ZN9rocsparseL20bsrxmvn_17_32_kernelILj21Efii18rocsparse_bfloat16S1_fEEvT2_20rocsparse_direction_NS_24const_host_device_scalarIT0_EES2_PKS2_PKT1_SB_S8_PKT3_PKT4_S6_PT5_21rocsparse_index_base_b.private_seg_size, 0
	.set _ZN9rocsparseL20bsrxmvn_17_32_kernelILj21Efii18rocsparse_bfloat16S1_fEEvT2_20rocsparse_direction_NS_24const_host_device_scalarIT0_EES2_PKS2_PKT1_SB_S8_PKT3_PKT4_S6_PT5_21rocsparse_index_base_b.uses_vcc, 1
	.set _ZN9rocsparseL20bsrxmvn_17_32_kernelILj21Efii18rocsparse_bfloat16S1_fEEvT2_20rocsparse_direction_NS_24const_host_device_scalarIT0_EES2_PKS2_PKT1_SB_S8_PKT3_PKT4_S6_PT5_21rocsparse_index_base_b.uses_flat_scratch, 0
	.set _ZN9rocsparseL20bsrxmvn_17_32_kernelILj21Efii18rocsparse_bfloat16S1_fEEvT2_20rocsparse_direction_NS_24const_host_device_scalarIT0_EES2_PKS2_PKT1_SB_S8_PKT3_PKT4_S6_PT5_21rocsparse_index_base_b.has_dyn_sized_stack, 0
	.set _ZN9rocsparseL20bsrxmvn_17_32_kernelILj21Efii18rocsparse_bfloat16S1_fEEvT2_20rocsparse_direction_NS_24const_host_device_scalarIT0_EES2_PKS2_PKT1_SB_S8_PKT3_PKT4_S6_PT5_21rocsparse_index_base_b.has_recursion, 0
	.set _ZN9rocsparseL20bsrxmvn_17_32_kernelILj21Efii18rocsparse_bfloat16S1_fEEvT2_20rocsparse_direction_NS_24const_host_device_scalarIT0_EES2_PKS2_PKT1_SB_S8_PKT3_PKT4_S6_PT5_21rocsparse_index_base_b.has_indirect_call, 0
	.section	.AMDGPU.csdata,"",@progbits
; Kernel info:
; codeLenInByte = 1248
; TotalNumSgprs: 26
; NumVgprs: 11
; ScratchSize: 0
; MemoryBound: 0
; FloatMode: 240
; IeeeMode: 1
; LDSByteSize: 1764 bytes/workgroup (compile time only)
; SGPRBlocks: 3
; VGPRBlocks: 2
; NumSGPRsForWavesPerEU: 26
; NumVGPRsForWavesPerEU: 11
; Occupancy: 10
; WaveLimiterHint : 1
; COMPUTE_PGM_RSRC2:SCRATCH_EN: 0
; COMPUTE_PGM_RSRC2:USER_SGPR: 6
; COMPUTE_PGM_RSRC2:TRAP_HANDLER: 0
; COMPUTE_PGM_RSRC2:TGID_X_EN: 1
; COMPUTE_PGM_RSRC2:TGID_Y_EN: 0
; COMPUTE_PGM_RSRC2:TGID_Z_EN: 0
; COMPUTE_PGM_RSRC2:TIDIG_COMP_CNT: 0
	.section	.text._ZN9rocsparseL20bsrxmvn_17_32_kernelILj22Efii18rocsparse_bfloat16S1_fEEvT2_20rocsparse_direction_NS_24const_host_device_scalarIT0_EES2_PKS2_PKT1_SB_S8_PKT3_PKT4_S6_PT5_21rocsparse_index_base_b,"axG",@progbits,_ZN9rocsparseL20bsrxmvn_17_32_kernelILj22Efii18rocsparse_bfloat16S1_fEEvT2_20rocsparse_direction_NS_24const_host_device_scalarIT0_EES2_PKS2_PKT1_SB_S8_PKT3_PKT4_S6_PT5_21rocsparse_index_base_b,comdat
	.globl	_ZN9rocsparseL20bsrxmvn_17_32_kernelILj22Efii18rocsparse_bfloat16S1_fEEvT2_20rocsparse_direction_NS_24const_host_device_scalarIT0_EES2_PKS2_PKT1_SB_S8_PKT3_PKT4_S6_PT5_21rocsparse_index_base_b ; -- Begin function _ZN9rocsparseL20bsrxmvn_17_32_kernelILj22Efii18rocsparse_bfloat16S1_fEEvT2_20rocsparse_direction_NS_24const_host_device_scalarIT0_EES2_PKS2_PKT1_SB_S8_PKT3_PKT4_S6_PT5_21rocsparse_index_base_b
	.p2align	8
	.type	_ZN9rocsparseL20bsrxmvn_17_32_kernelILj22Efii18rocsparse_bfloat16S1_fEEvT2_20rocsparse_direction_NS_24const_host_device_scalarIT0_EES2_PKS2_PKT1_SB_S8_PKT3_PKT4_S6_PT5_21rocsparse_index_base_b,@function
_ZN9rocsparseL20bsrxmvn_17_32_kernelILj22Efii18rocsparse_bfloat16S1_fEEvT2_20rocsparse_direction_NS_24const_host_device_scalarIT0_EES2_PKS2_PKT1_SB_S8_PKT3_PKT4_S6_PT5_21rocsparse_index_base_b: ; @_ZN9rocsparseL20bsrxmvn_17_32_kernelILj22Efii18rocsparse_bfloat16S1_fEEvT2_20rocsparse_direction_NS_24const_host_device_scalarIT0_EES2_PKS2_PKT1_SB_S8_PKT3_PKT4_S6_PT5_21rocsparse_index_base_b
; %bb.0:
	s_load_dwordx2 s[14:15], s[4:5], 0x58
	s_load_dwordx2 s[10:11], s[4:5], 0x8
	;; [unrolled: 1-line block ×3, first 2 shown]
	s_waitcnt lgkmcnt(0)
	s_bitcmp1_b32 s15, 0
	s_cselect_b64 s[2:3], -1, 0
	s_xor_b64 s[0:1], s[2:3], -1
	s_and_b64 vcc, exec, s[2:3]
	s_cbranch_vccnz .LBB341_2
; %bb.1:
	s_load_dword s10, s[10:11], 0x0
.LBB341_2:
	s_andn2_b64 vcc, exec, s[0:1]
	s_cbranch_vccnz .LBB341_4
; %bb.3:
	s_load_dword s8, s[8:9], 0x0
.LBB341_4:
	s_waitcnt lgkmcnt(0)
	v_cmp_neq_f32_e64 s[0:1], s10, 0
	v_cmp_neq_f32_e64 s[2:3], s8, 1.0
	s_or_b64 s[0:1], s[0:1], s[2:3]
	s_andn2_b64 vcc, exec, s[0:1]
	s_cbranch_vccnz .LBB341_40
; %bb.5:
	s_load_dwordx4 s[0:3], s[4:5], 0x18
	s_load_dwordx2 s[18:19], s[4:5], 0x28
	s_waitcnt lgkmcnt(0)
	s_cmp_eq_u64 s[0:1], 0
	s_cbranch_scc1 .LBB341_7
; %bb.6:
	s_ashr_i32 s7, s6, 31
	s_lshl_b64 s[6:7], s[6:7], 2
	s_add_u32 s0, s0, s6
	s_addc_u32 s1, s1, s7
	s_load_dword s0, s[0:1], 0x0
	s_waitcnt lgkmcnt(0)
	s_sub_i32 s6, s0, s14
.LBB341_7:
	s_load_dword s0, s[4:5], 0x4
	s_load_dwordx2 s[12:13], s[4:5], 0x50
	v_mul_u32_u24_e32 v1, 0xba3, v0
	v_mov_b32_e32 v2, 22
	v_mul_lo_u16_sdwa v3, v1, v2 dst_sel:DWORD dst_unused:UNUSED_PAD src0_sel:WORD_1 src1_sel:DWORD
	s_waitcnt lgkmcnt(0)
	s_cmp_eq_u32 s0, 1
	s_cselect_b64 vcc, -1, 0
	s_cmp_lg_u32 s0, 1
	s_cselect_b64 s[16:17], -1, 0
	s_ashr_i32 s7, s6, 31
	s_lshl_b64 s[0:1], s[6:7], 2
	s_add_u32 s2, s2, s0
	s_addc_u32 s3, s3, s1
	s_load_dword s7, s[2:3], 0x0
	s_add_u32 s2, s2, 4
	s_addc_u32 s3, s3, 0
	s_add_u32 s0, s18, s0
	s_addc_u32 s1, s19, s1
	s_cmp_eq_u64 s[18:19], 0
	s_cselect_b32 s1, s3, s1
	s_cselect_b32 s0, s2, s0
	s_load_dword s9, s[0:1], 0x0
	v_sub_u16_e32 v7, v0, v3
	v_mov_b32_e32 v6, 0
	s_waitcnt lgkmcnt(0)
	s_cmp_ge_i32 s7, s9
	s_cbranch_scc1 .LBB341_12
; %bb.8:
	s_load_dwordx4 s[0:3], s[4:5], 0x30
	s_load_dwordx2 s[18:19], s[4:5], 0x40
	v_mov_b32_e32 v3, 12
	v_mul_lo_u16_sdwa v3, v1, v3 dst_sel:DWORD dst_unused:UNUSED_PAD src0_sel:WORD_1 src1_sel:DWORD
	v_mul_lo_u16_sdwa v2, v3, v2 dst_sel:DWORD dst_unused:UNUSED_PAD src0_sel:BYTE_1 src1_sel:DWORD
	s_sub_i32 s5, s7, s14
	s_sub_i32 s4, s9, s14
	v_sub_u16_sdwa v1, v1, v2 dst_sel:DWORD dst_unused:UNUSED_PAD src0_sel:WORD_1 src1_sel:DWORD
	s_mul_i32 s9, s5, 0x3c8
	v_and_b32_e32 v1, 0xff, v1
	s_mul_hi_i32 s7, s5, 0x3c8
	s_waitcnt lgkmcnt(0)
	s_add_u32 s2, s2, s9
	v_lshlrev_b32_e32 v2, 1, v0
	v_cndmask_b32_e32 v1, v7, v1, vcc
	s_addc_u32 s3, s3, s7
	v_add_co_u32_e32 v2, vcc, s2, v2
	s_movk_i32 s2, 0x10f
	v_mov_b32_e32 v3, s3
	v_mul_u32_u24_sdwa v4, v0, s2 dst_sel:DWORD dst_unused:UNUSED_PAD src0_sel:WORD_0 src1_sel:DWORD
	v_mov_b32_e32 v6, 0
	v_addc_co_u32_e32 v3, vcc, 0, v3, vcc
	v_lshrrev_b32_e32 v8, 17, v4
	s_branch .LBB341_10
.LBB341_9:                              ;   in Loop: Header=BB341_10 Depth=1
	s_or_b64 exec, exec, s[2:3]
	s_add_i32 s5, s5, 1
	s_cmp_lt_i32 s5, s4
	s_cbranch_scc0 .LBB341_12
.LBB341_10:                             ; =>This Inner Loop Header: Depth=1
	v_add_u32_e32 v4, s5, v8
	v_cmp_gt_i32_e32 vcc, s4, v4
	s_and_saveexec_b64 s[2:3], vcc
	s_cbranch_execz .LBB341_9
; %bb.11:                               ;   in Loop: Header=BB341_10 Depth=1
	v_ashrrev_i32_e32 v5, 31, v4
	v_lshlrev_b64 v[4:5], 2, v[4:5]
	v_mov_b32_e32 v9, s1
	v_add_co_u32_e32 v4, vcc, s0, v4
	v_addc_co_u32_e32 v5, vcc, v9, v5, vcc
	global_load_dword v4, v[4:5], off
	v_mov_b32_e32 v10, s19
	global_load_ushort v9, v[2:3], off
	s_waitcnt vmcnt(1)
	v_subrev_u32_e32 v4, s14, v4
	v_mad_u64_u32 v[4:5], s[20:21], v4, 22, v[1:2]
	v_ashrrev_i32_e32 v5, 31, v4
	v_lshlrev_b64 v[4:5], 1, v[4:5]
	v_add_co_u32_e32 v4, vcc, s18, v4
	v_addc_co_u32_e32 v5, vcc, v10, v5, vcc
	global_load_ushort v4, v[4:5], off
	v_add_co_u32_e32 v2, vcc, 0x3c8, v2
	s_waitcnt vmcnt(1)
	v_lshlrev_b32_e32 v5, 16, v9
	v_addc_co_u32_e32 v3, vcc, 0, v3, vcc
	s_waitcnt vmcnt(0)
	v_lshlrev_b32_e32 v4, 16, v4
	v_fmac_f32_e32 v6, v5, v4
	s_branch .LBB341_9
.LBB341_12:
	v_lshlrev_b32_e32 v1, 2, v0
	s_and_b64 vcc, exec, s[16:17]
	ds_write_b32 v1, v6
	s_waitcnt lgkmcnt(0)
	s_barrier
	s_cbranch_vccz .LBB341_24
; %bb.13:
	v_cmp_gt_u16_e32 vcc, 6, v7
	s_and_saveexec_b64 s[0:1], vcc
	s_cbranch_execz .LBB341_15
; %bb.14:
	ds_read2_b32 v[2:3], v1 offset1:16
	s_waitcnt lgkmcnt(0)
	v_add_f32_e32 v2, v3, v2
	ds_write_b32 v1, v2
.LBB341_15:
	s_or_b64 exec, exec, s[0:1]
	v_cmp_gt_u16_e32 vcc, 8, v7
	s_waitcnt lgkmcnt(0)
	s_barrier
	s_and_saveexec_b64 s[0:1], vcc
	s_cbranch_execz .LBB341_17
; %bb.16:
	ds_read2_b32 v[2:3], v1 offset1:8
	s_waitcnt lgkmcnt(0)
	v_add_f32_e32 v2, v3, v2
	ds_write_b32 v1, v2
.LBB341_17:
	s_or_b64 exec, exec, s[0:1]
	v_cmp_gt_u16_e32 vcc, 4, v7
	s_waitcnt lgkmcnt(0)
	s_barrier
	;; [unrolled: 12-line block ×3, first 2 shown]
	s_and_saveexec_b64 s[0:1], vcc
	s_cbranch_execz .LBB341_21
; %bb.20:
	ds_read2_b32 v[2:3], v1 offset1:2
	s_waitcnt lgkmcnt(0)
	v_add_f32_e32 v2, v3, v2
	ds_write_b32 v1, v2
.LBB341_21:
	s_or_b64 exec, exec, s[0:1]
	v_cmp_gt_u32_e32 vcc, 22, v0
	v_mov_b32_e32 v2, v6
	s_waitcnt lgkmcnt(0)
	s_barrier
	s_and_saveexec_b64 s[0:1], vcc
	s_cbranch_execz .LBB341_23
; %bb.22:
	s_movk_i32 s2, 0x54
	v_mad_u32_u24 v2, v0, s2, v1
	ds_read_b64 v[2:3], v2
	s_waitcnt lgkmcnt(0)
	v_add_f32_e32 v2, v2, v3
.LBB341_23:
	s_or_b64 exec, exec, s[0:1]
	s_branch .LBB341_36
.LBB341_24:
                                        ; implicit-def: $vgpr2
	s_cbranch_execz .LBB341_36
; %bb.25:
	s_movk_i32 s0, 0x84
	v_cmp_gt_u32_e32 vcc, s0, v0
	s_and_saveexec_b64 s[0:1], vcc
	s_cbranch_execz .LBB341_27
; %bb.26:
	ds_read_b32 v2, v1 offset:1408
	ds_read_b32 v3, v1
	s_waitcnt lgkmcnt(0)
	v_add_f32_e32 v2, v2, v3
	ds_write_b32 v1, v2
.LBB341_27:
	s_or_b64 exec, exec, s[0:1]
	s_movk_i32 s0, 0xb0
	v_cmp_gt_u32_e32 vcc, s0, v0
	s_waitcnt lgkmcnt(0)
	s_barrier
	s_and_saveexec_b64 s[0:1], vcc
	s_cbranch_execz .LBB341_29
; %bb.28:
	ds_read2_b32 v[2:3], v1 offset1:176
	s_waitcnt lgkmcnt(0)
	v_add_f32_e32 v2, v3, v2
	ds_write_b32 v1, v2
.LBB341_29:
	s_or_b64 exec, exec, s[0:1]
	s_movk_i32 s0, 0x58
	v_cmp_gt_u32_e32 vcc, s0, v0
	s_waitcnt lgkmcnt(0)
	s_barrier
	s_and_saveexec_b64 s[0:1], vcc
	s_cbranch_execz .LBB341_31
; %bb.30:
	ds_read2_b32 v[2:3], v1 offset1:88
	s_waitcnt lgkmcnt(0)
	v_add_f32_e32 v2, v3, v2
	ds_write_b32 v1, v2
.LBB341_31:
	s_or_b64 exec, exec, s[0:1]
	v_cmp_gt_u32_e32 vcc, 44, v0
	s_waitcnt lgkmcnt(0)
	s_barrier
	s_and_saveexec_b64 s[0:1], vcc
	s_cbranch_execz .LBB341_33
; %bb.32:
	ds_read2_b32 v[2:3], v1 offset1:44
	s_waitcnt lgkmcnt(0)
	v_add_f32_e32 v2, v3, v2
	ds_write_b32 v1, v2
.LBB341_33:
	s_or_b64 exec, exec, s[0:1]
	v_cmp_gt_u32_e32 vcc, 22, v0
	s_waitcnt lgkmcnt(0)
	s_and_saveexec_b64 s[0:1], vcc
	s_cbranch_execz .LBB341_35
; %bb.34:
	ds_read2_b32 v[1:2], v1 offset1:22
	s_waitcnt lgkmcnt(0)
	v_add_f32_e32 v6, v1, v2
.LBB341_35:
	s_or_b64 exec, exec, s[0:1]
	v_mov_b32_e32 v2, v6
.LBB341_36:
	v_cmp_gt_u32_e32 vcc, 22, v0
	s_and_saveexec_b64 s[0:1], vcc
	s_cbranch_execz .LBB341_40
; %bb.37:
	v_cmp_eq_f32_e64 s[0:1], s8, 0
	s_and_b64 vcc, exec, s[0:1]
	v_mul_f32_e32 v1, s10, v2
	s_cbranch_vccz .LBB341_41
; %bb.38:
	v_mad_u64_u32 v[2:3], s[0:1], s6, 22, v[0:1]
	v_mov_b32_e32 v3, 0
	v_mov_b32_e32 v4, s13
	v_lshlrev_b64 v[2:3], 2, v[2:3]
	v_add_co_u32_e32 v2, vcc, s12, v2
	v_addc_co_u32_e32 v3, vcc, v4, v3, vcc
	global_store_dword v[2:3], v1, off
	s_cbranch_execnz .LBB341_40
.LBB341_39:
	v_mad_u64_u32 v[2:3], s[0:1], s6, 22, v[0:1]
	v_mov_b32_e32 v3, 0
	v_mov_b32_e32 v0, s13
	v_lshlrev_b64 v[2:3], 2, v[2:3]
	v_add_co_u32_e32 v2, vcc, s12, v2
	v_addc_co_u32_e32 v3, vcc, v0, v3, vcc
	global_load_dword v0, v[2:3], off
	s_waitcnt vmcnt(0)
	v_fmac_f32_e32 v1, s8, v0
	global_store_dword v[2:3], v1, off
.LBB341_40:
	s_endpgm
.LBB341_41:
	s_branch .LBB341_39
	.section	.rodata,"a",@progbits
	.p2align	6, 0x0
	.amdhsa_kernel _ZN9rocsparseL20bsrxmvn_17_32_kernelILj22Efii18rocsparse_bfloat16S1_fEEvT2_20rocsparse_direction_NS_24const_host_device_scalarIT0_EES2_PKS2_PKT1_SB_S8_PKT3_PKT4_S6_PT5_21rocsparse_index_base_b
		.amdhsa_group_segment_fixed_size 1936
		.amdhsa_private_segment_fixed_size 0
		.amdhsa_kernarg_size 96
		.amdhsa_user_sgpr_count 6
		.amdhsa_user_sgpr_private_segment_buffer 1
		.amdhsa_user_sgpr_dispatch_ptr 0
		.amdhsa_user_sgpr_queue_ptr 0
		.amdhsa_user_sgpr_kernarg_segment_ptr 1
		.amdhsa_user_sgpr_dispatch_id 0
		.amdhsa_user_sgpr_flat_scratch_init 0
		.amdhsa_user_sgpr_private_segment_size 0
		.amdhsa_uses_dynamic_stack 0
		.amdhsa_system_sgpr_private_segment_wavefront_offset 0
		.amdhsa_system_sgpr_workgroup_id_x 1
		.amdhsa_system_sgpr_workgroup_id_y 0
		.amdhsa_system_sgpr_workgroup_id_z 0
		.amdhsa_system_sgpr_workgroup_info 0
		.amdhsa_system_vgpr_workitem_id 0
		.amdhsa_next_free_vgpr 11
		.amdhsa_next_free_sgpr 22
		.amdhsa_reserve_vcc 1
		.amdhsa_reserve_flat_scratch 0
		.amdhsa_float_round_mode_32 0
		.amdhsa_float_round_mode_16_64 0
		.amdhsa_float_denorm_mode_32 3
		.amdhsa_float_denorm_mode_16_64 3
		.amdhsa_dx10_clamp 1
		.amdhsa_ieee_mode 1
		.amdhsa_fp16_overflow 0
		.amdhsa_exception_fp_ieee_invalid_op 0
		.amdhsa_exception_fp_denorm_src 0
		.amdhsa_exception_fp_ieee_div_zero 0
		.amdhsa_exception_fp_ieee_overflow 0
		.amdhsa_exception_fp_ieee_underflow 0
		.amdhsa_exception_fp_ieee_inexact 0
		.amdhsa_exception_int_div_zero 0
	.end_amdhsa_kernel
	.section	.text._ZN9rocsparseL20bsrxmvn_17_32_kernelILj22Efii18rocsparse_bfloat16S1_fEEvT2_20rocsparse_direction_NS_24const_host_device_scalarIT0_EES2_PKS2_PKT1_SB_S8_PKT3_PKT4_S6_PT5_21rocsparse_index_base_b,"axG",@progbits,_ZN9rocsparseL20bsrxmvn_17_32_kernelILj22Efii18rocsparse_bfloat16S1_fEEvT2_20rocsparse_direction_NS_24const_host_device_scalarIT0_EES2_PKS2_PKT1_SB_S8_PKT3_PKT4_S6_PT5_21rocsparse_index_base_b,comdat
.Lfunc_end341:
	.size	_ZN9rocsparseL20bsrxmvn_17_32_kernelILj22Efii18rocsparse_bfloat16S1_fEEvT2_20rocsparse_direction_NS_24const_host_device_scalarIT0_EES2_PKS2_PKT1_SB_S8_PKT3_PKT4_S6_PT5_21rocsparse_index_base_b, .Lfunc_end341-_ZN9rocsparseL20bsrxmvn_17_32_kernelILj22Efii18rocsparse_bfloat16S1_fEEvT2_20rocsparse_direction_NS_24const_host_device_scalarIT0_EES2_PKS2_PKT1_SB_S8_PKT3_PKT4_S6_PT5_21rocsparse_index_base_b
                                        ; -- End function
	.set _ZN9rocsparseL20bsrxmvn_17_32_kernelILj22Efii18rocsparse_bfloat16S1_fEEvT2_20rocsparse_direction_NS_24const_host_device_scalarIT0_EES2_PKS2_PKT1_SB_S8_PKT3_PKT4_S6_PT5_21rocsparse_index_base_b.num_vgpr, 11
	.set _ZN9rocsparseL20bsrxmvn_17_32_kernelILj22Efii18rocsparse_bfloat16S1_fEEvT2_20rocsparse_direction_NS_24const_host_device_scalarIT0_EES2_PKS2_PKT1_SB_S8_PKT3_PKT4_S6_PT5_21rocsparse_index_base_b.num_agpr, 0
	.set _ZN9rocsparseL20bsrxmvn_17_32_kernelILj22Efii18rocsparse_bfloat16S1_fEEvT2_20rocsparse_direction_NS_24const_host_device_scalarIT0_EES2_PKS2_PKT1_SB_S8_PKT3_PKT4_S6_PT5_21rocsparse_index_base_b.numbered_sgpr, 22
	.set _ZN9rocsparseL20bsrxmvn_17_32_kernelILj22Efii18rocsparse_bfloat16S1_fEEvT2_20rocsparse_direction_NS_24const_host_device_scalarIT0_EES2_PKS2_PKT1_SB_S8_PKT3_PKT4_S6_PT5_21rocsparse_index_base_b.num_named_barrier, 0
	.set _ZN9rocsparseL20bsrxmvn_17_32_kernelILj22Efii18rocsparse_bfloat16S1_fEEvT2_20rocsparse_direction_NS_24const_host_device_scalarIT0_EES2_PKS2_PKT1_SB_S8_PKT3_PKT4_S6_PT5_21rocsparse_index_base_b.private_seg_size, 0
	.set _ZN9rocsparseL20bsrxmvn_17_32_kernelILj22Efii18rocsparse_bfloat16S1_fEEvT2_20rocsparse_direction_NS_24const_host_device_scalarIT0_EES2_PKS2_PKT1_SB_S8_PKT3_PKT4_S6_PT5_21rocsparse_index_base_b.uses_vcc, 1
	.set _ZN9rocsparseL20bsrxmvn_17_32_kernelILj22Efii18rocsparse_bfloat16S1_fEEvT2_20rocsparse_direction_NS_24const_host_device_scalarIT0_EES2_PKS2_PKT1_SB_S8_PKT3_PKT4_S6_PT5_21rocsparse_index_base_b.uses_flat_scratch, 0
	.set _ZN9rocsparseL20bsrxmvn_17_32_kernelILj22Efii18rocsparse_bfloat16S1_fEEvT2_20rocsparse_direction_NS_24const_host_device_scalarIT0_EES2_PKS2_PKT1_SB_S8_PKT3_PKT4_S6_PT5_21rocsparse_index_base_b.has_dyn_sized_stack, 0
	.set _ZN9rocsparseL20bsrxmvn_17_32_kernelILj22Efii18rocsparse_bfloat16S1_fEEvT2_20rocsparse_direction_NS_24const_host_device_scalarIT0_EES2_PKS2_PKT1_SB_S8_PKT3_PKT4_S6_PT5_21rocsparse_index_base_b.has_recursion, 0
	.set _ZN9rocsparseL20bsrxmvn_17_32_kernelILj22Efii18rocsparse_bfloat16S1_fEEvT2_20rocsparse_direction_NS_24const_host_device_scalarIT0_EES2_PKS2_PKT1_SB_S8_PKT3_PKT4_S6_PT5_21rocsparse_index_base_b.has_indirect_call, 0
	.section	.AMDGPU.csdata,"",@progbits
; Kernel info:
; codeLenInByte = 1248
; TotalNumSgprs: 26
; NumVgprs: 11
; ScratchSize: 0
; MemoryBound: 0
; FloatMode: 240
; IeeeMode: 1
; LDSByteSize: 1936 bytes/workgroup (compile time only)
; SGPRBlocks: 3
; VGPRBlocks: 2
; NumSGPRsForWavesPerEU: 26
; NumVGPRsForWavesPerEU: 11
; Occupancy: 10
; WaveLimiterHint : 1
; COMPUTE_PGM_RSRC2:SCRATCH_EN: 0
; COMPUTE_PGM_RSRC2:USER_SGPR: 6
; COMPUTE_PGM_RSRC2:TRAP_HANDLER: 0
; COMPUTE_PGM_RSRC2:TGID_X_EN: 1
; COMPUTE_PGM_RSRC2:TGID_Y_EN: 0
; COMPUTE_PGM_RSRC2:TGID_Z_EN: 0
; COMPUTE_PGM_RSRC2:TIDIG_COMP_CNT: 0
	.section	.text._ZN9rocsparseL20bsrxmvn_17_32_kernelILj23Efii18rocsparse_bfloat16S1_fEEvT2_20rocsparse_direction_NS_24const_host_device_scalarIT0_EES2_PKS2_PKT1_SB_S8_PKT3_PKT4_S6_PT5_21rocsparse_index_base_b,"axG",@progbits,_ZN9rocsparseL20bsrxmvn_17_32_kernelILj23Efii18rocsparse_bfloat16S1_fEEvT2_20rocsparse_direction_NS_24const_host_device_scalarIT0_EES2_PKS2_PKT1_SB_S8_PKT3_PKT4_S6_PT5_21rocsparse_index_base_b,comdat
	.globl	_ZN9rocsparseL20bsrxmvn_17_32_kernelILj23Efii18rocsparse_bfloat16S1_fEEvT2_20rocsparse_direction_NS_24const_host_device_scalarIT0_EES2_PKS2_PKT1_SB_S8_PKT3_PKT4_S6_PT5_21rocsparse_index_base_b ; -- Begin function _ZN9rocsparseL20bsrxmvn_17_32_kernelILj23Efii18rocsparse_bfloat16S1_fEEvT2_20rocsparse_direction_NS_24const_host_device_scalarIT0_EES2_PKS2_PKT1_SB_S8_PKT3_PKT4_S6_PT5_21rocsparse_index_base_b
	.p2align	8
	.type	_ZN9rocsparseL20bsrxmvn_17_32_kernelILj23Efii18rocsparse_bfloat16S1_fEEvT2_20rocsparse_direction_NS_24const_host_device_scalarIT0_EES2_PKS2_PKT1_SB_S8_PKT3_PKT4_S6_PT5_21rocsparse_index_base_b,@function
_ZN9rocsparseL20bsrxmvn_17_32_kernelILj23Efii18rocsparse_bfloat16S1_fEEvT2_20rocsparse_direction_NS_24const_host_device_scalarIT0_EES2_PKS2_PKT1_SB_S8_PKT3_PKT4_S6_PT5_21rocsparse_index_base_b: ; @_ZN9rocsparseL20bsrxmvn_17_32_kernelILj23Efii18rocsparse_bfloat16S1_fEEvT2_20rocsparse_direction_NS_24const_host_device_scalarIT0_EES2_PKS2_PKT1_SB_S8_PKT3_PKT4_S6_PT5_21rocsparse_index_base_b
; %bb.0:
	s_load_dwordx2 s[18:19], s[4:5], 0x58
	s_load_dwordx2 s[14:15], s[4:5], 0x8
	;; [unrolled: 1-line block ×3, first 2 shown]
	s_waitcnt lgkmcnt(0)
	s_bitcmp1_b32 s19, 0
	s_cselect_b64 s[2:3], -1, 0
	s_xor_b64 s[0:1], s[2:3], -1
	s_and_b64 vcc, exec, s[2:3]
	s_cbranch_vccnz .LBB342_2
; %bb.1:
	s_load_dword s14, s[14:15], 0x0
.LBB342_2:
	s_andn2_b64 vcc, exec, s[0:1]
	s_cbranch_vccnz .LBB342_4
; %bb.3:
	s_load_dword s12, s[12:13], 0x0
.LBB342_4:
	s_waitcnt lgkmcnt(0)
	v_cmp_neq_f32_e64 s[0:1], s14, 0
	v_cmp_neq_f32_e64 s[2:3], s12, 1.0
	s_or_b64 s[0:1], s[0:1], s[2:3]
	s_andn2_b64 vcc, exec, s[0:1]
	s_cbranch_vccnz .LBB342_40
; %bb.5:
	s_load_dwordx4 s[0:3], s[4:5], 0x18
	s_load_dwordx2 s[8:9], s[4:5], 0x28
	s_waitcnt lgkmcnt(0)
	s_cmp_eq_u64 s[0:1], 0
	s_cbranch_scc1 .LBB342_7
; %bb.6:
	s_ashr_i32 s7, s6, 31
	s_lshl_b64 s[6:7], s[6:7], 2
	s_add_u32 s0, s0, s6
	s_addc_u32 s1, s1, s7
	s_load_dword s0, s[0:1], 0x0
	s_waitcnt lgkmcnt(0)
	s_sub_i32 s6, s0, s18
.LBB342_7:
	s_load_dword s0, s[4:5], 0x4
	s_load_dwordx2 s[16:17], s[4:5], 0x50
	v_mul_u32_u24_e32 v1, 0xb22, v0
	v_mov_b32_e32 v2, 23
	v_mul_lo_u16_sdwa v2, v1, v2 dst_sel:DWORD dst_unused:UNUSED_PAD src0_sel:WORD_1 src1_sel:DWORD
	s_waitcnt lgkmcnt(0)
	s_cmp_eq_u32 s0, 1
	s_cselect_b64 vcc, -1, 0
	s_cmp_lg_u32 s0, 1
	s_cselect_b64 s[20:21], -1, 0
	s_ashr_i32 s7, s6, 31
	s_lshl_b64 s[0:1], s[6:7], 2
	s_add_u32 s2, s2, s0
	s_addc_u32 s3, s3, s1
	s_load_dword s7, s[2:3], 0x0
	s_add_u32 s2, s2, 4
	s_addc_u32 s3, s3, 0
	s_add_u32 s0, s8, s0
	s_addc_u32 s1, s9, s1
	s_cmp_eq_u64 s[8:9], 0
	s_cselect_b32 s1, s3, s1
	s_cselect_b32 s0, s2, s0
	s_load_dword s0, s[0:1], 0x0
	v_sub_u16_e32 v7, v0, v2
	v_mov_b32_e32 v6, 0
	s_waitcnt lgkmcnt(0)
	s_cmp_ge_i32 s7, s0
	s_cbranch_scc1 .LBB342_12
; %bb.8:
	s_load_dwordx4 s[8:11], s[4:5], 0x30
	s_load_dwordx2 s[2:3], s[4:5], 0x40
	s_sub_i32 s4, s0, s18
	s_mov_b32 s0, 0xffff
	s_movk_i32 s1, 0x211
	v_and_b32_sdwa v1, s0, v1 dst_sel:DWORD dst_unused:UNUSED_PAD src0_sel:DWORD src1_sel:WORD_1
	v_subrev_u32_e32 v2, 23, v1
	v_cmp_gt_u32_e64 s[0:1], s1, v0
	s_sub_i32 s5, s7, s18
	v_cndmask_b32_e64 v1, v2, v1, s[0:1]
	s_mul_i32 s1, s5, 0x422
	s_mul_hi_i32 s0, s5, 0x422
	s_waitcnt lgkmcnt(0)
	s_add_u32 s1, s10, s1
	s_addc_u32 s0, s11, s0
	v_lshlrev_b32_e32 v2, 1, v0
	v_cndmask_b32_e32 v1, v7, v1, vcc
	v_mov_b32_e32 v3, s0
	v_add_co_u32_e32 v2, vcc, s1, v2
	v_addc_co_u32_e32 v3, vcc, 0, v3, vcc
	s_movk_i32 s0, 0x210
	v_cmp_lt_u32_e32 vcc, s0, v0
	v_mov_b32_e32 v6, 0
	v_cndmask_b32_e64 v8, 0, 1, vcc
	s_branch .LBB342_10
.LBB342_9:                              ;   in Loop: Header=BB342_10 Depth=1
	s_or_b64 exec, exec, s[0:1]
	s_add_i32 s5, s5, 1
	s_cmp_lt_i32 s5, s4
	s_cbranch_scc0 .LBB342_12
.LBB342_10:                             ; =>This Inner Loop Header: Depth=1
	v_add_u32_e32 v4, s5, v8
	v_cmp_gt_i32_e32 vcc, s4, v4
	s_and_saveexec_b64 s[0:1], vcc
	s_cbranch_execz .LBB342_9
; %bb.11:                               ;   in Loop: Header=BB342_10 Depth=1
	v_ashrrev_i32_e32 v5, 31, v4
	v_lshlrev_b64 v[4:5], 2, v[4:5]
	v_mov_b32_e32 v9, s9
	v_add_co_u32_e32 v4, vcc, s8, v4
	v_addc_co_u32_e32 v5, vcc, v9, v5, vcc
	global_load_dword v4, v[4:5], off
	v_mov_b32_e32 v10, s3
	global_load_ushort v9, v[2:3], off
	s_waitcnt vmcnt(1)
	v_subrev_u32_e32 v4, s18, v4
	v_mad_u64_u32 v[4:5], s[10:11], v4, 23, v[1:2]
	v_ashrrev_i32_e32 v5, 31, v4
	v_lshlrev_b64 v[4:5], 1, v[4:5]
	v_add_co_u32_e32 v4, vcc, s2, v4
	v_addc_co_u32_e32 v5, vcc, v10, v5, vcc
	global_load_ushort v4, v[4:5], off
	v_add_co_u32_e32 v2, vcc, 0x422, v2
	s_waitcnt vmcnt(1)
	v_lshlrev_b32_e32 v5, 16, v9
	v_addc_co_u32_e32 v3, vcc, 0, v3, vcc
	s_waitcnt vmcnt(0)
	v_lshlrev_b32_e32 v4, 16, v4
	v_fmac_f32_e32 v6, v5, v4
	s_branch .LBB342_9
.LBB342_12:
	v_lshlrev_b32_e32 v1, 2, v0
	s_and_b64 vcc, exec, s[20:21]
	ds_write_b32 v1, v6
	s_waitcnt lgkmcnt(0)
	s_barrier
	s_cbranch_vccz .LBB342_24
; %bb.13:
	v_cmp_gt_u16_e32 vcc, 7, v7
	s_and_saveexec_b64 s[0:1], vcc
	s_cbranch_execz .LBB342_15
; %bb.14:
	ds_read2_b32 v[2:3], v1 offset1:16
	s_waitcnt lgkmcnt(0)
	v_add_f32_e32 v2, v3, v2
	ds_write_b32 v1, v2
.LBB342_15:
	s_or_b64 exec, exec, s[0:1]
	v_cmp_gt_u16_e32 vcc, 8, v7
	s_waitcnt lgkmcnt(0)
	s_barrier
	s_and_saveexec_b64 s[0:1], vcc
	s_cbranch_execz .LBB342_17
; %bb.16:
	ds_read2_b32 v[2:3], v1 offset1:8
	s_waitcnt lgkmcnt(0)
	v_add_f32_e32 v2, v3, v2
	ds_write_b32 v1, v2
.LBB342_17:
	s_or_b64 exec, exec, s[0:1]
	v_cmp_gt_u16_e32 vcc, 4, v7
	s_waitcnt lgkmcnt(0)
	s_barrier
	;; [unrolled: 12-line block ×3, first 2 shown]
	s_and_saveexec_b64 s[0:1], vcc
	s_cbranch_execz .LBB342_21
; %bb.20:
	ds_read2_b32 v[2:3], v1 offset1:2
	s_waitcnt lgkmcnt(0)
	v_add_f32_e32 v2, v3, v2
	ds_write_b32 v1, v2
.LBB342_21:
	s_or_b64 exec, exec, s[0:1]
	v_cmp_gt_u32_e32 vcc, 23, v0
	v_mov_b32_e32 v2, v6
	s_waitcnt lgkmcnt(0)
	s_barrier
	s_and_saveexec_b64 s[0:1], vcc
	s_cbranch_execz .LBB342_23
; %bb.22:
	s_movk_i32 s2, 0x58
	v_mad_u32_u24 v2, v0, s2, v1
	ds_read2_b32 v[2:3], v2 offset1:1
	s_waitcnt lgkmcnt(0)
	v_add_f32_e32 v2, v2, v3
.LBB342_23:
	s_or_b64 exec, exec, s[0:1]
	s_branch .LBB342_36
.LBB342_24:
                                        ; implicit-def: $vgpr2
	s_cbranch_execz .LBB342_36
; %bb.25:
	s_movk_i32 s0, 0xa1
	v_cmp_gt_u32_e32 vcc, s0, v0
	s_and_saveexec_b64 s[0:1], vcc
	s_cbranch_execz .LBB342_27
; %bb.26:
	ds_read_b32 v2, v1 offset:1472
	ds_read_b32 v3, v1
	s_waitcnt lgkmcnt(0)
	v_add_f32_e32 v2, v2, v3
	ds_write_b32 v1, v2
.LBB342_27:
	s_or_b64 exec, exec, s[0:1]
	s_movk_i32 s0, 0xb8
	v_cmp_gt_u32_e32 vcc, s0, v0
	s_waitcnt lgkmcnt(0)
	s_barrier
	s_and_saveexec_b64 s[0:1], vcc
	s_cbranch_execz .LBB342_29
; %bb.28:
	ds_read2_b32 v[2:3], v1 offset1:184
	s_waitcnt lgkmcnt(0)
	v_add_f32_e32 v2, v3, v2
	ds_write_b32 v1, v2
.LBB342_29:
	s_or_b64 exec, exec, s[0:1]
	s_movk_i32 s0, 0x5c
	v_cmp_gt_u32_e32 vcc, s0, v0
	s_waitcnt lgkmcnt(0)
	s_barrier
	s_and_saveexec_b64 s[0:1], vcc
	s_cbranch_execz .LBB342_31
; %bb.30:
	ds_read2_b32 v[2:3], v1 offset1:92
	s_waitcnt lgkmcnt(0)
	v_add_f32_e32 v2, v3, v2
	ds_write_b32 v1, v2
.LBB342_31:
	s_or_b64 exec, exec, s[0:1]
	v_cmp_gt_u32_e32 vcc, 46, v0
	s_waitcnt lgkmcnt(0)
	s_barrier
	s_and_saveexec_b64 s[0:1], vcc
	s_cbranch_execz .LBB342_33
; %bb.32:
	ds_read2_b32 v[2:3], v1 offset1:46
	s_waitcnt lgkmcnt(0)
	v_add_f32_e32 v2, v3, v2
	ds_write_b32 v1, v2
.LBB342_33:
	s_or_b64 exec, exec, s[0:1]
	v_cmp_gt_u32_e32 vcc, 23, v0
	s_waitcnt lgkmcnt(0)
	s_and_saveexec_b64 s[0:1], vcc
	s_cbranch_execz .LBB342_35
; %bb.34:
	ds_read2_b32 v[1:2], v1 offset1:23
	s_waitcnt lgkmcnt(0)
	v_add_f32_e32 v6, v1, v2
.LBB342_35:
	s_or_b64 exec, exec, s[0:1]
	v_mov_b32_e32 v2, v6
.LBB342_36:
	v_cmp_gt_u32_e32 vcc, 23, v0
	s_and_saveexec_b64 s[0:1], vcc
	s_cbranch_execz .LBB342_40
; %bb.37:
	v_cmp_eq_f32_e64 s[0:1], s12, 0
	s_and_b64 vcc, exec, s[0:1]
	v_mul_f32_e32 v1, s14, v2
	s_cbranch_vccz .LBB342_41
; %bb.38:
	v_mad_u64_u32 v[2:3], s[0:1], s6, 23, v[0:1]
	v_mov_b32_e32 v3, 0
	v_mov_b32_e32 v4, s17
	v_lshlrev_b64 v[2:3], 2, v[2:3]
	v_add_co_u32_e32 v2, vcc, s16, v2
	v_addc_co_u32_e32 v3, vcc, v4, v3, vcc
	global_store_dword v[2:3], v1, off
	s_cbranch_execnz .LBB342_40
.LBB342_39:
	v_mad_u64_u32 v[2:3], s[0:1], s6, 23, v[0:1]
	v_mov_b32_e32 v3, 0
	v_mov_b32_e32 v0, s17
	v_lshlrev_b64 v[2:3], 2, v[2:3]
	v_add_co_u32_e32 v2, vcc, s16, v2
	v_addc_co_u32_e32 v3, vcc, v0, v3, vcc
	global_load_dword v0, v[2:3], off
	s_waitcnt vmcnt(0)
	v_fmac_f32_e32 v1, s12, v0
	global_store_dword v[2:3], v1, off
.LBB342_40:
	s_endpgm
.LBB342_41:
	s_branch .LBB342_39
	.section	.rodata,"a",@progbits
	.p2align	6, 0x0
	.amdhsa_kernel _ZN9rocsparseL20bsrxmvn_17_32_kernelILj23Efii18rocsparse_bfloat16S1_fEEvT2_20rocsparse_direction_NS_24const_host_device_scalarIT0_EES2_PKS2_PKT1_SB_S8_PKT3_PKT4_S6_PT5_21rocsparse_index_base_b
		.amdhsa_group_segment_fixed_size 2116
		.amdhsa_private_segment_fixed_size 0
		.amdhsa_kernarg_size 96
		.amdhsa_user_sgpr_count 6
		.amdhsa_user_sgpr_private_segment_buffer 1
		.amdhsa_user_sgpr_dispatch_ptr 0
		.amdhsa_user_sgpr_queue_ptr 0
		.amdhsa_user_sgpr_kernarg_segment_ptr 1
		.amdhsa_user_sgpr_dispatch_id 0
		.amdhsa_user_sgpr_flat_scratch_init 0
		.amdhsa_user_sgpr_private_segment_size 0
		.amdhsa_uses_dynamic_stack 0
		.amdhsa_system_sgpr_private_segment_wavefront_offset 0
		.amdhsa_system_sgpr_workgroup_id_x 1
		.amdhsa_system_sgpr_workgroup_id_y 0
		.amdhsa_system_sgpr_workgroup_id_z 0
		.amdhsa_system_sgpr_workgroup_info 0
		.amdhsa_system_vgpr_workitem_id 0
		.amdhsa_next_free_vgpr 25
		.amdhsa_next_free_sgpr 61
		.amdhsa_reserve_vcc 1
		.amdhsa_reserve_flat_scratch 0
		.amdhsa_float_round_mode_32 0
		.amdhsa_float_round_mode_16_64 0
		.amdhsa_float_denorm_mode_32 3
		.amdhsa_float_denorm_mode_16_64 3
		.amdhsa_dx10_clamp 1
		.amdhsa_ieee_mode 1
		.amdhsa_fp16_overflow 0
		.amdhsa_exception_fp_ieee_invalid_op 0
		.amdhsa_exception_fp_denorm_src 0
		.amdhsa_exception_fp_ieee_div_zero 0
		.amdhsa_exception_fp_ieee_overflow 0
		.amdhsa_exception_fp_ieee_underflow 0
		.amdhsa_exception_fp_ieee_inexact 0
		.amdhsa_exception_int_div_zero 0
	.end_amdhsa_kernel
	.section	.text._ZN9rocsparseL20bsrxmvn_17_32_kernelILj23Efii18rocsparse_bfloat16S1_fEEvT2_20rocsparse_direction_NS_24const_host_device_scalarIT0_EES2_PKS2_PKT1_SB_S8_PKT3_PKT4_S6_PT5_21rocsparse_index_base_b,"axG",@progbits,_ZN9rocsparseL20bsrxmvn_17_32_kernelILj23Efii18rocsparse_bfloat16S1_fEEvT2_20rocsparse_direction_NS_24const_host_device_scalarIT0_EES2_PKS2_PKT1_SB_S8_PKT3_PKT4_S6_PT5_21rocsparse_index_base_b,comdat
.Lfunc_end342:
	.size	_ZN9rocsparseL20bsrxmvn_17_32_kernelILj23Efii18rocsparse_bfloat16S1_fEEvT2_20rocsparse_direction_NS_24const_host_device_scalarIT0_EES2_PKS2_PKT1_SB_S8_PKT3_PKT4_S6_PT5_21rocsparse_index_base_b, .Lfunc_end342-_ZN9rocsparseL20bsrxmvn_17_32_kernelILj23Efii18rocsparse_bfloat16S1_fEEvT2_20rocsparse_direction_NS_24const_host_device_scalarIT0_EES2_PKS2_PKT1_SB_S8_PKT3_PKT4_S6_PT5_21rocsparse_index_base_b
                                        ; -- End function
	.set _ZN9rocsparseL20bsrxmvn_17_32_kernelILj23Efii18rocsparse_bfloat16S1_fEEvT2_20rocsparse_direction_NS_24const_host_device_scalarIT0_EES2_PKS2_PKT1_SB_S8_PKT3_PKT4_S6_PT5_21rocsparse_index_base_b.num_vgpr, 11
	.set _ZN9rocsparseL20bsrxmvn_17_32_kernelILj23Efii18rocsparse_bfloat16S1_fEEvT2_20rocsparse_direction_NS_24const_host_device_scalarIT0_EES2_PKS2_PKT1_SB_S8_PKT3_PKT4_S6_PT5_21rocsparse_index_base_b.num_agpr, 0
	.set _ZN9rocsparseL20bsrxmvn_17_32_kernelILj23Efii18rocsparse_bfloat16S1_fEEvT2_20rocsparse_direction_NS_24const_host_device_scalarIT0_EES2_PKS2_PKT1_SB_S8_PKT3_PKT4_S6_PT5_21rocsparse_index_base_b.numbered_sgpr, 22
	.set _ZN9rocsparseL20bsrxmvn_17_32_kernelILj23Efii18rocsparse_bfloat16S1_fEEvT2_20rocsparse_direction_NS_24const_host_device_scalarIT0_EES2_PKS2_PKT1_SB_S8_PKT3_PKT4_S6_PT5_21rocsparse_index_base_b.num_named_barrier, 0
	.set _ZN9rocsparseL20bsrxmvn_17_32_kernelILj23Efii18rocsparse_bfloat16S1_fEEvT2_20rocsparse_direction_NS_24const_host_device_scalarIT0_EES2_PKS2_PKT1_SB_S8_PKT3_PKT4_S6_PT5_21rocsparse_index_base_b.private_seg_size, 0
	.set _ZN9rocsparseL20bsrxmvn_17_32_kernelILj23Efii18rocsparse_bfloat16S1_fEEvT2_20rocsparse_direction_NS_24const_host_device_scalarIT0_EES2_PKS2_PKT1_SB_S8_PKT3_PKT4_S6_PT5_21rocsparse_index_base_b.uses_vcc, 1
	.set _ZN9rocsparseL20bsrxmvn_17_32_kernelILj23Efii18rocsparse_bfloat16S1_fEEvT2_20rocsparse_direction_NS_24const_host_device_scalarIT0_EES2_PKS2_PKT1_SB_S8_PKT3_PKT4_S6_PT5_21rocsparse_index_base_b.uses_flat_scratch, 0
	.set _ZN9rocsparseL20bsrxmvn_17_32_kernelILj23Efii18rocsparse_bfloat16S1_fEEvT2_20rocsparse_direction_NS_24const_host_device_scalarIT0_EES2_PKS2_PKT1_SB_S8_PKT3_PKT4_S6_PT5_21rocsparse_index_base_b.has_dyn_sized_stack, 0
	.set _ZN9rocsparseL20bsrxmvn_17_32_kernelILj23Efii18rocsparse_bfloat16S1_fEEvT2_20rocsparse_direction_NS_24const_host_device_scalarIT0_EES2_PKS2_PKT1_SB_S8_PKT3_PKT4_S6_PT5_21rocsparse_index_base_b.has_recursion, 0
	.set _ZN9rocsparseL20bsrxmvn_17_32_kernelILj23Efii18rocsparse_bfloat16S1_fEEvT2_20rocsparse_direction_NS_24const_host_device_scalarIT0_EES2_PKS2_PKT1_SB_S8_PKT3_PKT4_S6_PT5_21rocsparse_index_base_b.has_indirect_call, 0
	.section	.AMDGPU.csdata,"",@progbits
; Kernel info:
; codeLenInByte = 1252
; TotalNumSgprs: 26
; NumVgprs: 11
; ScratchSize: 0
; MemoryBound: 0
; FloatMode: 240
; IeeeMode: 1
; LDSByteSize: 2116 bytes/workgroup (compile time only)
; SGPRBlocks: 8
; VGPRBlocks: 6
; NumSGPRsForWavesPerEU: 65
; NumVGPRsForWavesPerEU: 25
; Occupancy: 9
; WaveLimiterHint : 1
; COMPUTE_PGM_RSRC2:SCRATCH_EN: 0
; COMPUTE_PGM_RSRC2:USER_SGPR: 6
; COMPUTE_PGM_RSRC2:TRAP_HANDLER: 0
; COMPUTE_PGM_RSRC2:TGID_X_EN: 1
; COMPUTE_PGM_RSRC2:TGID_Y_EN: 0
; COMPUTE_PGM_RSRC2:TGID_Z_EN: 0
; COMPUTE_PGM_RSRC2:TIDIG_COMP_CNT: 0
	.section	.text._ZN9rocsparseL20bsrxmvn_17_32_kernelILj24Efii18rocsparse_bfloat16S1_fEEvT2_20rocsparse_direction_NS_24const_host_device_scalarIT0_EES2_PKS2_PKT1_SB_S8_PKT3_PKT4_S6_PT5_21rocsparse_index_base_b,"axG",@progbits,_ZN9rocsparseL20bsrxmvn_17_32_kernelILj24Efii18rocsparse_bfloat16S1_fEEvT2_20rocsparse_direction_NS_24const_host_device_scalarIT0_EES2_PKS2_PKT1_SB_S8_PKT3_PKT4_S6_PT5_21rocsparse_index_base_b,comdat
	.globl	_ZN9rocsparseL20bsrxmvn_17_32_kernelILj24Efii18rocsparse_bfloat16S1_fEEvT2_20rocsparse_direction_NS_24const_host_device_scalarIT0_EES2_PKS2_PKT1_SB_S8_PKT3_PKT4_S6_PT5_21rocsparse_index_base_b ; -- Begin function _ZN9rocsparseL20bsrxmvn_17_32_kernelILj24Efii18rocsparse_bfloat16S1_fEEvT2_20rocsparse_direction_NS_24const_host_device_scalarIT0_EES2_PKS2_PKT1_SB_S8_PKT3_PKT4_S6_PT5_21rocsparse_index_base_b
	.p2align	8
	.type	_ZN9rocsparseL20bsrxmvn_17_32_kernelILj24Efii18rocsparse_bfloat16S1_fEEvT2_20rocsparse_direction_NS_24const_host_device_scalarIT0_EES2_PKS2_PKT1_SB_S8_PKT3_PKT4_S6_PT5_21rocsparse_index_base_b,@function
_ZN9rocsparseL20bsrxmvn_17_32_kernelILj24Efii18rocsparse_bfloat16S1_fEEvT2_20rocsparse_direction_NS_24const_host_device_scalarIT0_EES2_PKS2_PKT1_SB_S8_PKT3_PKT4_S6_PT5_21rocsparse_index_base_b: ; @_ZN9rocsparseL20bsrxmvn_17_32_kernelILj24Efii18rocsparse_bfloat16S1_fEEvT2_20rocsparse_direction_NS_24const_host_device_scalarIT0_EES2_PKS2_PKT1_SB_S8_PKT3_PKT4_S6_PT5_21rocsparse_index_base_b
; %bb.0:
	s_load_dwordx2 s[18:19], s[4:5], 0x58
	s_load_dwordx2 s[14:15], s[4:5], 0x8
	;; [unrolled: 1-line block ×3, first 2 shown]
	s_waitcnt lgkmcnt(0)
	s_bitcmp1_b32 s19, 0
	s_cselect_b64 s[2:3], -1, 0
	s_xor_b64 s[0:1], s[2:3], -1
	s_and_b64 vcc, exec, s[2:3]
	s_cbranch_vccnz .LBB343_2
; %bb.1:
	s_load_dword s14, s[14:15], 0x0
.LBB343_2:
	s_andn2_b64 vcc, exec, s[0:1]
	s_cbranch_vccnz .LBB343_4
; %bb.3:
	s_load_dword s12, s[12:13], 0x0
.LBB343_4:
	s_waitcnt lgkmcnt(0)
	v_cmp_neq_f32_e64 s[0:1], s14, 0
	v_cmp_neq_f32_e64 s[2:3], s12, 1.0
	s_or_b64 s[0:1], s[0:1], s[2:3]
	s_andn2_b64 vcc, exec, s[0:1]
	s_cbranch_vccnz .LBB343_40
; %bb.5:
	s_load_dwordx4 s[0:3], s[4:5], 0x18
	s_load_dwordx2 s[8:9], s[4:5], 0x28
	s_waitcnt lgkmcnt(0)
	s_cmp_eq_u64 s[0:1], 0
	s_cbranch_scc1 .LBB343_7
; %bb.6:
	s_ashr_i32 s7, s6, 31
	s_lshl_b64 s[6:7], s[6:7], 2
	s_add_u32 s0, s0, s6
	s_addc_u32 s1, s1, s7
	s_load_dword s0, s[0:1], 0x0
	s_waitcnt lgkmcnt(0)
	s_sub_i32 s6, s0, s18
.LBB343_7:
	s_load_dword s0, s[4:5], 0x4
	s_load_dwordx2 s[16:17], s[4:5], 0x50
	v_mul_u32_u24_e32 v1, 0xaab, v0
	v_mov_b32_e32 v2, 24
	v_mul_lo_u16_sdwa v2, v1, v2 dst_sel:DWORD dst_unused:UNUSED_PAD src0_sel:WORD_1 src1_sel:DWORD
	s_waitcnt lgkmcnt(0)
	s_cmp_eq_u32 s0, 1
	s_cselect_b64 vcc, -1, 0
	s_cmp_lg_u32 s0, 1
	s_cselect_b64 s[20:21], -1, 0
	s_ashr_i32 s7, s6, 31
	s_lshl_b64 s[0:1], s[6:7], 2
	s_add_u32 s2, s2, s0
	s_addc_u32 s3, s3, s1
	s_load_dword s7, s[2:3], 0x0
	s_add_u32 s2, s2, 4
	s_addc_u32 s3, s3, 0
	s_add_u32 s0, s8, s0
	s_addc_u32 s1, s9, s1
	s_cmp_eq_u64 s[8:9], 0
	s_cselect_b32 s1, s3, s1
	s_cselect_b32 s0, s2, s0
	s_load_dword s0, s[0:1], 0x0
	v_sub_u16_e32 v7, v0, v2
	v_mov_b32_e32 v6, 0
	s_waitcnt lgkmcnt(0)
	s_cmp_ge_i32 s7, s0
	s_cbranch_scc1 .LBB343_12
; %bb.8:
	s_load_dwordx4 s[8:11], s[4:5], 0x30
	s_load_dwordx2 s[2:3], s[4:5], 0x40
	s_sub_i32 s4, s0, s18
	s_mov_b32 s0, 0xffff
	s_movk_i32 s1, 0x240
	v_and_b32_sdwa v1, s0, v1 dst_sel:DWORD dst_unused:UNUSED_PAD src0_sel:DWORD src1_sel:WORD_1
	v_subrev_u32_e32 v2, 24, v1
	v_cmp_gt_u32_e64 s[0:1], s1, v0
	s_sub_i32 s5, s7, s18
	v_cndmask_b32_e64 v1, v2, v1, s[0:1]
	s_mul_i32 s1, s5, 0x480
	s_mul_hi_i32 s0, s5, 0x480
	s_waitcnt lgkmcnt(0)
	s_add_u32 s1, s10, s1
	s_addc_u32 s0, s11, s0
	v_lshlrev_b32_e32 v2, 1, v0
	v_cndmask_b32_e32 v1, v7, v1, vcc
	v_mov_b32_e32 v3, s0
	v_add_co_u32_e32 v2, vcc, s1, v2
	v_addc_co_u32_e32 v3, vcc, 0, v3, vcc
	s_movk_i32 s0, 0x23f
	v_cmp_lt_u32_e32 vcc, s0, v0
	v_mov_b32_e32 v6, 0
	v_cndmask_b32_e64 v8, 0, 1, vcc
	s_branch .LBB343_10
.LBB343_9:                              ;   in Loop: Header=BB343_10 Depth=1
	s_or_b64 exec, exec, s[0:1]
	s_add_i32 s5, s5, 1
	s_cmp_lt_i32 s5, s4
	s_cbranch_scc0 .LBB343_12
.LBB343_10:                             ; =>This Inner Loop Header: Depth=1
	v_add_u32_e32 v4, s5, v8
	v_cmp_gt_i32_e32 vcc, s4, v4
	s_and_saveexec_b64 s[0:1], vcc
	s_cbranch_execz .LBB343_9
; %bb.11:                               ;   in Loop: Header=BB343_10 Depth=1
	v_ashrrev_i32_e32 v5, 31, v4
	v_lshlrev_b64 v[4:5], 2, v[4:5]
	v_mov_b32_e32 v9, s9
	v_add_co_u32_e32 v4, vcc, s8, v4
	v_addc_co_u32_e32 v5, vcc, v9, v5, vcc
	global_load_dword v4, v[4:5], off
	v_mov_b32_e32 v10, s3
	global_load_ushort v9, v[2:3], off
	s_waitcnt vmcnt(1)
	v_subrev_u32_e32 v4, s18, v4
	v_mad_u64_u32 v[4:5], s[10:11], v4, 24, v[1:2]
	v_ashrrev_i32_e32 v5, 31, v4
	v_lshlrev_b64 v[4:5], 1, v[4:5]
	v_add_co_u32_e32 v4, vcc, s2, v4
	v_addc_co_u32_e32 v5, vcc, v10, v5, vcc
	global_load_ushort v4, v[4:5], off
	v_add_co_u32_e32 v2, vcc, 0x480, v2
	s_waitcnt vmcnt(1)
	v_lshlrev_b32_e32 v5, 16, v9
	v_addc_co_u32_e32 v3, vcc, 0, v3, vcc
	s_waitcnt vmcnt(0)
	v_lshlrev_b32_e32 v4, 16, v4
	v_fmac_f32_e32 v6, v5, v4
	s_branch .LBB343_9
.LBB343_12:
	v_lshlrev_b32_e32 v1, 2, v0
	s_and_b64 vcc, exec, s[20:21]
	ds_write_b32 v1, v6
	s_waitcnt lgkmcnt(0)
	s_barrier
	s_cbranch_vccz .LBB343_24
; %bb.13:
	v_cmp_gt_u16_e32 vcc, 8, v7
	s_and_saveexec_b64 s[0:1], vcc
	s_cbranch_execz .LBB343_15
; %bb.14:
	ds_read2_b32 v[2:3], v1 offset1:16
	s_waitcnt lgkmcnt(0)
	v_add_f32_e32 v2, v3, v2
	ds_write_b32 v1, v2
.LBB343_15:
	s_or_b64 exec, exec, s[0:1]
	s_waitcnt lgkmcnt(0)
	s_barrier
	s_and_saveexec_b64 s[0:1], vcc
	s_cbranch_execz .LBB343_17
; %bb.16:
	ds_read2_b32 v[2:3], v1 offset1:8
	s_waitcnt lgkmcnt(0)
	v_add_f32_e32 v2, v3, v2
	ds_write_b32 v1, v2
.LBB343_17:
	s_or_b64 exec, exec, s[0:1]
	v_cmp_gt_u16_e32 vcc, 4, v7
	s_waitcnt lgkmcnt(0)
	s_barrier
	s_and_saveexec_b64 s[0:1], vcc
	s_cbranch_execz .LBB343_19
; %bb.18:
	ds_read2_b32 v[2:3], v1 offset1:4
	s_waitcnt lgkmcnt(0)
	v_add_f32_e32 v2, v3, v2
	ds_write_b32 v1, v2
.LBB343_19:
	s_or_b64 exec, exec, s[0:1]
	v_cmp_gt_u16_e32 vcc, 2, v7
	s_waitcnt lgkmcnt(0)
	s_barrier
	s_and_saveexec_b64 s[0:1], vcc
	s_cbranch_execz .LBB343_21
; %bb.20:
	ds_read2_b32 v[2:3], v1 offset1:2
	s_waitcnt lgkmcnt(0)
	v_add_f32_e32 v2, v3, v2
	ds_write_b32 v1, v2
.LBB343_21:
	s_or_b64 exec, exec, s[0:1]
	v_cmp_gt_u32_e32 vcc, 24, v0
	v_mov_b32_e32 v2, v6
	s_waitcnt lgkmcnt(0)
	s_barrier
	s_and_saveexec_b64 s[0:1], vcc
	s_cbranch_execz .LBB343_23
; %bb.22:
	s_movk_i32 s2, 0x5c
	v_mad_u32_u24 v2, v0, s2, v1
	ds_read_b64 v[2:3], v2
	s_waitcnt lgkmcnt(0)
	v_add_f32_e32 v2, v2, v3
.LBB343_23:
	s_or_b64 exec, exec, s[0:1]
	s_branch .LBB343_36
.LBB343_24:
                                        ; implicit-def: $vgpr2
	s_cbranch_execz .LBB343_36
; %bb.25:
	s_movk_i32 s0, 0xc0
	v_cmp_gt_u32_e32 vcc, s0, v0
	s_and_saveexec_b64 s[0:1], vcc
	s_cbranch_execz .LBB343_27
; %bb.26:
	ds_read2st64_b32 v[2:3], v1 offset1:6
	s_waitcnt lgkmcnt(0)
	v_add_f32_e32 v2, v3, v2
	ds_write_b32 v1, v2
.LBB343_27:
	s_or_b64 exec, exec, s[0:1]
	s_waitcnt lgkmcnt(0)
	s_barrier
	s_and_saveexec_b64 s[0:1], vcc
	s_cbranch_execz .LBB343_29
; %bb.28:
	ds_read2st64_b32 v[2:3], v1 offset1:3
	s_waitcnt lgkmcnt(0)
	v_add_f32_e32 v2, v3, v2
	ds_write_b32 v1, v2
.LBB343_29:
	s_or_b64 exec, exec, s[0:1]
	s_movk_i32 s0, 0x60
	v_cmp_gt_u32_e32 vcc, s0, v0
	s_waitcnt lgkmcnt(0)
	s_barrier
	s_and_saveexec_b64 s[0:1], vcc
	s_cbranch_execz .LBB343_31
; %bb.30:
	ds_read2_b32 v[2:3], v1 offset1:96
	s_waitcnt lgkmcnt(0)
	v_add_f32_e32 v2, v3, v2
	ds_write_b32 v1, v2
.LBB343_31:
	s_or_b64 exec, exec, s[0:1]
	v_cmp_gt_u32_e32 vcc, 48, v0
	s_waitcnt lgkmcnt(0)
	s_barrier
	s_and_saveexec_b64 s[0:1], vcc
	s_cbranch_execz .LBB343_33
; %bb.32:
	ds_read2_b32 v[2:3], v1 offset1:48
	s_waitcnt lgkmcnt(0)
	v_add_f32_e32 v2, v3, v2
	ds_write_b32 v1, v2
.LBB343_33:
	s_or_b64 exec, exec, s[0:1]
	v_cmp_gt_u32_e32 vcc, 24, v0
	s_waitcnt lgkmcnt(0)
	s_and_saveexec_b64 s[0:1], vcc
	s_cbranch_execz .LBB343_35
; %bb.34:
	ds_read2_b32 v[1:2], v1 offset1:24
	s_waitcnt lgkmcnt(0)
	v_add_f32_e32 v6, v1, v2
.LBB343_35:
	s_or_b64 exec, exec, s[0:1]
	v_mov_b32_e32 v2, v6
.LBB343_36:
	v_cmp_gt_u32_e32 vcc, 24, v0
	s_and_saveexec_b64 s[0:1], vcc
	s_cbranch_execz .LBB343_40
; %bb.37:
	v_cmp_eq_f32_e64 s[0:1], s12, 0
	s_and_b64 vcc, exec, s[0:1]
	v_mul_f32_e32 v1, s14, v2
	s_cbranch_vccz .LBB343_41
; %bb.38:
	v_mad_u64_u32 v[2:3], s[0:1], s6, 24, v[0:1]
	v_mov_b32_e32 v3, 0
	v_mov_b32_e32 v4, s17
	v_lshlrev_b64 v[2:3], 2, v[2:3]
	v_add_co_u32_e32 v2, vcc, s16, v2
	v_addc_co_u32_e32 v3, vcc, v4, v3, vcc
	global_store_dword v[2:3], v1, off
	s_cbranch_execnz .LBB343_40
.LBB343_39:
	v_mad_u64_u32 v[2:3], s[0:1], s6, 24, v[0:1]
	v_mov_b32_e32 v3, 0
	v_mov_b32_e32 v0, s17
	v_lshlrev_b64 v[2:3], 2, v[2:3]
	v_add_co_u32_e32 v2, vcc, s16, v2
	v_addc_co_u32_e32 v3, vcc, v0, v3, vcc
	global_load_dword v0, v[2:3], off
	s_waitcnt vmcnt(0)
	v_fmac_f32_e32 v1, s12, v0
	global_store_dword v[2:3], v1, off
.LBB343_40:
	s_endpgm
.LBB343_41:
	s_branch .LBB343_39
	.section	.rodata,"a",@progbits
	.p2align	6, 0x0
	.amdhsa_kernel _ZN9rocsparseL20bsrxmvn_17_32_kernelILj24Efii18rocsparse_bfloat16S1_fEEvT2_20rocsparse_direction_NS_24const_host_device_scalarIT0_EES2_PKS2_PKT1_SB_S8_PKT3_PKT4_S6_PT5_21rocsparse_index_base_b
		.amdhsa_group_segment_fixed_size 2304
		.amdhsa_private_segment_fixed_size 0
		.amdhsa_kernarg_size 96
		.amdhsa_user_sgpr_count 6
		.amdhsa_user_sgpr_private_segment_buffer 1
		.amdhsa_user_sgpr_dispatch_ptr 0
		.amdhsa_user_sgpr_queue_ptr 0
		.amdhsa_user_sgpr_kernarg_segment_ptr 1
		.amdhsa_user_sgpr_dispatch_id 0
		.amdhsa_user_sgpr_flat_scratch_init 0
		.amdhsa_user_sgpr_private_segment_size 0
		.amdhsa_uses_dynamic_stack 0
		.amdhsa_system_sgpr_private_segment_wavefront_offset 0
		.amdhsa_system_sgpr_workgroup_id_x 1
		.amdhsa_system_sgpr_workgroup_id_y 0
		.amdhsa_system_sgpr_workgroup_id_z 0
		.amdhsa_system_sgpr_workgroup_info 0
		.amdhsa_system_vgpr_workitem_id 0
		.amdhsa_next_free_vgpr 25
		.amdhsa_next_free_sgpr 61
		.amdhsa_reserve_vcc 1
		.amdhsa_reserve_flat_scratch 0
		.amdhsa_float_round_mode_32 0
		.amdhsa_float_round_mode_16_64 0
		.amdhsa_float_denorm_mode_32 3
		.amdhsa_float_denorm_mode_16_64 3
		.amdhsa_dx10_clamp 1
		.amdhsa_ieee_mode 1
		.amdhsa_fp16_overflow 0
		.amdhsa_exception_fp_ieee_invalid_op 0
		.amdhsa_exception_fp_denorm_src 0
		.amdhsa_exception_fp_ieee_div_zero 0
		.amdhsa_exception_fp_ieee_overflow 0
		.amdhsa_exception_fp_ieee_underflow 0
		.amdhsa_exception_fp_ieee_inexact 0
		.amdhsa_exception_int_div_zero 0
	.end_amdhsa_kernel
	.section	.text._ZN9rocsparseL20bsrxmvn_17_32_kernelILj24Efii18rocsparse_bfloat16S1_fEEvT2_20rocsparse_direction_NS_24const_host_device_scalarIT0_EES2_PKS2_PKT1_SB_S8_PKT3_PKT4_S6_PT5_21rocsparse_index_base_b,"axG",@progbits,_ZN9rocsparseL20bsrxmvn_17_32_kernelILj24Efii18rocsparse_bfloat16S1_fEEvT2_20rocsparse_direction_NS_24const_host_device_scalarIT0_EES2_PKS2_PKT1_SB_S8_PKT3_PKT4_S6_PT5_21rocsparse_index_base_b,comdat
.Lfunc_end343:
	.size	_ZN9rocsparseL20bsrxmvn_17_32_kernelILj24Efii18rocsparse_bfloat16S1_fEEvT2_20rocsparse_direction_NS_24const_host_device_scalarIT0_EES2_PKS2_PKT1_SB_S8_PKT3_PKT4_S6_PT5_21rocsparse_index_base_b, .Lfunc_end343-_ZN9rocsparseL20bsrxmvn_17_32_kernelILj24Efii18rocsparse_bfloat16S1_fEEvT2_20rocsparse_direction_NS_24const_host_device_scalarIT0_EES2_PKS2_PKT1_SB_S8_PKT3_PKT4_S6_PT5_21rocsparse_index_base_b
                                        ; -- End function
	.set _ZN9rocsparseL20bsrxmvn_17_32_kernelILj24Efii18rocsparse_bfloat16S1_fEEvT2_20rocsparse_direction_NS_24const_host_device_scalarIT0_EES2_PKS2_PKT1_SB_S8_PKT3_PKT4_S6_PT5_21rocsparse_index_base_b.num_vgpr, 11
	.set _ZN9rocsparseL20bsrxmvn_17_32_kernelILj24Efii18rocsparse_bfloat16S1_fEEvT2_20rocsparse_direction_NS_24const_host_device_scalarIT0_EES2_PKS2_PKT1_SB_S8_PKT3_PKT4_S6_PT5_21rocsparse_index_base_b.num_agpr, 0
	.set _ZN9rocsparseL20bsrxmvn_17_32_kernelILj24Efii18rocsparse_bfloat16S1_fEEvT2_20rocsparse_direction_NS_24const_host_device_scalarIT0_EES2_PKS2_PKT1_SB_S8_PKT3_PKT4_S6_PT5_21rocsparse_index_base_b.numbered_sgpr, 22
	.set _ZN9rocsparseL20bsrxmvn_17_32_kernelILj24Efii18rocsparse_bfloat16S1_fEEvT2_20rocsparse_direction_NS_24const_host_device_scalarIT0_EES2_PKS2_PKT1_SB_S8_PKT3_PKT4_S6_PT5_21rocsparse_index_base_b.num_named_barrier, 0
	.set _ZN9rocsparseL20bsrxmvn_17_32_kernelILj24Efii18rocsparse_bfloat16S1_fEEvT2_20rocsparse_direction_NS_24const_host_device_scalarIT0_EES2_PKS2_PKT1_SB_S8_PKT3_PKT4_S6_PT5_21rocsparse_index_base_b.private_seg_size, 0
	.set _ZN9rocsparseL20bsrxmvn_17_32_kernelILj24Efii18rocsparse_bfloat16S1_fEEvT2_20rocsparse_direction_NS_24const_host_device_scalarIT0_EES2_PKS2_PKT1_SB_S8_PKT3_PKT4_S6_PT5_21rocsparse_index_base_b.uses_vcc, 1
	.set _ZN9rocsparseL20bsrxmvn_17_32_kernelILj24Efii18rocsparse_bfloat16S1_fEEvT2_20rocsparse_direction_NS_24const_host_device_scalarIT0_EES2_PKS2_PKT1_SB_S8_PKT3_PKT4_S6_PT5_21rocsparse_index_base_b.uses_flat_scratch, 0
	.set _ZN9rocsparseL20bsrxmvn_17_32_kernelILj24Efii18rocsparse_bfloat16S1_fEEvT2_20rocsparse_direction_NS_24const_host_device_scalarIT0_EES2_PKS2_PKT1_SB_S8_PKT3_PKT4_S6_PT5_21rocsparse_index_base_b.has_dyn_sized_stack, 0
	.set _ZN9rocsparseL20bsrxmvn_17_32_kernelILj24Efii18rocsparse_bfloat16S1_fEEvT2_20rocsparse_direction_NS_24const_host_device_scalarIT0_EES2_PKS2_PKT1_SB_S8_PKT3_PKT4_S6_PT5_21rocsparse_index_base_b.has_recursion, 0
	.set _ZN9rocsparseL20bsrxmvn_17_32_kernelILj24Efii18rocsparse_bfloat16S1_fEEvT2_20rocsparse_direction_NS_24const_host_device_scalarIT0_EES2_PKS2_PKT1_SB_S8_PKT3_PKT4_S6_PT5_21rocsparse_index_base_b.has_indirect_call, 0
	.section	.AMDGPU.csdata,"",@progbits
; Kernel info:
; codeLenInByte = 1232
; TotalNumSgprs: 26
; NumVgprs: 11
; ScratchSize: 0
; MemoryBound: 0
; FloatMode: 240
; IeeeMode: 1
; LDSByteSize: 2304 bytes/workgroup (compile time only)
; SGPRBlocks: 8
; VGPRBlocks: 6
; NumSGPRsForWavesPerEU: 65
; NumVGPRsForWavesPerEU: 25
; Occupancy: 9
; WaveLimiterHint : 1
; COMPUTE_PGM_RSRC2:SCRATCH_EN: 0
; COMPUTE_PGM_RSRC2:USER_SGPR: 6
; COMPUTE_PGM_RSRC2:TRAP_HANDLER: 0
; COMPUTE_PGM_RSRC2:TGID_X_EN: 1
; COMPUTE_PGM_RSRC2:TGID_Y_EN: 0
; COMPUTE_PGM_RSRC2:TGID_Z_EN: 0
; COMPUTE_PGM_RSRC2:TIDIG_COMP_CNT: 0
	.section	.text._ZN9rocsparseL20bsrxmvn_17_32_kernelILj25Efii18rocsparse_bfloat16S1_fEEvT2_20rocsparse_direction_NS_24const_host_device_scalarIT0_EES2_PKS2_PKT1_SB_S8_PKT3_PKT4_S6_PT5_21rocsparse_index_base_b,"axG",@progbits,_ZN9rocsparseL20bsrxmvn_17_32_kernelILj25Efii18rocsparse_bfloat16S1_fEEvT2_20rocsparse_direction_NS_24const_host_device_scalarIT0_EES2_PKS2_PKT1_SB_S8_PKT3_PKT4_S6_PT5_21rocsparse_index_base_b,comdat
	.globl	_ZN9rocsparseL20bsrxmvn_17_32_kernelILj25Efii18rocsparse_bfloat16S1_fEEvT2_20rocsparse_direction_NS_24const_host_device_scalarIT0_EES2_PKS2_PKT1_SB_S8_PKT3_PKT4_S6_PT5_21rocsparse_index_base_b ; -- Begin function _ZN9rocsparseL20bsrxmvn_17_32_kernelILj25Efii18rocsparse_bfloat16S1_fEEvT2_20rocsparse_direction_NS_24const_host_device_scalarIT0_EES2_PKS2_PKT1_SB_S8_PKT3_PKT4_S6_PT5_21rocsparse_index_base_b
	.p2align	8
	.type	_ZN9rocsparseL20bsrxmvn_17_32_kernelILj25Efii18rocsparse_bfloat16S1_fEEvT2_20rocsparse_direction_NS_24const_host_device_scalarIT0_EES2_PKS2_PKT1_SB_S8_PKT3_PKT4_S6_PT5_21rocsparse_index_base_b,@function
_ZN9rocsparseL20bsrxmvn_17_32_kernelILj25Efii18rocsparse_bfloat16S1_fEEvT2_20rocsparse_direction_NS_24const_host_device_scalarIT0_EES2_PKS2_PKT1_SB_S8_PKT3_PKT4_S6_PT5_21rocsparse_index_base_b: ; @_ZN9rocsparseL20bsrxmvn_17_32_kernelILj25Efii18rocsparse_bfloat16S1_fEEvT2_20rocsparse_direction_NS_24const_host_device_scalarIT0_EES2_PKS2_PKT1_SB_S8_PKT3_PKT4_S6_PT5_21rocsparse_index_base_b
; %bb.0:
	s_load_dwordx2 s[18:19], s[4:5], 0x58
	s_load_dwordx2 s[14:15], s[4:5], 0x8
	;; [unrolled: 1-line block ×3, first 2 shown]
	s_waitcnt lgkmcnt(0)
	s_bitcmp1_b32 s19, 0
	s_cselect_b64 s[2:3], -1, 0
	s_xor_b64 s[0:1], s[2:3], -1
	s_and_b64 vcc, exec, s[2:3]
	s_cbranch_vccnz .LBB344_2
; %bb.1:
	s_load_dword s14, s[14:15], 0x0
.LBB344_2:
	s_andn2_b64 vcc, exec, s[0:1]
	s_cbranch_vccnz .LBB344_4
; %bb.3:
	s_load_dword s12, s[12:13], 0x0
.LBB344_4:
	s_waitcnt lgkmcnt(0)
	v_cmp_neq_f32_e64 s[0:1], s14, 0
	v_cmp_neq_f32_e64 s[2:3], s12, 1.0
	s_or_b64 s[0:1], s[0:1], s[2:3]
	s_andn2_b64 vcc, exec, s[0:1]
	s_cbranch_vccnz .LBB344_40
; %bb.5:
	s_load_dwordx4 s[0:3], s[4:5], 0x18
	s_load_dwordx2 s[8:9], s[4:5], 0x28
	s_waitcnt lgkmcnt(0)
	s_cmp_eq_u64 s[0:1], 0
	s_cbranch_scc1 .LBB344_7
; %bb.6:
	s_ashr_i32 s7, s6, 31
	s_lshl_b64 s[6:7], s[6:7], 2
	s_add_u32 s0, s0, s6
	s_addc_u32 s1, s1, s7
	s_load_dword s0, s[0:1], 0x0
	s_waitcnt lgkmcnt(0)
	s_sub_i32 s6, s0, s18
.LBB344_7:
	s_load_dword s0, s[4:5], 0x4
	s_load_dwordx2 s[16:17], s[4:5], 0x50
	v_mul_u32_u24_e32 v1, 0xa3e, v0
	v_mov_b32_e32 v2, 25
	v_mul_lo_u16_sdwa v2, v1, v2 dst_sel:DWORD dst_unused:UNUSED_PAD src0_sel:WORD_1 src1_sel:DWORD
	s_waitcnt lgkmcnt(0)
	s_cmp_eq_u32 s0, 1
	s_cselect_b64 vcc, -1, 0
	s_cmp_lg_u32 s0, 1
	s_cselect_b64 s[20:21], -1, 0
	s_ashr_i32 s7, s6, 31
	s_lshl_b64 s[0:1], s[6:7], 2
	s_add_u32 s2, s2, s0
	s_addc_u32 s3, s3, s1
	s_load_dword s7, s[2:3], 0x0
	s_add_u32 s2, s2, 4
	s_addc_u32 s3, s3, 0
	s_add_u32 s0, s8, s0
	s_addc_u32 s1, s9, s1
	s_cmp_eq_u64 s[8:9], 0
	s_cselect_b32 s1, s3, s1
	s_cselect_b32 s0, s2, s0
	s_load_dword s0, s[0:1], 0x0
	v_sub_u16_e32 v7, v0, v2
	v_mov_b32_e32 v6, 0
	s_waitcnt lgkmcnt(0)
	s_cmp_ge_i32 s7, s0
	s_cbranch_scc1 .LBB344_12
; %bb.8:
	s_load_dwordx4 s[8:11], s[4:5], 0x30
	s_load_dwordx2 s[2:3], s[4:5], 0x40
	s_sub_i32 s4, s0, s18
	s_mov_b32 s0, 0xffff
	s_movk_i32 s1, 0x271
	v_and_b32_sdwa v1, s0, v1 dst_sel:DWORD dst_unused:UNUSED_PAD src0_sel:DWORD src1_sel:WORD_1
	v_subrev_u32_e32 v2, 25, v1
	v_cmp_gt_u32_e64 s[0:1], s1, v0
	s_sub_i32 s5, s7, s18
	v_cndmask_b32_e64 v1, v2, v1, s[0:1]
	s_mul_i32 s1, s5, 0x4e2
	s_mul_hi_i32 s0, s5, 0x4e2
	s_waitcnt lgkmcnt(0)
	s_add_u32 s1, s10, s1
	s_addc_u32 s0, s11, s0
	v_lshlrev_b32_e32 v2, 1, v0
	v_cndmask_b32_e32 v1, v7, v1, vcc
	v_mov_b32_e32 v3, s0
	v_add_co_u32_e32 v2, vcc, s1, v2
	v_addc_co_u32_e32 v3, vcc, 0, v3, vcc
	s_movk_i32 s0, 0x270
	v_cmp_lt_u32_e32 vcc, s0, v0
	v_mov_b32_e32 v6, 0
	v_cndmask_b32_e64 v8, 0, 1, vcc
	s_branch .LBB344_10
.LBB344_9:                              ;   in Loop: Header=BB344_10 Depth=1
	s_or_b64 exec, exec, s[0:1]
	s_add_i32 s5, s5, 1
	s_cmp_lt_i32 s5, s4
	s_cbranch_scc0 .LBB344_12
.LBB344_10:                             ; =>This Inner Loop Header: Depth=1
	v_add_u32_e32 v4, s5, v8
	v_cmp_gt_i32_e32 vcc, s4, v4
	s_and_saveexec_b64 s[0:1], vcc
	s_cbranch_execz .LBB344_9
; %bb.11:                               ;   in Loop: Header=BB344_10 Depth=1
	v_ashrrev_i32_e32 v5, 31, v4
	v_lshlrev_b64 v[4:5], 2, v[4:5]
	v_mov_b32_e32 v9, s9
	v_add_co_u32_e32 v4, vcc, s8, v4
	v_addc_co_u32_e32 v5, vcc, v9, v5, vcc
	global_load_dword v4, v[4:5], off
	v_mov_b32_e32 v10, s3
	global_load_ushort v9, v[2:3], off
	s_waitcnt vmcnt(1)
	v_subrev_u32_e32 v4, s18, v4
	v_mad_u64_u32 v[4:5], s[10:11], v4, 25, v[1:2]
	v_ashrrev_i32_e32 v5, 31, v4
	v_lshlrev_b64 v[4:5], 1, v[4:5]
	v_add_co_u32_e32 v4, vcc, s2, v4
	v_addc_co_u32_e32 v5, vcc, v10, v5, vcc
	global_load_ushort v4, v[4:5], off
	v_add_co_u32_e32 v2, vcc, 0x4e2, v2
	s_waitcnt vmcnt(1)
	v_lshlrev_b32_e32 v5, 16, v9
	v_addc_co_u32_e32 v3, vcc, 0, v3, vcc
	s_waitcnt vmcnt(0)
	v_lshlrev_b32_e32 v4, 16, v4
	v_fmac_f32_e32 v6, v5, v4
	s_branch .LBB344_9
.LBB344_12:
	v_lshlrev_b32_e32 v1, 2, v0
	s_and_b64 vcc, exec, s[20:21]
	ds_write_b32 v1, v6
	s_waitcnt lgkmcnt(0)
	s_barrier
	s_cbranch_vccz .LBB344_24
; %bb.13:
	v_cmp_gt_u16_e32 vcc, 9, v7
	s_and_saveexec_b64 s[0:1], vcc
	s_cbranch_execz .LBB344_15
; %bb.14:
	ds_read2_b32 v[2:3], v1 offset1:16
	s_waitcnt lgkmcnt(0)
	v_add_f32_e32 v2, v3, v2
	ds_write_b32 v1, v2
.LBB344_15:
	s_or_b64 exec, exec, s[0:1]
	v_cmp_gt_u16_e32 vcc, 8, v7
	s_waitcnt lgkmcnt(0)
	s_barrier
	s_and_saveexec_b64 s[0:1], vcc
	s_cbranch_execz .LBB344_17
; %bb.16:
	ds_read2_b32 v[2:3], v1 offset1:8
	s_waitcnt lgkmcnt(0)
	v_add_f32_e32 v2, v3, v2
	ds_write_b32 v1, v2
.LBB344_17:
	s_or_b64 exec, exec, s[0:1]
	v_cmp_gt_u16_e32 vcc, 4, v7
	s_waitcnt lgkmcnt(0)
	s_barrier
	;; [unrolled: 12-line block ×3, first 2 shown]
	s_and_saveexec_b64 s[0:1], vcc
	s_cbranch_execz .LBB344_21
; %bb.20:
	ds_read2_b32 v[2:3], v1 offset1:2
	s_waitcnt lgkmcnt(0)
	v_add_f32_e32 v2, v3, v2
	ds_write_b32 v1, v2
.LBB344_21:
	s_or_b64 exec, exec, s[0:1]
	v_cmp_gt_u32_e32 vcc, 25, v0
	v_mov_b32_e32 v2, v6
	s_waitcnt lgkmcnt(0)
	s_barrier
	s_and_saveexec_b64 s[0:1], vcc
	s_cbranch_execz .LBB344_23
; %bb.22:
	s_movk_i32 s2, 0x60
	v_mad_u32_u24 v2, v0, s2, v1
	ds_read2_b32 v[2:3], v2 offset1:1
	s_waitcnt lgkmcnt(0)
	v_add_f32_e32 v2, v2, v3
.LBB344_23:
	s_or_b64 exec, exec, s[0:1]
	s_branch .LBB344_36
.LBB344_24:
                                        ; implicit-def: $vgpr2
	s_cbranch_execz .LBB344_36
; %bb.25:
	s_movk_i32 s0, 0xe1
	v_cmp_gt_u32_e32 vcc, s0, v0
	s_and_saveexec_b64 s[0:1], vcc
	s_cbranch_execz .LBB344_27
; %bb.26:
	ds_read_b32 v2, v1 offset:1600
	ds_read_b32 v3, v1
	s_waitcnt lgkmcnt(0)
	v_add_f32_e32 v2, v2, v3
	ds_write_b32 v1, v2
.LBB344_27:
	s_or_b64 exec, exec, s[0:1]
	s_movk_i32 s0, 0xc8
	v_cmp_gt_u32_e32 vcc, s0, v0
	s_waitcnt lgkmcnt(0)
	s_barrier
	s_and_saveexec_b64 s[0:1], vcc
	s_cbranch_execz .LBB344_29
; %bb.28:
	ds_read2_b32 v[2:3], v1 offset1:200
	s_waitcnt lgkmcnt(0)
	v_add_f32_e32 v2, v3, v2
	ds_write_b32 v1, v2
.LBB344_29:
	s_or_b64 exec, exec, s[0:1]
	s_movk_i32 s0, 0x64
	v_cmp_gt_u32_e32 vcc, s0, v0
	s_waitcnt lgkmcnt(0)
	s_barrier
	s_and_saveexec_b64 s[0:1], vcc
	s_cbranch_execz .LBB344_31
; %bb.30:
	ds_read2_b32 v[2:3], v1 offset1:100
	s_waitcnt lgkmcnt(0)
	v_add_f32_e32 v2, v3, v2
	ds_write_b32 v1, v2
.LBB344_31:
	s_or_b64 exec, exec, s[0:1]
	v_cmp_gt_u32_e32 vcc, 50, v0
	s_waitcnt lgkmcnt(0)
	s_barrier
	s_and_saveexec_b64 s[0:1], vcc
	s_cbranch_execz .LBB344_33
; %bb.32:
	ds_read2_b32 v[2:3], v1 offset1:50
	s_waitcnt lgkmcnt(0)
	v_add_f32_e32 v2, v3, v2
	ds_write_b32 v1, v2
.LBB344_33:
	s_or_b64 exec, exec, s[0:1]
	v_cmp_gt_u32_e32 vcc, 25, v0
	s_waitcnt lgkmcnt(0)
	s_and_saveexec_b64 s[0:1], vcc
	s_cbranch_execz .LBB344_35
; %bb.34:
	ds_read2_b32 v[1:2], v1 offset1:25
	s_waitcnt lgkmcnt(0)
	v_add_f32_e32 v6, v1, v2
.LBB344_35:
	s_or_b64 exec, exec, s[0:1]
	v_mov_b32_e32 v2, v6
.LBB344_36:
	v_cmp_gt_u32_e32 vcc, 25, v0
	s_and_saveexec_b64 s[0:1], vcc
	s_cbranch_execz .LBB344_40
; %bb.37:
	v_cmp_eq_f32_e64 s[0:1], s12, 0
	s_and_b64 vcc, exec, s[0:1]
	v_mul_f32_e32 v1, s14, v2
	s_cbranch_vccz .LBB344_41
; %bb.38:
	v_mad_u64_u32 v[2:3], s[0:1], s6, 25, v[0:1]
	v_mov_b32_e32 v3, 0
	v_mov_b32_e32 v4, s17
	v_lshlrev_b64 v[2:3], 2, v[2:3]
	v_add_co_u32_e32 v2, vcc, s16, v2
	v_addc_co_u32_e32 v3, vcc, v4, v3, vcc
	global_store_dword v[2:3], v1, off
	s_cbranch_execnz .LBB344_40
.LBB344_39:
	v_mad_u64_u32 v[2:3], s[0:1], s6, 25, v[0:1]
	v_mov_b32_e32 v3, 0
	v_mov_b32_e32 v0, s17
	v_lshlrev_b64 v[2:3], 2, v[2:3]
	v_add_co_u32_e32 v2, vcc, s16, v2
	v_addc_co_u32_e32 v3, vcc, v0, v3, vcc
	global_load_dword v0, v[2:3], off
	s_waitcnt vmcnt(0)
	v_fmac_f32_e32 v1, s12, v0
	global_store_dword v[2:3], v1, off
.LBB344_40:
	s_endpgm
.LBB344_41:
	s_branch .LBB344_39
	.section	.rodata,"a",@progbits
	.p2align	6, 0x0
	.amdhsa_kernel _ZN9rocsparseL20bsrxmvn_17_32_kernelILj25Efii18rocsparse_bfloat16S1_fEEvT2_20rocsparse_direction_NS_24const_host_device_scalarIT0_EES2_PKS2_PKT1_SB_S8_PKT3_PKT4_S6_PT5_21rocsparse_index_base_b
		.amdhsa_group_segment_fixed_size 2500
		.amdhsa_private_segment_fixed_size 0
		.amdhsa_kernarg_size 96
		.amdhsa_user_sgpr_count 6
		.amdhsa_user_sgpr_private_segment_buffer 1
		.amdhsa_user_sgpr_dispatch_ptr 0
		.amdhsa_user_sgpr_queue_ptr 0
		.amdhsa_user_sgpr_kernarg_segment_ptr 1
		.amdhsa_user_sgpr_dispatch_id 0
		.amdhsa_user_sgpr_flat_scratch_init 0
		.amdhsa_user_sgpr_private_segment_size 0
		.amdhsa_uses_dynamic_stack 0
		.amdhsa_system_sgpr_private_segment_wavefront_offset 0
		.amdhsa_system_sgpr_workgroup_id_x 1
		.amdhsa_system_sgpr_workgroup_id_y 0
		.amdhsa_system_sgpr_workgroup_id_z 0
		.amdhsa_system_sgpr_workgroup_info 0
		.amdhsa_system_vgpr_workitem_id 0
		.amdhsa_next_free_vgpr 11
		.amdhsa_next_free_sgpr 22
		.amdhsa_reserve_vcc 1
		.amdhsa_reserve_flat_scratch 0
		.amdhsa_float_round_mode_32 0
		.amdhsa_float_round_mode_16_64 0
		.amdhsa_float_denorm_mode_32 3
		.amdhsa_float_denorm_mode_16_64 3
		.amdhsa_dx10_clamp 1
		.amdhsa_ieee_mode 1
		.amdhsa_fp16_overflow 0
		.amdhsa_exception_fp_ieee_invalid_op 0
		.amdhsa_exception_fp_denorm_src 0
		.amdhsa_exception_fp_ieee_div_zero 0
		.amdhsa_exception_fp_ieee_overflow 0
		.amdhsa_exception_fp_ieee_underflow 0
		.amdhsa_exception_fp_ieee_inexact 0
		.amdhsa_exception_int_div_zero 0
	.end_amdhsa_kernel
	.section	.text._ZN9rocsparseL20bsrxmvn_17_32_kernelILj25Efii18rocsparse_bfloat16S1_fEEvT2_20rocsparse_direction_NS_24const_host_device_scalarIT0_EES2_PKS2_PKT1_SB_S8_PKT3_PKT4_S6_PT5_21rocsparse_index_base_b,"axG",@progbits,_ZN9rocsparseL20bsrxmvn_17_32_kernelILj25Efii18rocsparse_bfloat16S1_fEEvT2_20rocsparse_direction_NS_24const_host_device_scalarIT0_EES2_PKS2_PKT1_SB_S8_PKT3_PKT4_S6_PT5_21rocsparse_index_base_b,comdat
.Lfunc_end344:
	.size	_ZN9rocsparseL20bsrxmvn_17_32_kernelILj25Efii18rocsparse_bfloat16S1_fEEvT2_20rocsparse_direction_NS_24const_host_device_scalarIT0_EES2_PKS2_PKT1_SB_S8_PKT3_PKT4_S6_PT5_21rocsparse_index_base_b, .Lfunc_end344-_ZN9rocsparseL20bsrxmvn_17_32_kernelILj25Efii18rocsparse_bfloat16S1_fEEvT2_20rocsparse_direction_NS_24const_host_device_scalarIT0_EES2_PKS2_PKT1_SB_S8_PKT3_PKT4_S6_PT5_21rocsparse_index_base_b
                                        ; -- End function
	.set _ZN9rocsparseL20bsrxmvn_17_32_kernelILj25Efii18rocsparse_bfloat16S1_fEEvT2_20rocsparse_direction_NS_24const_host_device_scalarIT0_EES2_PKS2_PKT1_SB_S8_PKT3_PKT4_S6_PT5_21rocsparse_index_base_b.num_vgpr, 11
	.set _ZN9rocsparseL20bsrxmvn_17_32_kernelILj25Efii18rocsparse_bfloat16S1_fEEvT2_20rocsparse_direction_NS_24const_host_device_scalarIT0_EES2_PKS2_PKT1_SB_S8_PKT3_PKT4_S6_PT5_21rocsparse_index_base_b.num_agpr, 0
	.set _ZN9rocsparseL20bsrxmvn_17_32_kernelILj25Efii18rocsparse_bfloat16S1_fEEvT2_20rocsparse_direction_NS_24const_host_device_scalarIT0_EES2_PKS2_PKT1_SB_S8_PKT3_PKT4_S6_PT5_21rocsparse_index_base_b.numbered_sgpr, 22
	.set _ZN9rocsparseL20bsrxmvn_17_32_kernelILj25Efii18rocsparse_bfloat16S1_fEEvT2_20rocsparse_direction_NS_24const_host_device_scalarIT0_EES2_PKS2_PKT1_SB_S8_PKT3_PKT4_S6_PT5_21rocsparse_index_base_b.num_named_barrier, 0
	.set _ZN9rocsparseL20bsrxmvn_17_32_kernelILj25Efii18rocsparse_bfloat16S1_fEEvT2_20rocsparse_direction_NS_24const_host_device_scalarIT0_EES2_PKS2_PKT1_SB_S8_PKT3_PKT4_S6_PT5_21rocsparse_index_base_b.private_seg_size, 0
	.set _ZN9rocsparseL20bsrxmvn_17_32_kernelILj25Efii18rocsparse_bfloat16S1_fEEvT2_20rocsparse_direction_NS_24const_host_device_scalarIT0_EES2_PKS2_PKT1_SB_S8_PKT3_PKT4_S6_PT5_21rocsparse_index_base_b.uses_vcc, 1
	.set _ZN9rocsparseL20bsrxmvn_17_32_kernelILj25Efii18rocsparse_bfloat16S1_fEEvT2_20rocsparse_direction_NS_24const_host_device_scalarIT0_EES2_PKS2_PKT1_SB_S8_PKT3_PKT4_S6_PT5_21rocsparse_index_base_b.uses_flat_scratch, 0
	.set _ZN9rocsparseL20bsrxmvn_17_32_kernelILj25Efii18rocsparse_bfloat16S1_fEEvT2_20rocsparse_direction_NS_24const_host_device_scalarIT0_EES2_PKS2_PKT1_SB_S8_PKT3_PKT4_S6_PT5_21rocsparse_index_base_b.has_dyn_sized_stack, 0
	.set _ZN9rocsparseL20bsrxmvn_17_32_kernelILj25Efii18rocsparse_bfloat16S1_fEEvT2_20rocsparse_direction_NS_24const_host_device_scalarIT0_EES2_PKS2_PKT1_SB_S8_PKT3_PKT4_S6_PT5_21rocsparse_index_base_b.has_recursion, 0
	.set _ZN9rocsparseL20bsrxmvn_17_32_kernelILj25Efii18rocsparse_bfloat16S1_fEEvT2_20rocsparse_direction_NS_24const_host_device_scalarIT0_EES2_PKS2_PKT1_SB_S8_PKT3_PKT4_S6_PT5_21rocsparse_index_base_b.has_indirect_call, 0
	.section	.AMDGPU.csdata,"",@progbits
; Kernel info:
; codeLenInByte = 1252
; TotalNumSgprs: 26
; NumVgprs: 11
; ScratchSize: 0
; MemoryBound: 0
; FloatMode: 240
; IeeeMode: 1
; LDSByteSize: 2500 bytes/workgroup (compile time only)
; SGPRBlocks: 3
; VGPRBlocks: 2
; NumSGPRsForWavesPerEU: 26
; NumVGPRsForWavesPerEU: 11
; Occupancy: 10
; WaveLimiterHint : 1
; COMPUTE_PGM_RSRC2:SCRATCH_EN: 0
; COMPUTE_PGM_RSRC2:USER_SGPR: 6
; COMPUTE_PGM_RSRC2:TRAP_HANDLER: 0
; COMPUTE_PGM_RSRC2:TGID_X_EN: 1
; COMPUTE_PGM_RSRC2:TGID_Y_EN: 0
; COMPUTE_PGM_RSRC2:TGID_Z_EN: 0
; COMPUTE_PGM_RSRC2:TIDIG_COMP_CNT: 0
	.section	.text._ZN9rocsparseL20bsrxmvn_17_32_kernelILj26Efii18rocsparse_bfloat16S1_fEEvT2_20rocsparse_direction_NS_24const_host_device_scalarIT0_EES2_PKS2_PKT1_SB_S8_PKT3_PKT4_S6_PT5_21rocsparse_index_base_b,"axG",@progbits,_ZN9rocsparseL20bsrxmvn_17_32_kernelILj26Efii18rocsparse_bfloat16S1_fEEvT2_20rocsparse_direction_NS_24const_host_device_scalarIT0_EES2_PKS2_PKT1_SB_S8_PKT3_PKT4_S6_PT5_21rocsparse_index_base_b,comdat
	.globl	_ZN9rocsparseL20bsrxmvn_17_32_kernelILj26Efii18rocsparse_bfloat16S1_fEEvT2_20rocsparse_direction_NS_24const_host_device_scalarIT0_EES2_PKS2_PKT1_SB_S8_PKT3_PKT4_S6_PT5_21rocsparse_index_base_b ; -- Begin function _ZN9rocsparseL20bsrxmvn_17_32_kernelILj26Efii18rocsparse_bfloat16S1_fEEvT2_20rocsparse_direction_NS_24const_host_device_scalarIT0_EES2_PKS2_PKT1_SB_S8_PKT3_PKT4_S6_PT5_21rocsparse_index_base_b
	.p2align	8
	.type	_ZN9rocsparseL20bsrxmvn_17_32_kernelILj26Efii18rocsparse_bfloat16S1_fEEvT2_20rocsparse_direction_NS_24const_host_device_scalarIT0_EES2_PKS2_PKT1_SB_S8_PKT3_PKT4_S6_PT5_21rocsparse_index_base_b,@function
_ZN9rocsparseL20bsrxmvn_17_32_kernelILj26Efii18rocsparse_bfloat16S1_fEEvT2_20rocsparse_direction_NS_24const_host_device_scalarIT0_EES2_PKS2_PKT1_SB_S8_PKT3_PKT4_S6_PT5_21rocsparse_index_base_b: ; @_ZN9rocsparseL20bsrxmvn_17_32_kernelILj26Efii18rocsparse_bfloat16S1_fEEvT2_20rocsparse_direction_NS_24const_host_device_scalarIT0_EES2_PKS2_PKT1_SB_S8_PKT3_PKT4_S6_PT5_21rocsparse_index_base_b
; %bb.0:
	s_load_dwordx2 s[18:19], s[4:5], 0x58
	s_load_dwordx2 s[14:15], s[4:5], 0x8
	;; [unrolled: 1-line block ×3, first 2 shown]
	s_waitcnt lgkmcnt(0)
	s_bitcmp1_b32 s19, 0
	s_cselect_b64 s[2:3], -1, 0
	s_xor_b64 s[0:1], s[2:3], -1
	s_and_b64 vcc, exec, s[2:3]
	s_cbranch_vccnz .LBB345_2
; %bb.1:
	s_load_dword s14, s[14:15], 0x0
.LBB345_2:
	s_andn2_b64 vcc, exec, s[0:1]
	s_cbranch_vccnz .LBB345_4
; %bb.3:
	s_load_dword s12, s[12:13], 0x0
.LBB345_4:
	s_waitcnt lgkmcnt(0)
	v_cmp_neq_f32_e64 s[0:1], s14, 0
	v_cmp_neq_f32_e64 s[2:3], s12, 1.0
	s_or_b64 s[0:1], s[0:1], s[2:3]
	s_andn2_b64 vcc, exec, s[0:1]
	s_cbranch_vccnz .LBB345_40
; %bb.5:
	s_load_dwordx4 s[0:3], s[4:5], 0x18
	s_load_dwordx2 s[8:9], s[4:5], 0x28
	s_waitcnt lgkmcnt(0)
	s_cmp_eq_u64 s[0:1], 0
	s_cbranch_scc1 .LBB345_7
; %bb.6:
	s_ashr_i32 s7, s6, 31
	s_lshl_b64 s[6:7], s[6:7], 2
	s_add_u32 s0, s0, s6
	s_addc_u32 s1, s1, s7
	s_load_dword s0, s[0:1], 0x0
	s_waitcnt lgkmcnt(0)
	s_sub_i32 s6, s0, s18
.LBB345_7:
	s_load_dword s0, s[4:5], 0x4
	s_load_dwordx2 s[16:17], s[4:5], 0x50
	v_mul_u32_u24_e32 v1, 0x9d9, v0
	v_mov_b32_e32 v2, 26
	v_mul_lo_u16_sdwa v2, v1, v2 dst_sel:DWORD dst_unused:UNUSED_PAD src0_sel:WORD_1 src1_sel:DWORD
	s_waitcnt lgkmcnt(0)
	s_cmp_eq_u32 s0, 1
	s_cselect_b64 vcc, -1, 0
	s_cmp_lg_u32 s0, 1
	s_cselect_b64 s[20:21], -1, 0
	s_ashr_i32 s7, s6, 31
	s_lshl_b64 s[0:1], s[6:7], 2
	s_add_u32 s2, s2, s0
	s_addc_u32 s3, s3, s1
	s_load_dword s7, s[2:3], 0x0
	s_add_u32 s2, s2, 4
	s_addc_u32 s3, s3, 0
	s_add_u32 s0, s8, s0
	s_addc_u32 s1, s9, s1
	s_cmp_eq_u64 s[8:9], 0
	s_cselect_b32 s1, s3, s1
	s_cselect_b32 s0, s2, s0
	s_load_dword s0, s[0:1], 0x0
	v_sub_u16_e32 v7, v0, v2
	v_mov_b32_e32 v6, 0
	s_waitcnt lgkmcnt(0)
	s_cmp_ge_i32 s7, s0
	s_cbranch_scc1 .LBB345_12
; %bb.8:
	s_load_dwordx4 s[8:11], s[4:5], 0x30
	s_load_dwordx2 s[2:3], s[4:5], 0x40
	s_sub_i32 s4, s0, s18
	s_mov_b32 s0, 0xffff
	s_movk_i32 s1, 0x2a4
	v_and_b32_sdwa v1, s0, v1 dst_sel:DWORD dst_unused:UNUSED_PAD src0_sel:DWORD src1_sel:WORD_1
	v_subrev_u32_e32 v2, 26, v1
	v_cmp_gt_u32_e64 s[0:1], s1, v0
	s_sub_i32 s5, s7, s18
	v_cndmask_b32_e64 v1, v2, v1, s[0:1]
	s_mul_i32 s1, s5, 0x548
	s_mul_hi_i32 s0, s5, 0x548
	s_waitcnt lgkmcnt(0)
	s_add_u32 s1, s10, s1
	s_addc_u32 s0, s11, s0
	v_lshlrev_b32_e32 v2, 1, v0
	v_cndmask_b32_e32 v1, v7, v1, vcc
	v_mov_b32_e32 v3, s0
	v_add_co_u32_e32 v2, vcc, s1, v2
	v_addc_co_u32_e32 v3, vcc, 0, v3, vcc
	s_movk_i32 s0, 0x2a3
	v_cmp_lt_u32_e32 vcc, s0, v0
	v_mov_b32_e32 v6, 0
	v_cndmask_b32_e64 v8, 0, 1, vcc
	s_branch .LBB345_10
.LBB345_9:                              ;   in Loop: Header=BB345_10 Depth=1
	s_or_b64 exec, exec, s[0:1]
	s_add_i32 s5, s5, 1
	s_cmp_lt_i32 s5, s4
	s_cbranch_scc0 .LBB345_12
.LBB345_10:                             ; =>This Inner Loop Header: Depth=1
	v_add_u32_e32 v4, s5, v8
	v_cmp_gt_i32_e32 vcc, s4, v4
	s_and_saveexec_b64 s[0:1], vcc
	s_cbranch_execz .LBB345_9
; %bb.11:                               ;   in Loop: Header=BB345_10 Depth=1
	v_ashrrev_i32_e32 v5, 31, v4
	v_lshlrev_b64 v[4:5], 2, v[4:5]
	v_mov_b32_e32 v9, s9
	v_add_co_u32_e32 v4, vcc, s8, v4
	v_addc_co_u32_e32 v5, vcc, v9, v5, vcc
	global_load_dword v4, v[4:5], off
	v_mov_b32_e32 v10, s3
	global_load_ushort v9, v[2:3], off
	s_waitcnt vmcnt(1)
	v_subrev_u32_e32 v4, s18, v4
	v_mad_u64_u32 v[4:5], s[10:11], v4, 26, v[1:2]
	v_ashrrev_i32_e32 v5, 31, v4
	v_lshlrev_b64 v[4:5], 1, v[4:5]
	v_add_co_u32_e32 v4, vcc, s2, v4
	v_addc_co_u32_e32 v5, vcc, v10, v5, vcc
	global_load_ushort v4, v[4:5], off
	v_add_co_u32_e32 v2, vcc, 0x548, v2
	s_waitcnt vmcnt(1)
	v_lshlrev_b32_e32 v5, 16, v9
	v_addc_co_u32_e32 v3, vcc, 0, v3, vcc
	s_waitcnt vmcnt(0)
	v_lshlrev_b32_e32 v4, 16, v4
	v_fmac_f32_e32 v6, v5, v4
	s_branch .LBB345_9
.LBB345_12:
	v_lshlrev_b32_e32 v1, 2, v0
	s_and_b64 vcc, exec, s[20:21]
	ds_write_b32 v1, v6
	s_waitcnt lgkmcnt(0)
	s_barrier
	s_cbranch_vccz .LBB345_24
; %bb.13:
	v_cmp_gt_u16_e32 vcc, 10, v7
	s_and_saveexec_b64 s[0:1], vcc
	s_cbranch_execz .LBB345_15
; %bb.14:
	ds_read2_b32 v[2:3], v1 offset1:16
	s_waitcnt lgkmcnt(0)
	v_add_f32_e32 v2, v3, v2
	ds_write_b32 v1, v2
.LBB345_15:
	s_or_b64 exec, exec, s[0:1]
	v_cmp_gt_u16_e32 vcc, 8, v7
	s_waitcnt lgkmcnt(0)
	s_barrier
	s_and_saveexec_b64 s[0:1], vcc
	s_cbranch_execz .LBB345_17
; %bb.16:
	ds_read2_b32 v[2:3], v1 offset1:8
	s_waitcnt lgkmcnt(0)
	v_add_f32_e32 v2, v3, v2
	ds_write_b32 v1, v2
.LBB345_17:
	s_or_b64 exec, exec, s[0:1]
	v_cmp_gt_u16_e32 vcc, 4, v7
	s_waitcnt lgkmcnt(0)
	s_barrier
	;; [unrolled: 12-line block ×3, first 2 shown]
	s_and_saveexec_b64 s[0:1], vcc
	s_cbranch_execz .LBB345_21
; %bb.20:
	ds_read2_b32 v[2:3], v1 offset1:2
	s_waitcnt lgkmcnt(0)
	v_add_f32_e32 v2, v3, v2
	ds_write_b32 v1, v2
.LBB345_21:
	s_or_b64 exec, exec, s[0:1]
	v_cmp_gt_u32_e32 vcc, 26, v0
	v_mov_b32_e32 v2, v6
	s_waitcnt lgkmcnt(0)
	s_barrier
	s_and_saveexec_b64 s[0:1], vcc
	s_cbranch_execz .LBB345_23
; %bb.22:
	s_movk_i32 s2, 0x64
	v_mad_u32_u24 v2, v0, s2, v1
	ds_read_b64 v[2:3], v2
	s_waitcnt lgkmcnt(0)
	v_add_f32_e32 v2, v2, v3
.LBB345_23:
	s_or_b64 exec, exec, s[0:1]
	s_branch .LBB345_36
.LBB345_24:
                                        ; implicit-def: $vgpr2
	s_cbranch_execz .LBB345_36
; %bb.25:
	s_movk_i32 s0, 0x104
	v_cmp_gt_u32_e32 vcc, s0, v0
	s_and_saveexec_b64 s[0:1], vcc
	s_cbranch_execz .LBB345_27
; %bb.26:
	ds_read_b32 v2, v1 offset:1664
	ds_read_b32 v3, v1
	s_waitcnt lgkmcnt(0)
	v_add_f32_e32 v2, v2, v3
	ds_write_b32 v1, v2
.LBB345_27:
	s_or_b64 exec, exec, s[0:1]
	s_movk_i32 s0, 0xd0
	v_cmp_gt_u32_e32 vcc, s0, v0
	s_waitcnt lgkmcnt(0)
	s_barrier
	s_and_saveexec_b64 s[0:1], vcc
	s_cbranch_execz .LBB345_29
; %bb.28:
	ds_read2_b32 v[2:3], v1 offset1:208
	s_waitcnt lgkmcnt(0)
	v_add_f32_e32 v2, v3, v2
	ds_write_b32 v1, v2
.LBB345_29:
	s_or_b64 exec, exec, s[0:1]
	s_movk_i32 s0, 0x68
	v_cmp_gt_u32_e32 vcc, s0, v0
	s_waitcnt lgkmcnt(0)
	s_barrier
	s_and_saveexec_b64 s[0:1], vcc
	s_cbranch_execz .LBB345_31
; %bb.30:
	ds_read2_b32 v[2:3], v1 offset1:104
	s_waitcnt lgkmcnt(0)
	v_add_f32_e32 v2, v3, v2
	ds_write_b32 v1, v2
.LBB345_31:
	s_or_b64 exec, exec, s[0:1]
	v_cmp_gt_u32_e32 vcc, 52, v0
	s_waitcnt lgkmcnt(0)
	s_barrier
	s_and_saveexec_b64 s[0:1], vcc
	s_cbranch_execz .LBB345_33
; %bb.32:
	ds_read2_b32 v[2:3], v1 offset1:52
	s_waitcnt lgkmcnt(0)
	v_add_f32_e32 v2, v3, v2
	ds_write_b32 v1, v2
.LBB345_33:
	s_or_b64 exec, exec, s[0:1]
	v_cmp_gt_u32_e32 vcc, 26, v0
	s_waitcnt lgkmcnt(0)
	s_and_saveexec_b64 s[0:1], vcc
	s_cbranch_execz .LBB345_35
; %bb.34:
	ds_read2_b32 v[1:2], v1 offset1:26
	s_waitcnt lgkmcnt(0)
	v_add_f32_e32 v6, v1, v2
.LBB345_35:
	s_or_b64 exec, exec, s[0:1]
	v_mov_b32_e32 v2, v6
.LBB345_36:
	v_cmp_gt_u32_e32 vcc, 26, v0
	s_and_saveexec_b64 s[0:1], vcc
	s_cbranch_execz .LBB345_40
; %bb.37:
	v_cmp_eq_f32_e64 s[0:1], s12, 0
	s_and_b64 vcc, exec, s[0:1]
	v_mul_f32_e32 v1, s14, v2
	s_cbranch_vccz .LBB345_41
; %bb.38:
	v_mad_u64_u32 v[2:3], s[0:1], s6, 26, v[0:1]
	v_mov_b32_e32 v3, 0
	v_mov_b32_e32 v4, s17
	v_lshlrev_b64 v[2:3], 2, v[2:3]
	v_add_co_u32_e32 v2, vcc, s16, v2
	v_addc_co_u32_e32 v3, vcc, v4, v3, vcc
	global_store_dword v[2:3], v1, off
	s_cbranch_execnz .LBB345_40
.LBB345_39:
	v_mad_u64_u32 v[2:3], s[0:1], s6, 26, v[0:1]
	v_mov_b32_e32 v3, 0
	v_mov_b32_e32 v0, s17
	v_lshlrev_b64 v[2:3], 2, v[2:3]
	v_add_co_u32_e32 v2, vcc, s16, v2
	v_addc_co_u32_e32 v3, vcc, v0, v3, vcc
	global_load_dword v0, v[2:3], off
	s_waitcnt vmcnt(0)
	v_fmac_f32_e32 v1, s12, v0
	global_store_dword v[2:3], v1, off
.LBB345_40:
	s_endpgm
.LBB345_41:
	s_branch .LBB345_39
	.section	.rodata,"a",@progbits
	.p2align	6, 0x0
	.amdhsa_kernel _ZN9rocsparseL20bsrxmvn_17_32_kernelILj26Efii18rocsparse_bfloat16S1_fEEvT2_20rocsparse_direction_NS_24const_host_device_scalarIT0_EES2_PKS2_PKT1_SB_S8_PKT3_PKT4_S6_PT5_21rocsparse_index_base_b
		.amdhsa_group_segment_fixed_size 2704
		.amdhsa_private_segment_fixed_size 0
		.amdhsa_kernarg_size 96
		.amdhsa_user_sgpr_count 6
		.amdhsa_user_sgpr_private_segment_buffer 1
		.amdhsa_user_sgpr_dispatch_ptr 0
		.amdhsa_user_sgpr_queue_ptr 0
		.amdhsa_user_sgpr_kernarg_segment_ptr 1
		.amdhsa_user_sgpr_dispatch_id 0
		.amdhsa_user_sgpr_flat_scratch_init 0
		.amdhsa_user_sgpr_private_segment_size 0
		.amdhsa_uses_dynamic_stack 0
		.amdhsa_system_sgpr_private_segment_wavefront_offset 0
		.amdhsa_system_sgpr_workgroup_id_x 1
		.amdhsa_system_sgpr_workgroup_id_y 0
		.amdhsa_system_sgpr_workgroup_id_z 0
		.amdhsa_system_sgpr_workgroup_info 0
		.amdhsa_system_vgpr_workitem_id 0
		.amdhsa_next_free_vgpr 25
		.amdhsa_next_free_sgpr 61
		.amdhsa_reserve_vcc 1
		.amdhsa_reserve_flat_scratch 0
		.amdhsa_float_round_mode_32 0
		.amdhsa_float_round_mode_16_64 0
		.amdhsa_float_denorm_mode_32 3
		.amdhsa_float_denorm_mode_16_64 3
		.amdhsa_dx10_clamp 1
		.amdhsa_ieee_mode 1
		.amdhsa_fp16_overflow 0
		.amdhsa_exception_fp_ieee_invalid_op 0
		.amdhsa_exception_fp_denorm_src 0
		.amdhsa_exception_fp_ieee_div_zero 0
		.amdhsa_exception_fp_ieee_overflow 0
		.amdhsa_exception_fp_ieee_underflow 0
		.amdhsa_exception_fp_ieee_inexact 0
		.amdhsa_exception_int_div_zero 0
	.end_amdhsa_kernel
	.section	.text._ZN9rocsparseL20bsrxmvn_17_32_kernelILj26Efii18rocsparse_bfloat16S1_fEEvT2_20rocsparse_direction_NS_24const_host_device_scalarIT0_EES2_PKS2_PKT1_SB_S8_PKT3_PKT4_S6_PT5_21rocsparse_index_base_b,"axG",@progbits,_ZN9rocsparseL20bsrxmvn_17_32_kernelILj26Efii18rocsparse_bfloat16S1_fEEvT2_20rocsparse_direction_NS_24const_host_device_scalarIT0_EES2_PKS2_PKT1_SB_S8_PKT3_PKT4_S6_PT5_21rocsparse_index_base_b,comdat
.Lfunc_end345:
	.size	_ZN9rocsparseL20bsrxmvn_17_32_kernelILj26Efii18rocsparse_bfloat16S1_fEEvT2_20rocsparse_direction_NS_24const_host_device_scalarIT0_EES2_PKS2_PKT1_SB_S8_PKT3_PKT4_S6_PT5_21rocsparse_index_base_b, .Lfunc_end345-_ZN9rocsparseL20bsrxmvn_17_32_kernelILj26Efii18rocsparse_bfloat16S1_fEEvT2_20rocsparse_direction_NS_24const_host_device_scalarIT0_EES2_PKS2_PKT1_SB_S8_PKT3_PKT4_S6_PT5_21rocsparse_index_base_b
                                        ; -- End function
	.set _ZN9rocsparseL20bsrxmvn_17_32_kernelILj26Efii18rocsparse_bfloat16S1_fEEvT2_20rocsparse_direction_NS_24const_host_device_scalarIT0_EES2_PKS2_PKT1_SB_S8_PKT3_PKT4_S6_PT5_21rocsparse_index_base_b.num_vgpr, 11
	.set _ZN9rocsparseL20bsrxmvn_17_32_kernelILj26Efii18rocsparse_bfloat16S1_fEEvT2_20rocsparse_direction_NS_24const_host_device_scalarIT0_EES2_PKS2_PKT1_SB_S8_PKT3_PKT4_S6_PT5_21rocsparse_index_base_b.num_agpr, 0
	.set _ZN9rocsparseL20bsrxmvn_17_32_kernelILj26Efii18rocsparse_bfloat16S1_fEEvT2_20rocsparse_direction_NS_24const_host_device_scalarIT0_EES2_PKS2_PKT1_SB_S8_PKT3_PKT4_S6_PT5_21rocsparse_index_base_b.numbered_sgpr, 22
	.set _ZN9rocsparseL20bsrxmvn_17_32_kernelILj26Efii18rocsparse_bfloat16S1_fEEvT2_20rocsparse_direction_NS_24const_host_device_scalarIT0_EES2_PKS2_PKT1_SB_S8_PKT3_PKT4_S6_PT5_21rocsparse_index_base_b.num_named_barrier, 0
	.set _ZN9rocsparseL20bsrxmvn_17_32_kernelILj26Efii18rocsparse_bfloat16S1_fEEvT2_20rocsparse_direction_NS_24const_host_device_scalarIT0_EES2_PKS2_PKT1_SB_S8_PKT3_PKT4_S6_PT5_21rocsparse_index_base_b.private_seg_size, 0
	.set _ZN9rocsparseL20bsrxmvn_17_32_kernelILj26Efii18rocsparse_bfloat16S1_fEEvT2_20rocsparse_direction_NS_24const_host_device_scalarIT0_EES2_PKS2_PKT1_SB_S8_PKT3_PKT4_S6_PT5_21rocsparse_index_base_b.uses_vcc, 1
	.set _ZN9rocsparseL20bsrxmvn_17_32_kernelILj26Efii18rocsparse_bfloat16S1_fEEvT2_20rocsparse_direction_NS_24const_host_device_scalarIT0_EES2_PKS2_PKT1_SB_S8_PKT3_PKT4_S6_PT5_21rocsparse_index_base_b.uses_flat_scratch, 0
	.set _ZN9rocsparseL20bsrxmvn_17_32_kernelILj26Efii18rocsparse_bfloat16S1_fEEvT2_20rocsparse_direction_NS_24const_host_device_scalarIT0_EES2_PKS2_PKT1_SB_S8_PKT3_PKT4_S6_PT5_21rocsparse_index_base_b.has_dyn_sized_stack, 0
	.set _ZN9rocsparseL20bsrxmvn_17_32_kernelILj26Efii18rocsparse_bfloat16S1_fEEvT2_20rocsparse_direction_NS_24const_host_device_scalarIT0_EES2_PKS2_PKT1_SB_S8_PKT3_PKT4_S6_PT5_21rocsparse_index_base_b.has_recursion, 0
	.set _ZN9rocsparseL20bsrxmvn_17_32_kernelILj26Efii18rocsparse_bfloat16S1_fEEvT2_20rocsparse_direction_NS_24const_host_device_scalarIT0_EES2_PKS2_PKT1_SB_S8_PKT3_PKT4_S6_PT5_21rocsparse_index_base_b.has_indirect_call, 0
	.section	.AMDGPU.csdata,"",@progbits
; Kernel info:
; codeLenInByte = 1252
; TotalNumSgprs: 26
; NumVgprs: 11
; ScratchSize: 0
; MemoryBound: 0
; FloatMode: 240
; IeeeMode: 1
; LDSByteSize: 2704 bytes/workgroup (compile time only)
; SGPRBlocks: 8
; VGPRBlocks: 6
; NumSGPRsForWavesPerEU: 65
; NumVGPRsForWavesPerEU: 25
; Occupancy: 9
; WaveLimiterHint : 1
; COMPUTE_PGM_RSRC2:SCRATCH_EN: 0
; COMPUTE_PGM_RSRC2:USER_SGPR: 6
; COMPUTE_PGM_RSRC2:TRAP_HANDLER: 0
; COMPUTE_PGM_RSRC2:TGID_X_EN: 1
; COMPUTE_PGM_RSRC2:TGID_Y_EN: 0
; COMPUTE_PGM_RSRC2:TGID_Z_EN: 0
; COMPUTE_PGM_RSRC2:TIDIG_COMP_CNT: 0
	.section	.text._ZN9rocsparseL20bsrxmvn_17_32_kernelILj27Efii18rocsparse_bfloat16S1_fEEvT2_20rocsparse_direction_NS_24const_host_device_scalarIT0_EES2_PKS2_PKT1_SB_S8_PKT3_PKT4_S6_PT5_21rocsparse_index_base_b,"axG",@progbits,_ZN9rocsparseL20bsrxmvn_17_32_kernelILj27Efii18rocsparse_bfloat16S1_fEEvT2_20rocsparse_direction_NS_24const_host_device_scalarIT0_EES2_PKS2_PKT1_SB_S8_PKT3_PKT4_S6_PT5_21rocsparse_index_base_b,comdat
	.globl	_ZN9rocsparseL20bsrxmvn_17_32_kernelILj27Efii18rocsparse_bfloat16S1_fEEvT2_20rocsparse_direction_NS_24const_host_device_scalarIT0_EES2_PKS2_PKT1_SB_S8_PKT3_PKT4_S6_PT5_21rocsparse_index_base_b ; -- Begin function _ZN9rocsparseL20bsrxmvn_17_32_kernelILj27Efii18rocsparse_bfloat16S1_fEEvT2_20rocsparse_direction_NS_24const_host_device_scalarIT0_EES2_PKS2_PKT1_SB_S8_PKT3_PKT4_S6_PT5_21rocsparse_index_base_b
	.p2align	8
	.type	_ZN9rocsparseL20bsrxmvn_17_32_kernelILj27Efii18rocsparse_bfloat16S1_fEEvT2_20rocsparse_direction_NS_24const_host_device_scalarIT0_EES2_PKS2_PKT1_SB_S8_PKT3_PKT4_S6_PT5_21rocsparse_index_base_b,@function
_ZN9rocsparseL20bsrxmvn_17_32_kernelILj27Efii18rocsparse_bfloat16S1_fEEvT2_20rocsparse_direction_NS_24const_host_device_scalarIT0_EES2_PKS2_PKT1_SB_S8_PKT3_PKT4_S6_PT5_21rocsparse_index_base_b: ; @_ZN9rocsparseL20bsrxmvn_17_32_kernelILj27Efii18rocsparse_bfloat16S1_fEEvT2_20rocsparse_direction_NS_24const_host_device_scalarIT0_EES2_PKS2_PKT1_SB_S8_PKT3_PKT4_S6_PT5_21rocsparse_index_base_b
; %bb.0:
	s_load_dwordx2 s[18:19], s[4:5], 0x58
	s_load_dwordx2 s[14:15], s[4:5], 0x8
	s_load_dwordx2 s[12:13], s[4:5], 0x48
	s_waitcnt lgkmcnt(0)
	s_bitcmp1_b32 s19, 0
	s_cselect_b64 s[2:3], -1, 0
	s_xor_b64 s[0:1], s[2:3], -1
	s_and_b64 vcc, exec, s[2:3]
	s_cbranch_vccnz .LBB346_2
; %bb.1:
	s_load_dword s14, s[14:15], 0x0
.LBB346_2:
	s_andn2_b64 vcc, exec, s[0:1]
	s_cbranch_vccnz .LBB346_4
; %bb.3:
	s_load_dword s12, s[12:13], 0x0
.LBB346_4:
	s_waitcnt lgkmcnt(0)
	v_cmp_neq_f32_e64 s[0:1], s14, 0
	v_cmp_neq_f32_e64 s[2:3], s12, 1.0
	s_or_b64 s[0:1], s[0:1], s[2:3]
	s_andn2_b64 vcc, exec, s[0:1]
	s_cbranch_vccnz .LBB346_40
; %bb.5:
	s_load_dwordx4 s[0:3], s[4:5], 0x18
	s_load_dwordx2 s[8:9], s[4:5], 0x28
	s_waitcnt lgkmcnt(0)
	s_cmp_eq_u64 s[0:1], 0
	s_cbranch_scc1 .LBB346_7
; %bb.6:
	s_ashr_i32 s7, s6, 31
	s_lshl_b64 s[6:7], s[6:7], 2
	s_add_u32 s0, s0, s6
	s_addc_u32 s1, s1, s7
	s_load_dword s0, s[0:1], 0x0
	s_waitcnt lgkmcnt(0)
	s_sub_i32 s6, s0, s18
.LBB346_7:
	s_load_dword s0, s[4:5], 0x4
	s_load_dwordx2 s[16:17], s[4:5], 0x50
	v_mul_u32_u24_e32 v1, 0x97c, v0
	v_mov_b32_e32 v2, 27
	v_mul_lo_u16_sdwa v2, v1, v2 dst_sel:DWORD dst_unused:UNUSED_PAD src0_sel:WORD_1 src1_sel:DWORD
	s_waitcnt lgkmcnt(0)
	s_cmp_eq_u32 s0, 1
	s_cselect_b64 vcc, -1, 0
	s_cmp_lg_u32 s0, 1
	s_cselect_b64 s[20:21], -1, 0
	s_ashr_i32 s7, s6, 31
	s_lshl_b64 s[0:1], s[6:7], 2
	s_add_u32 s2, s2, s0
	s_addc_u32 s3, s3, s1
	s_load_dword s7, s[2:3], 0x0
	s_add_u32 s2, s2, 4
	s_addc_u32 s3, s3, 0
	s_add_u32 s0, s8, s0
	s_addc_u32 s1, s9, s1
	s_cmp_eq_u64 s[8:9], 0
	s_cselect_b32 s1, s3, s1
	s_cselect_b32 s0, s2, s0
	s_load_dword s0, s[0:1], 0x0
	v_sub_u16_e32 v7, v0, v2
	v_mov_b32_e32 v6, 0
	s_waitcnt lgkmcnt(0)
	s_cmp_ge_i32 s7, s0
	s_cbranch_scc1 .LBB346_12
; %bb.8:
	s_load_dwordx4 s[8:11], s[4:5], 0x30
	s_load_dwordx2 s[2:3], s[4:5], 0x40
	s_sub_i32 s4, s0, s18
	s_mov_b32 s0, 0xffff
	s_movk_i32 s1, 0x2d9
	v_and_b32_sdwa v1, s0, v1 dst_sel:DWORD dst_unused:UNUSED_PAD src0_sel:DWORD src1_sel:WORD_1
	v_subrev_u32_e32 v2, 27, v1
	v_cmp_gt_u32_e64 s[0:1], s1, v0
	s_sub_i32 s5, s7, s18
	v_cndmask_b32_e64 v1, v2, v1, s[0:1]
	s_mul_i32 s1, s5, 0x5b2
	s_mul_hi_i32 s0, s5, 0x5b2
	s_waitcnt lgkmcnt(0)
	s_add_u32 s1, s10, s1
	s_addc_u32 s0, s11, s0
	v_lshlrev_b32_e32 v2, 1, v0
	v_cndmask_b32_e32 v1, v7, v1, vcc
	v_mov_b32_e32 v3, s0
	v_add_co_u32_e32 v2, vcc, s1, v2
	v_addc_co_u32_e32 v3, vcc, 0, v3, vcc
	s_movk_i32 s0, 0x2d8
	v_cmp_lt_u32_e32 vcc, s0, v0
	v_mov_b32_e32 v6, 0
	v_cndmask_b32_e64 v8, 0, 1, vcc
	s_branch .LBB346_10
.LBB346_9:                              ;   in Loop: Header=BB346_10 Depth=1
	s_or_b64 exec, exec, s[0:1]
	s_add_i32 s5, s5, 1
	s_cmp_lt_i32 s5, s4
	s_cbranch_scc0 .LBB346_12
.LBB346_10:                             ; =>This Inner Loop Header: Depth=1
	v_add_u32_e32 v4, s5, v8
	v_cmp_gt_i32_e32 vcc, s4, v4
	s_and_saveexec_b64 s[0:1], vcc
	s_cbranch_execz .LBB346_9
; %bb.11:                               ;   in Loop: Header=BB346_10 Depth=1
	v_ashrrev_i32_e32 v5, 31, v4
	v_lshlrev_b64 v[4:5], 2, v[4:5]
	v_mov_b32_e32 v9, s9
	v_add_co_u32_e32 v4, vcc, s8, v4
	v_addc_co_u32_e32 v5, vcc, v9, v5, vcc
	global_load_dword v4, v[4:5], off
	v_mov_b32_e32 v10, s3
	global_load_ushort v9, v[2:3], off
	s_waitcnt vmcnt(1)
	v_subrev_u32_e32 v4, s18, v4
	v_mad_u64_u32 v[4:5], s[10:11], v4, 27, v[1:2]
	v_ashrrev_i32_e32 v5, 31, v4
	v_lshlrev_b64 v[4:5], 1, v[4:5]
	v_add_co_u32_e32 v4, vcc, s2, v4
	v_addc_co_u32_e32 v5, vcc, v10, v5, vcc
	global_load_ushort v4, v[4:5], off
	v_add_co_u32_e32 v2, vcc, 0x5b2, v2
	s_waitcnt vmcnt(1)
	v_lshlrev_b32_e32 v5, 16, v9
	v_addc_co_u32_e32 v3, vcc, 0, v3, vcc
	s_waitcnt vmcnt(0)
	v_lshlrev_b32_e32 v4, 16, v4
	v_fmac_f32_e32 v6, v5, v4
	s_branch .LBB346_9
.LBB346_12:
	v_lshlrev_b32_e32 v1, 2, v0
	s_and_b64 vcc, exec, s[20:21]
	ds_write_b32 v1, v6
	s_waitcnt lgkmcnt(0)
	s_barrier
	s_cbranch_vccz .LBB346_24
; %bb.13:
	v_cmp_gt_u16_e32 vcc, 11, v7
	s_and_saveexec_b64 s[0:1], vcc
	s_cbranch_execz .LBB346_15
; %bb.14:
	ds_read2_b32 v[2:3], v1 offset1:16
	s_waitcnt lgkmcnt(0)
	v_add_f32_e32 v2, v3, v2
	ds_write_b32 v1, v2
.LBB346_15:
	s_or_b64 exec, exec, s[0:1]
	v_cmp_gt_u16_e32 vcc, 8, v7
	s_waitcnt lgkmcnt(0)
	s_barrier
	s_and_saveexec_b64 s[0:1], vcc
	s_cbranch_execz .LBB346_17
; %bb.16:
	ds_read2_b32 v[2:3], v1 offset1:8
	s_waitcnt lgkmcnt(0)
	v_add_f32_e32 v2, v3, v2
	ds_write_b32 v1, v2
.LBB346_17:
	s_or_b64 exec, exec, s[0:1]
	v_cmp_gt_u16_e32 vcc, 4, v7
	s_waitcnt lgkmcnt(0)
	s_barrier
	;; [unrolled: 12-line block ×3, first 2 shown]
	s_and_saveexec_b64 s[0:1], vcc
	s_cbranch_execz .LBB346_21
; %bb.20:
	ds_read2_b32 v[2:3], v1 offset1:2
	s_waitcnt lgkmcnt(0)
	v_add_f32_e32 v2, v3, v2
	ds_write_b32 v1, v2
.LBB346_21:
	s_or_b64 exec, exec, s[0:1]
	v_cmp_gt_u32_e32 vcc, 27, v0
	v_mov_b32_e32 v2, v6
	s_waitcnt lgkmcnt(0)
	s_barrier
	s_and_saveexec_b64 s[0:1], vcc
	s_cbranch_execz .LBB346_23
; %bb.22:
	s_movk_i32 s2, 0x68
	v_mad_u32_u24 v2, v0, s2, v1
	ds_read2_b32 v[2:3], v2 offset1:1
	s_waitcnt lgkmcnt(0)
	v_add_f32_e32 v2, v2, v3
.LBB346_23:
	s_or_b64 exec, exec, s[0:1]
	s_branch .LBB346_36
.LBB346_24:
                                        ; implicit-def: $vgpr2
	s_cbranch_execz .LBB346_36
; %bb.25:
	s_movk_i32 s0, 0x129
	v_cmp_gt_u32_e32 vcc, s0, v0
	s_and_saveexec_b64 s[0:1], vcc
	s_cbranch_execz .LBB346_27
; %bb.26:
	ds_read_b32 v2, v1 offset:1728
	ds_read_b32 v3, v1
	s_waitcnt lgkmcnt(0)
	v_add_f32_e32 v2, v2, v3
	ds_write_b32 v1, v2
.LBB346_27:
	s_or_b64 exec, exec, s[0:1]
	s_movk_i32 s0, 0xd8
	v_cmp_gt_u32_e32 vcc, s0, v0
	s_waitcnt lgkmcnt(0)
	s_barrier
	s_and_saveexec_b64 s[0:1], vcc
	s_cbranch_execz .LBB346_29
; %bb.28:
	ds_read2_b32 v[2:3], v1 offset1:216
	s_waitcnt lgkmcnt(0)
	v_add_f32_e32 v2, v3, v2
	ds_write_b32 v1, v2
.LBB346_29:
	s_or_b64 exec, exec, s[0:1]
	s_movk_i32 s0, 0x6c
	v_cmp_gt_u32_e32 vcc, s0, v0
	s_waitcnt lgkmcnt(0)
	s_barrier
	s_and_saveexec_b64 s[0:1], vcc
	s_cbranch_execz .LBB346_31
; %bb.30:
	ds_read2_b32 v[2:3], v1 offset1:108
	s_waitcnt lgkmcnt(0)
	v_add_f32_e32 v2, v3, v2
	ds_write_b32 v1, v2
.LBB346_31:
	s_or_b64 exec, exec, s[0:1]
	v_cmp_gt_u32_e32 vcc, 54, v0
	s_waitcnt lgkmcnt(0)
	s_barrier
	s_and_saveexec_b64 s[0:1], vcc
	s_cbranch_execz .LBB346_33
; %bb.32:
	ds_read2_b32 v[2:3], v1 offset1:54
	s_waitcnt lgkmcnt(0)
	v_add_f32_e32 v2, v3, v2
	ds_write_b32 v1, v2
.LBB346_33:
	s_or_b64 exec, exec, s[0:1]
	v_cmp_gt_u32_e32 vcc, 27, v0
	s_waitcnt lgkmcnt(0)
	s_and_saveexec_b64 s[0:1], vcc
	s_cbranch_execz .LBB346_35
; %bb.34:
	ds_read2_b32 v[1:2], v1 offset1:27
	s_waitcnt lgkmcnt(0)
	v_add_f32_e32 v6, v1, v2
.LBB346_35:
	s_or_b64 exec, exec, s[0:1]
	v_mov_b32_e32 v2, v6
.LBB346_36:
	v_cmp_gt_u32_e32 vcc, 27, v0
	s_and_saveexec_b64 s[0:1], vcc
	s_cbranch_execz .LBB346_40
; %bb.37:
	v_cmp_eq_f32_e64 s[0:1], s12, 0
	s_and_b64 vcc, exec, s[0:1]
	v_mul_f32_e32 v1, s14, v2
	s_cbranch_vccz .LBB346_41
; %bb.38:
	v_mad_u64_u32 v[2:3], s[0:1], s6, 27, v[0:1]
	v_mov_b32_e32 v3, 0
	v_mov_b32_e32 v4, s17
	v_lshlrev_b64 v[2:3], 2, v[2:3]
	v_add_co_u32_e32 v2, vcc, s16, v2
	v_addc_co_u32_e32 v3, vcc, v4, v3, vcc
	global_store_dword v[2:3], v1, off
	s_cbranch_execnz .LBB346_40
.LBB346_39:
	v_mad_u64_u32 v[2:3], s[0:1], s6, 27, v[0:1]
	v_mov_b32_e32 v3, 0
	v_mov_b32_e32 v0, s17
	v_lshlrev_b64 v[2:3], 2, v[2:3]
	v_add_co_u32_e32 v2, vcc, s16, v2
	v_addc_co_u32_e32 v3, vcc, v0, v3, vcc
	global_load_dword v0, v[2:3], off
	s_waitcnt vmcnt(0)
	v_fmac_f32_e32 v1, s12, v0
	global_store_dword v[2:3], v1, off
.LBB346_40:
	s_endpgm
.LBB346_41:
	s_branch .LBB346_39
	.section	.rodata,"a",@progbits
	.p2align	6, 0x0
	.amdhsa_kernel _ZN9rocsparseL20bsrxmvn_17_32_kernelILj27Efii18rocsparse_bfloat16S1_fEEvT2_20rocsparse_direction_NS_24const_host_device_scalarIT0_EES2_PKS2_PKT1_SB_S8_PKT3_PKT4_S6_PT5_21rocsparse_index_base_b
		.amdhsa_group_segment_fixed_size 2916
		.amdhsa_private_segment_fixed_size 0
		.amdhsa_kernarg_size 96
		.amdhsa_user_sgpr_count 6
		.amdhsa_user_sgpr_private_segment_buffer 1
		.amdhsa_user_sgpr_dispatch_ptr 0
		.amdhsa_user_sgpr_queue_ptr 0
		.amdhsa_user_sgpr_kernarg_segment_ptr 1
		.amdhsa_user_sgpr_dispatch_id 0
		.amdhsa_user_sgpr_flat_scratch_init 0
		.amdhsa_user_sgpr_private_segment_size 0
		.amdhsa_uses_dynamic_stack 0
		.amdhsa_system_sgpr_private_segment_wavefront_offset 0
		.amdhsa_system_sgpr_workgroup_id_x 1
		.amdhsa_system_sgpr_workgroup_id_y 0
		.amdhsa_system_sgpr_workgroup_id_z 0
		.amdhsa_system_sgpr_workgroup_info 0
		.amdhsa_system_vgpr_workitem_id 0
		.amdhsa_next_free_vgpr 25
		.amdhsa_next_free_sgpr 61
		.amdhsa_reserve_vcc 1
		.amdhsa_reserve_flat_scratch 0
		.amdhsa_float_round_mode_32 0
		.amdhsa_float_round_mode_16_64 0
		.amdhsa_float_denorm_mode_32 3
		.amdhsa_float_denorm_mode_16_64 3
		.amdhsa_dx10_clamp 1
		.amdhsa_ieee_mode 1
		.amdhsa_fp16_overflow 0
		.amdhsa_exception_fp_ieee_invalid_op 0
		.amdhsa_exception_fp_denorm_src 0
		.amdhsa_exception_fp_ieee_div_zero 0
		.amdhsa_exception_fp_ieee_overflow 0
		.amdhsa_exception_fp_ieee_underflow 0
		.amdhsa_exception_fp_ieee_inexact 0
		.amdhsa_exception_int_div_zero 0
	.end_amdhsa_kernel
	.section	.text._ZN9rocsparseL20bsrxmvn_17_32_kernelILj27Efii18rocsparse_bfloat16S1_fEEvT2_20rocsparse_direction_NS_24const_host_device_scalarIT0_EES2_PKS2_PKT1_SB_S8_PKT3_PKT4_S6_PT5_21rocsparse_index_base_b,"axG",@progbits,_ZN9rocsparseL20bsrxmvn_17_32_kernelILj27Efii18rocsparse_bfloat16S1_fEEvT2_20rocsparse_direction_NS_24const_host_device_scalarIT0_EES2_PKS2_PKT1_SB_S8_PKT3_PKT4_S6_PT5_21rocsparse_index_base_b,comdat
.Lfunc_end346:
	.size	_ZN9rocsparseL20bsrxmvn_17_32_kernelILj27Efii18rocsparse_bfloat16S1_fEEvT2_20rocsparse_direction_NS_24const_host_device_scalarIT0_EES2_PKS2_PKT1_SB_S8_PKT3_PKT4_S6_PT5_21rocsparse_index_base_b, .Lfunc_end346-_ZN9rocsparseL20bsrxmvn_17_32_kernelILj27Efii18rocsparse_bfloat16S1_fEEvT2_20rocsparse_direction_NS_24const_host_device_scalarIT0_EES2_PKS2_PKT1_SB_S8_PKT3_PKT4_S6_PT5_21rocsparse_index_base_b
                                        ; -- End function
	.set _ZN9rocsparseL20bsrxmvn_17_32_kernelILj27Efii18rocsparse_bfloat16S1_fEEvT2_20rocsparse_direction_NS_24const_host_device_scalarIT0_EES2_PKS2_PKT1_SB_S8_PKT3_PKT4_S6_PT5_21rocsparse_index_base_b.num_vgpr, 11
	.set _ZN9rocsparseL20bsrxmvn_17_32_kernelILj27Efii18rocsparse_bfloat16S1_fEEvT2_20rocsparse_direction_NS_24const_host_device_scalarIT0_EES2_PKS2_PKT1_SB_S8_PKT3_PKT4_S6_PT5_21rocsparse_index_base_b.num_agpr, 0
	.set _ZN9rocsparseL20bsrxmvn_17_32_kernelILj27Efii18rocsparse_bfloat16S1_fEEvT2_20rocsparse_direction_NS_24const_host_device_scalarIT0_EES2_PKS2_PKT1_SB_S8_PKT3_PKT4_S6_PT5_21rocsparse_index_base_b.numbered_sgpr, 22
	.set _ZN9rocsparseL20bsrxmvn_17_32_kernelILj27Efii18rocsparse_bfloat16S1_fEEvT2_20rocsparse_direction_NS_24const_host_device_scalarIT0_EES2_PKS2_PKT1_SB_S8_PKT3_PKT4_S6_PT5_21rocsparse_index_base_b.num_named_barrier, 0
	.set _ZN9rocsparseL20bsrxmvn_17_32_kernelILj27Efii18rocsparse_bfloat16S1_fEEvT2_20rocsparse_direction_NS_24const_host_device_scalarIT0_EES2_PKS2_PKT1_SB_S8_PKT3_PKT4_S6_PT5_21rocsparse_index_base_b.private_seg_size, 0
	.set _ZN9rocsparseL20bsrxmvn_17_32_kernelILj27Efii18rocsparse_bfloat16S1_fEEvT2_20rocsparse_direction_NS_24const_host_device_scalarIT0_EES2_PKS2_PKT1_SB_S8_PKT3_PKT4_S6_PT5_21rocsparse_index_base_b.uses_vcc, 1
	.set _ZN9rocsparseL20bsrxmvn_17_32_kernelILj27Efii18rocsparse_bfloat16S1_fEEvT2_20rocsparse_direction_NS_24const_host_device_scalarIT0_EES2_PKS2_PKT1_SB_S8_PKT3_PKT4_S6_PT5_21rocsparse_index_base_b.uses_flat_scratch, 0
	.set _ZN9rocsparseL20bsrxmvn_17_32_kernelILj27Efii18rocsparse_bfloat16S1_fEEvT2_20rocsparse_direction_NS_24const_host_device_scalarIT0_EES2_PKS2_PKT1_SB_S8_PKT3_PKT4_S6_PT5_21rocsparse_index_base_b.has_dyn_sized_stack, 0
	.set _ZN9rocsparseL20bsrxmvn_17_32_kernelILj27Efii18rocsparse_bfloat16S1_fEEvT2_20rocsparse_direction_NS_24const_host_device_scalarIT0_EES2_PKS2_PKT1_SB_S8_PKT3_PKT4_S6_PT5_21rocsparse_index_base_b.has_recursion, 0
	.set _ZN9rocsparseL20bsrxmvn_17_32_kernelILj27Efii18rocsparse_bfloat16S1_fEEvT2_20rocsparse_direction_NS_24const_host_device_scalarIT0_EES2_PKS2_PKT1_SB_S8_PKT3_PKT4_S6_PT5_21rocsparse_index_base_b.has_indirect_call, 0
	.section	.AMDGPU.csdata,"",@progbits
; Kernel info:
; codeLenInByte = 1252
; TotalNumSgprs: 26
; NumVgprs: 11
; ScratchSize: 0
; MemoryBound: 0
; FloatMode: 240
; IeeeMode: 1
; LDSByteSize: 2916 bytes/workgroup (compile time only)
; SGPRBlocks: 8
; VGPRBlocks: 6
; NumSGPRsForWavesPerEU: 65
; NumVGPRsForWavesPerEU: 25
; Occupancy: 9
; WaveLimiterHint : 1
; COMPUTE_PGM_RSRC2:SCRATCH_EN: 0
; COMPUTE_PGM_RSRC2:USER_SGPR: 6
; COMPUTE_PGM_RSRC2:TRAP_HANDLER: 0
; COMPUTE_PGM_RSRC2:TGID_X_EN: 1
; COMPUTE_PGM_RSRC2:TGID_Y_EN: 0
; COMPUTE_PGM_RSRC2:TGID_Z_EN: 0
; COMPUTE_PGM_RSRC2:TIDIG_COMP_CNT: 0
	.section	.text._ZN9rocsparseL20bsrxmvn_17_32_kernelILj28Efii18rocsparse_bfloat16S1_fEEvT2_20rocsparse_direction_NS_24const_host_device_scalarIT0_EES2_PKS2_PKT1_SB_S8_PKT3_PKT4_S6_PT5_21rocsparse_index_base_b,"axG",@progbits,_ZN9rocsparseL20bsrxmvn_17_32_kernelILj28Efii18rocsparse_bfloat16S1_fEEvT2_20rocsparse_direction_NS_24const_host_device_scalarIT0_EES2_PKS2_PKT1_SB_S8_PKT3_PKT4_S6_PT5_21rocsparse_index_base_b,comdat
	.globl	_ZN9rocsparseL20bsrxmvn_17_32_kernelILj28Efii18rocsparse_bfloat16S1_fEEvT2_20rocsparse_direction_NS_24const_host_device_scalarIT0_EES2_PKS2_PKT1_SB_S8_PKT3_PKT4_S6_PT5_21rocsparse_index_base_b ; -- Begin function _ZN9rocsparseL20bsrxmvn_17_32_kernelILj28Efii18rocsparse_bfloat16S1_fEEvT2_20rocsparse_direction_NS_24const_host_device_scalarIT0_EES2_PKS2_PKT1_SB_S8_PKT3_PKT4_S6_PT5_21rocsparse_index_base_b
	.p2align	8
	.type	_ZN9rocsparseL20bsrxmvn_17_32_kernelILj28Efii18rocsparse_bfloat16S1_fEEvT2_20rocsparse_direction_NS_24const_host_device_scalarIT0_EES2_PKS2_PKT1_SB_S8_PKT3_PKT4_S6_PT5_21rocsparse_index_base_b,@function
_ZN9rocsparseL20bsrxmvn_17_32_kernelILj28Efii18rocsparse_bfloat16S1_fEEvT2_20rocsparse_direction_NS_24const_host_device_scalarIT0_EES2_PKS2_PKT1_SB_S8_PKT3_PKT4_S6_PT5_21rocsparse_index_base_b: ; @_ZN9rocsparseL20bsrxmvn_17_32_kernelILj28Efii18rocsparse_bfloat16S1_fEEvT2_20rocsparse_direction_NS_24const_host_device_scalarIT0_EES2_PKS2_PKT1_SB_S8_PKT3_PKT4_S6_PT5_21rocsparse_index_base_b
; %bb.0:
	s_load_dwordx2 s[18:19], s[4:5], 0x58
	s_load_dwordx2 s[14:15], s[4:5], 0x8
	;; [unrolled: 1-line block ×3, first 2 shown]
	s_waitcnt lgkmcnt(0)
	s_bitcmp1_b32 s19, 0
	s_cselect_b64 s[2:3], -1, 0
	s_xor_b64 s[0:1], s[2:3], -1
	s_and_b64 vcc, exec, s[2:3]
	s_cbranch_vccnz .LBB347_2
; %bb.1:
	s_load_dword s14, s[14:15], 0x0
.LBB347_2:
	s_andn2_b64 vcc, exec, s[0:1]
	s_cbranch_vccnz .LBB347_4
; %bb.3:
	s_load_dword s12, s[12:13], 0x0
.LBB347_4:
	s_waitcnt lgkmcnt(0)
	v_cmp_neq_f32_e64 s[0:1], s14, 0
	v_cmp_neq_f32_e64 s[2:3], s12, 1.0
	s_or_b64 s[0:1], s[0:1], s[2:3]
	s_andn2_b64 vcc, exec, s[0:1]
	s_cbranch_vccnz .LBB347_40
; %bb.5:
	s_load_dwordx4 s[0:3], s[4:5], 0x18
	s_load_dwordx2 s[8:9], s[4:5], 0x28
	s_waitcnt lgkmcnt(0)
	s_cmp_eq_u64 s[0:1], 0
	s_cbranch_scc1 .LBB347_7
; %bb.6:
	s_ashr_i32 s7, s6, 31
	s_lshl_b64 s[6:7], s[6:7], 2
	s_add_u32 s0, s0, s6
	s_addc_u32 s1, s1, s7
	s_load_dword s0, s[0:1], 0x0
	s_waitcnt lgkmcnt(0)
	s_sub_i32 s6, s0, s18
.LBB347_7:
	s_load_dword s0, s[4:5], 0x4
	s_load_dwordx2 s[16:17], s[4:5], 0x50
	v_mul_u32_u24_e32 v1, 0x925, v0
	v_mov_b32_e32 v2, 28
	v_mul_lo_u16_sdwa v2, v1, v2 dst_sel:DWORD dst_unused:UNUSED_PAD src0_sel:WORD_1 src1_sel:DWORD
	s_waitcnt lgkmcnt(0)
	s_cmp_eq_u32 s0, 1
	s_cselect_b64 vcc, -1, 0
	s_cmp_lg_u32 s0, 1
	s_cselect_b64 s[20:21], -1, 0
	s_ashr_i32 s7, s6, 31
	s_lshl_b64 s[0:1], s[6:7], 2
	s_add_u32 s2, s2, s0
	s_addc_u32 s3, s3, s1
	s_load_dword s7, s[2:3], 0x0
	s_add_u32 s2, s2, 4
	s_addc_u32 s3, s3, 0
	s_add_u32 s0, s8, s0
	s_addc_u32 s1, s9, s1
	s_cmp_eq_u64 s[8:9], 0
	s_cselect_b32 s1, s3, s1
	s_cselect_b32 s0, s2, s0
	s_load_dword s0, s[0:1], 0x0
	v_sub_u16_e32 v7, v0, v2
	v_mov_b32_e32 v6, 0
	s_waitcnt lgkmcnt(0)
	s_cmp_ge_i32 s7, s0
	s_cbranch_scc1 .LBB347_12
; %bb.8:
	s_load_dwordx4 s[8:11], s[4:5], 0x30
	s_load_dwordx2 s[2:3], s[4:5], 0x40
	s_sub_i32 s4, s0, s18
	s_mov_b32 s0, 0xffff
	s_movk_i32 s1, 0x310
	v_and_b32_sdwa v1, s0, v1 dst_sel:DWORD dst_unused:UNUSED_PAD src0_sel:DWORD src1_sel:WORD_1
	v_subrev_u32_e32 v2, 28, v1
	v_cmp_gt_u32_e64 s[0:1], s1, v0
	s_sub_i32 s5, s7, s18
	v_cndmask_b32_e64 v1, v2, v1, s[0:1]
	s_mul_i32 s1, s5, 0x620
	s_mul_hi_i32 s0, s5, 0x620
	s_waitcnt lgkmcnt(0)
	s_add_u32 s1, s10, s1
	s_addc_u32 s0, s11, s0
	v_lshlrev_b32_e32 v2, 1, v0
	v_cndmask_b32_e32 v1, v7, v1, vcc
	v_mov_b32_e32 v3, s0
	v_add_co_u32_e32 v2, vcc, s1, v2
	v_addc_co_u32_e32 v3, vcc, 0, v3, vcc
	s_movk_i32 s0, 0x30f
	v_cmp_lt_u32_e32 vcc, s0, v0
	v_mov_b32_e32 v6, 0
	v_cndmask_b32_e64 v8, 0, 1, vcc
	s_branch .LBB347_10
.LBB347_9:                              ;   in Loop: Header=BB347_10 Depth=1
	s_or_b64 exec, exec, s[0:1]
	s_add_i32 s5, s5, 1
	s_cmp_lt_i32 s5, s4
	s_cbranch_scc0 .LBB347_12
.LBB347_10:                             ; =>This Inner Loop Header: Depth=1
	v_add_u32_e32 v4, s5, v8
	v_cmp_gt_i32_e32 vcc, s4, v4
	s_and_saveexec_b64 s[0:1], vcc
	s_cbranch_execz .LBB347_9
; %bb.11:                               ;   in Loop: Header=BB347_10 Depth=1
	v_ashrrev_i32_e32 v5, 31, v4
	v_lshlrev_b64 v[4:5], 2, v[4:5]
	v_mov_b32_e32 v9, s9
	v_add_co_u32_e32 v4, vcc, s8, v4
	v_addc_co_u32_e32 v5, vcc, v9, v5, vcc
	global_load_dword v4, v[4:5], off
	v_mov_b32_e32 v10, s3
	global_load_ushort v9, v[2:3], off
	s_waitcnt vmcnt(1)
	v_subrev_u32_e32 v4, s18, v4
	v_mad_u64_u32 v[4:5], s[10:11], v4, 28, v[1:2]
	v_ashrrev_i32_e32 v5, 31, v4
	v_lshlrev_b64 v[4:5], 1, v[4:5]
	v_add_co_u32_e32 v4, vcc, s2, v4
	v_addc_co_u32_e32 v5, vcc, v10, v5, vcc
	global_load_ushort v4, v[4:5], off
	v_add_co_u32_e32 v2, vcc, 0x620, v2
	s_waitcnt vmcnt(1)
	v_lshlrev_b32_e32 v5, 16, v9
	v_addc_co_u32_e32 v3, vcc, 0, v3, vcc
	s_waitcnt vmcnt(0)
	v_lshlrev_b32_e32 v4, 16, v4
	v_fmac_f32_e32 v6, v5, v4
	s_branch .LBB347_9
.LBB347_12:
	v_lshlrev_b32_e32 v1, 2, v0
	s_and_b64 vcc, exec, s[20:21]
	ds_write_b32 v1, v6
	s_waitcnt lgkmcnt(0)
	s_barrier
	s_cbranch_vccz .LBB347_24
; %bb.13:
	v_cmp_gt_u16_e32 vcc, 12, v7
	s_and_saveexec_b64 s[0:1], vcc
	s_cbranch_execz .LBB347_15
; %bb.14:
	ds_read2_b32 v[2:3], v1 offset1:16
	s_waitcnt lgkmcnt(0)
	v_add_f32_e32 v2, v3, v2
	ds_write_b32 v1, v2
.LBB347_15:
	s_or_b64 exec, exec, s[0:1]
	v_cmp_gt_u16_e32 vcc, 8, v7
	s_waitcnt lgkmcnt(0)
	s_barrier
	s_and_saveexec_b64 s[0:1], vcc
	s_cbranch_execz .LBB347_17
; %bb.16:
	ds_read2_b32 v[2:3], v1 offset1:8
	s_waitcnt lgkmcnt(0)
	v_add_f32_e32 v2, v3, v2
	ds_write_b32 v1, v2
.LBB347_17:
	s_or_b64 exec, exec, s[0:1]
	v_cmp_gt_u16_e32 vcc, 4, v7
	s_waitcnt lgkmcnt(0)
	s_barrier
	;; [unrolled: 12-line block ×3, first 2 shown]
	s_and_saveexec_b64 s[0:1], vcc
	s_cbranch_execz .LBB347_21
; %bb.20:
	ds_read2_b32 v[2:3], v1 offset1:2
	s_waitcnt lgkmcnt(0)
	v_add_f32_e32 v2, v3, v2
	ds_write_b32 v1, v2
.LBB347_21:
	s_or_b64 exec, exec, s[0:1]
	v_cmp_gt_u32_e32 vcc, 28, v0
	v_mov_b32_e32 v2, v6
	s_waitcnt lgkmcnt(0)
	s_barrier
	s_and_saveexec_b64 s[0:1], vcc
	s_cbranch_execz .LBB347_23
; %bb.22:
	s_movk_i32 s2, 0x6c
	v_mad_u32_u24 v2, v0, s2, v1
	ds_read_b64 v[2:3], v2
	s_waitcnt lgkmcnt(0)
	v_add_f32_e32 v2, v2, v3
.LBB347_23:
	s_or_b64 exec, exec, s[0:1]
	s_branch .LBB347_36
.LBB347_24:
                                        ; implicit-def: $vgpr2
	s_cbranch_execz .LBB347_36
; %bb.25:
	s_movk_i32 s0, 0x150
	v_cmp_gt_u32_e32 vcc, s0, v0
	s_and_saveexec_b64 s[0:1], vcc
	s_cbranch_execz .LBB347_27
; %bb.26:
	ds_read2st64_b32 v[2:3], v1 offset1:7
	s_waitcnt lgkmcnt(0)
	v_add_f32_e32 v2, v3, v2
	ds_write_b32 v1, v2
.LBB347_27:
	s_or_b64 exec, exec, s[0:1]
	s_movk_i32 s0, 0xe0
	v_cmp_gt_u32_e32 vcc, s0, v0
	s_waitcnt lgkmcnt(0)
	s_barrier
	s_and_saveexec_b64 s[0:1], vcc
	s_cbranch_execz .LBB347_29
; %bb.28:
	ds_read2_b32 v[2:3], v1 offset1:224
	s_waitcnt lgkmcnt(0)
	v_add_f32_e32 v2, v3, v2
	ds_write_b32 v1, v2
.LBB347_29:
	s_or_b64 exec, exec, s[0:1]
	s_movk_i32 s0, 0x70
	v_cmp_gt_u32_e32 vcc, s0, v0
	s_waitcnt lgkmcnt(0)
	s_barrier
	s_and_saveexec_b64 s[0:1], vcc
	s_cbranch_execz .LBB347_31
; %bb.30:
	ds_read2_b32 v[2:3], v1 offset1:112
	s_waitcnt lgkmcnt(0)
	v_add_f32_e32 v2, v3, v2
	ds_write_b32 v1, v2
.LBB347_31:
	s_or_b64 exec, exec, s[0:1]
	v_cmp_gt_u32_e32 vcc, 56, v0
	s_waitcnt lgkmcnt(0)
	s_barrier
	s_and_saveexec_b64 s[0:1], vcc
	s_cbranch_execz .LBB347_33
; %bb.32:
	ds_read2_b32 v[2:3], v1 offset1:56
	s_waitcnt lgkmcnt(0)
	v_add_f32_e32 v2, v3, v2
	ds_write_b32 v1, v2
.LBB347_33:
	s_or_b64 exec, exec, s[0:1]
	v_cmp_gt_u32_e32 vcc, 28, v0
	s_waitcnt lgkmcnt(0)
	s_and_saveexec_b64 s[0:1], vcc
	s_cbranch_execz .LBB347_35
; %bb.34:
	ds_read2_b32 v[1:2], v1 offset1:28
	s_waitcnt lgkmcnt(0)
	v_add_f32_e32 v6, v1, v2
.LBB347_35:
	s_or_b64 exec, exec, s[0:1]
	v_mov_b32_e32 v2, v6
.LBB347_36:
	v_cmp_gt_u32_e32 vcc, 28, v0
	s_and_saveexec_b64 s[0:1], vcc
	s_cbranch_execz .LBB347_40
; %bb.37:
	v_cmp_eq_f32_e64 s[0:1], s12, 0
	s_and_b64 vcc, exec, s[0:1]
	v_mul_f32_e32 v1, s14, v2
	s_cbranch_vccz .LBB347_41
; %bb.38:
	v_mad_u64_u32 v[2:3], s[0:1], s6, 28, v[0:1]
	v_mov_b32_e32 v3, 0
	v_mov_b32_e32 v4, s17
	v_lshlrev_b64 v[2:3], 2, v[2:3]
	v_add_co_u32_e32 v2, vcc, s16, v2
	v_addc_co_u32_e32 v3, vcc, v4, v3, vcc
	global_store_dword v[2:3], v1, off
	s_cbranch_execnz .LBB347_40
.LBB347_39:
	v_mad_u64_u32 v[2:3], s[0:1], s6, 28, v[0:1]
	v_mov_b32_e32 v3, 0
	v_mov_b32_e32 v0, s17
	v_lshlrev_b64 v[2:3], 2, v[2:3]
	v_add_co_u32_e32 v2, vcc, s16, v2
	v_addc_co_u32_e32 v3, vcc, v0, v3, vcc
	global_load_dword v0, v[2:3], off
	s_waitcnt vmcnt(0)
	v_fmac_f32_e32 v1, s12, v0
	global_store_dword v[2:3], v1, off
.LBB347_40:
	s_endpgm
.LBB347_41:
	s_branch .LBB347_39
	.section	.rodata,"a",@progbits
	.p2align	6, 0x0
	.amdhsa_kernel _ZN9rocsparseL20bsrxmvn_17_32_kernelILj28Efii18rocsparse_bfloat16S1_fEEvT2_20rocsparse_direction_NS_24const_host_device_scalarIT0_EES2_PKS2_PKT1_SB_S8_PKT3_PKT4_S6_PT5_21rocsparse_index_base_b
		.amdhsa_group_segment_fixed_size 3136
		.amdhsa_private_segment_fixed_size 0
		.amdhsa_kernarg_size 96
		.amdhsa_user_sgpr_count 6
		.amdhsa_user_sgpr_private_segment_buffer 1
		.amdhsa_user_sgpr_dispatch_ptr 0
		.amdhsa_user_sgpr_queue_ptr 0
		.amdhsa_user_sgpr_kernarg_segment_ptr 1
		.amdhsa_user_sgpr_dispatch_id 0
		.amdhsa_user_sgpr_flat_scratch_init 0
		.amdhsa_user_sgpr_private_segment_size 0
		.amdhsa_uses_dynamic_stack 0
		.amdhsa_system_sgpr_private_segment_wavefront_offset 0
		.amdhsa_system_sgpr_workgroup_id_x 1
		.amdhsa_system_sgpr_workgroup_id_y 0
		.amdhsa_system_sgpr_workgroup_id_z 0
		.amdhsa_system_sgpr_workgroup_info 0
		.amdhsa_system_vgpr_workitem_id 0
		.amdhsa_next_free_vgpr 11
		.amdhsa_next_free_sgpr 22
		.amdhsa_reserve_vcc 1
		.amdhsa_reserve_flat_scratch 0
		.amdhsa_float_round_mode_32 0
		.amdhsa_float_round_mode_16_64 0
		.amdhsa_float_denorm_mode_32 3
		.amdhsa_float_denorm_mode_16_64 3
		.amdhsa_dx10_clamp 1
		.amdhsa_ieee_mode 1
		.amdhsa_fp16_overflow 0
		.amdhsa_exception_fp_ieee_invalid_op 0
		.amdhsa_exception_fp_denorm_src 0
		.amdhsa_exception_fp_ieee_div_zero 0
		.amdhsa_exception_fp_ieee_overflow 0
		.amdhsa_exception_fp_ieee_underflow 0
		.amdhsa_exception_fp_ieee_inexact 0
		.amdhsa_exception_int_div_zero 0
	.end_amdhsa_kernel
	.section	.text._ZN9rocsparseL20bsrxmvn_17_32_kernelILj28Efii18rocsparse_bfloat16S1_fEEvT2_20rocsparse_direction_NS_24const_host_device_scalarIT0_EES2_PKS2_PKT1_SB_S8_PKT3_PKT4_S6_PT5_21rocsparse_index_base_b,"axG",@progbits,_ZN9rocsparseL20bsrxmvn_17_32_kernelILj28Efii18rocsparse_bfloat16S1_fEEvT2_20rocsparse_direction_NS_24const_host_device_scalarIT0_EES2_PKS2_PKT1_SB_S8_PKT3_PKT4_S6_PT5_21rocsparse_index_base_b,comdat
.Lfunc_end347:
	.size	_ZN9rocsparseL20bsrxmvn_17_32_kernelILj28Efii18rocsparse_bfloat16S1_fEEvT2_20rocsparse_direction_NS_24const_host_device_scalarIT0_EES2_PKS2_PKT1_SB_S8_PKT3_PKT4_S6_PT5_21rocsparse_index_base_b, .Lfunc_end347-_ZN9rocsparseL20bsrxmvn_17_32_kernelILj28Efii18rocsparse_bfloat16S1_fEEvT2_20rocsparse_direction_NS_24const_host_device_scalarIT0_EES2_PKS2_PKT1_SB_S8_PKT3_PKT4_S6_PT5_21rocsparse_index_base_b
                                        ; -- End function
	.set _ZN9rocsparseL20bsrxmvn_17_32_kernelILj28Efii18rocsparse_bfloat16S1_fEEvT2_20rocsparse_direction_NS_24const_host_device_scalarIT0_EES2_PKS2_PKT1_SB_S8_PKT3_PKT4_S6_PT5_21rocsparse_index_base_b.num_vgpr, 11
	.set _ZN9rocsparseL20bsrxmvn_17_32_kernelILj28Efii18rocsparse_bfloat16S1_fEEvT2_20rocsparse_direction_NS_24const_host_device_scalarIT0_EES2_PKS2_PKT1_SB_S8_PKT3_PKT4_S6_PT5_21rocsparse_index_base_b.num_agpr, 0
	.set _ZN9rocsparseL20bsrxmvn_17_32_kernelILj28Efii18rocsparse_bfloat16S1_fEEvT2_20rocsparse_direction_NS_24const_host_device_scalarIT0_EES2_PKS2_PKT1_SB_S8_PKT3_PKT4_S6_PT5_21rocsparse_index_base_b.numbered_sgpr, 22
	.set _ZN9rocsparseL20bsrxmvn_17_32_kernelILj28Efii18rocsparse_bfloat16S1_fEEvT2_20rocsparse_direction_NS_24const_host_device_scalarIT0_EES2_PKS2_PKT1_SB_S8_PKT3_PKT4_S6_PT5_21rocsparse_index_base_b.num_named_barrier, 0
	.set _ZN9rocsparseL20bsrxmvn_17_32_kernelILj28Efii18rocsparse_bfloat16S1_fEEvT2_20rocsparse_direction_NS_24const_host_device_scalarIT0_EES2_PKS2_PKT1_SB_S8_PKT3_PKT4_S6_PT5_21rocsparse_index_base_b.private_seg_size, 0
	.set _ZN9rocsparseL20bsrxmvn_17_32_kernelILj28Efii18rocsparse_bfloat16S1_fEEvT2_20rocsparse_direction_NS_24const_host_device_scalarIT0_EES2_PKS2_PKT1_SB_S8_PKT3_PKT4_S6_PT5_21rocsparse_index_base_b.uses_vcc, 1
	.set _ZN9rocsparseL20bsrxmvn_17_32_kernelILj28Efii18rocsparse_bfloat16S1_fEEvT2_20rocsparse_direction_NS_24const_host_device_scalarIT0_EES2_PKS2_PKT1_SB_S8_PKT3_PKT4_S6_PT5_21rocsparse_index_base_b.uses_flat_scratch, 0
	.set _ZN9rocsparseL20bsrxmvn_17_32_kernelILj28Efii18rocsparse_bfloat16S1_fEEvT2_20rocsparse_direction_NS_24const_host_device_scalarIT0_EES2_PKS2_PKT1_SB_S8_PKT3_PKT4_S6_PT5_21rocsparse_index_base_b.has_dyn_sized_stack, 0
	.set _ZN9rocsparseL20bsrxmvn_17_32_kernelILj28Efii18rocsparse_bfloat16S1_fEEvT2_20rocsparse_direction_NS_24const_host_device_scalarIT0_EES2_PKS2_PKT1_SB_S8_PKT3_PKT4_S6_PT5_21rocsparse_index_base_b.has_recursion, 0
	.set _ZN9rocsparseL20bsrxmvn_17_32_kernelILj28Efii18rocsparse_bfloat16S1_fEEvT2_20rocsparse_direction_NS_24const_host_device_scalarIT0_EES2_PKS2_PKT1_SB_S8_PKT3_PKT4_S6_PT5_21rocsparse_index_base_b.has_indirect_call, 0
	.section	.AMDGPU.csdata,"",@progbits
; Kernel info:
; codeLenInByte = 1244
; TotalNumSgprs: 26
; NumVgprs: 11
; ScratchSize: 0
; MemoryBound: 0
; FloatMode: 240
; IeeeMode: 1
; LDSByteSize: 3136 bytes/workgroup (compile time only)
; SGPRBlocks: 3
; VGPRBlocks: 2
; NumSGPRsForWavesPerEU: 26
; NumVGPRsForWavesPerEU: 11
; Occupancy: 10
; WaveLimiterHint : 1
; COMPUTE_PGM_RSRC2:SCRATCH_EN: 0
; COMPUTE_PGM_RSRC2:USER_SGPR: 6
; COMPUTE_PGM_RSRC2:TRAP_HANDLER: 0
; COMPUTE_PGM_RSRC2:TGID_X_EN: 1
; COMPUTE_PGM_RSRC2:TGID_Y_EN: 0
; COMPUTE_PGM_RSRC2:TGID_Z_EN: 0
; COMPUTE_PGM_RSRC2:TIDIG_COMP_CNT: 0
	.section	.text._ZN9rocsparseL20bsrxmvn_17_32_kernelILj29Efii18rocsparse_bfloat16S1_fEEvT2_20rocsparse_direction_NS_24const_host_device_scalarIT0_EES2_PKS2_PKT1_SB_S8_PKT3_PKT4_S6_PT5_21rocsparse_index_base_b,"axG",@progbits,_ZN9rocsparseL20bsrxmvn_17_32_kernelILj29Efii18rocsparse_bfloat16S1_fEEvT2_20rocsparse_direction_NS_24const_host_device_scalarIT0_EES2_PKS2_PKT1_SB_S8_PKT3_PKT4_S6_PT5_21rocsparse_index_base_b,comdat
	.globl	_ZN9rocsparseL20bsrxmvn_17_32_kernelILj29Efii18rocsparse_bfloat16S1_fEEvT2_20rocsparse_direction_NS_24const_host_device_scalarIT0_EES2_PKS2_PKT1_SB_S8_PKT3_PKT4_S6_PT5_21rocsparse_index_base_b ; -- Begin function _ZN9rocsparseL20bsrxmvn_17_32_kernelILj29Efii18rocsparse_bfloat16S1_fEEvT2_20rocsparse_direction_NS_24const_host_device_scalarIT0_EES2_PKS2_PKT1_SB_S8_PKT3_PKT4_S6_PT5_21rocsparse_index_base_b
	.p2align	8
	.type	_ZN9rocsparseL20bsrxmvn_17_32_kernelILj29Efii18rocsparse_bfloat16S1_fEEvT2_20rocsparse_direction_NS_24const_host_device_scalarIT0_EES2_PKS2_PKT1_SB_S8_PKT3_PKT4_S6_PT5_21rocsparse_index_base_b,@function
_ZN9rocsparseL20bsrxmvn_17_32_kernelILj29Efii18rocsparse_bfloat16S1_fEEvT2_20rocsparse_direction_NS_24const_host_device_scalarIT0_EES2_PKS2_PKT1_SB_S8_PKT3_PKT4_S6_PT5_21rocsparse_index_base_b: ; @_ZN9rocsparseL20bsrxmvn_17_32_kernelILj29Efii18rocsparse_bfloat16S1_fEEvT2_20rocsparse_direction_NS_24const_host_device_scalarIT0_EES2_PKS2_PKT1_SB_S8_PKT3_PKT4_S6_PT5_21rocsparse_index_base_b
; %bb.0:
	s_load_dwordx2 s[18:19], s[4:5], 0x58
	s_load_dwordx2 s[14:15], s[4:5], 0x8
	;; [unrolled: 1-line block ×3, first 2 shown]
	s_waitcnt lgkmcnt(0)
	s_bitcmp1_b32 s19, 0
	s_cselect_b64 s[2:3], -1, 0
	s_xor_b64 s[0:1], s[2:3], -1
	s_and_b64 vcc, exec, s[2:3]
	s_cbranch_vccnz .LBB348_2
; %bb.1:
	s_load_dword s14, s[14:15], 0x0
.LBB348_2:
	s_andn2_b64 vcc, exec, s[0:1]
	s_cbranch_vccnz .LBB348_4
; %bb.3:
	s_load_dword s12, s[12:13], 0x0
.LBB348_4:
	s_waitcnt lgkmcnt(0)
	v_cmp_neq_f32_e64 s[0:1], s14, 0
	v_cmp_neq_f32_e64 s[2:3], s12, 1.0
	s_or_b64 s[0:1], s[0:1], s[2:3]
	s_andn2_b64 vcc, exec, s[0:1]
	s_cbranch_vccnz .LBB348_40
; %bb.5:
	s_load_dwordx4 s[0:3], s[4:5], 0x18
	s_load_dwordx2 s[8:9], s[4:5], 0x28
	s_waitcnt lgkmcnt(0)
	s_cmp_eq_u64 s[0:1], 0
	s_cbranch_scc1 .LBB348_7
; %bb.6:
	s_ashr_i32 s7, s6, 31
	s_lshl_b64 s[6:7], s[6:7], 2
	s_add_u32 s0, s0, s6
	s_addc_u32 s1, s1, s7
	s_load_dword s0, s[0:1], 0x0
	s_waitcnt lgkmcnt(0)
	s_sub_i32 s6, s0, s18
.LBB348_7:
	s_load_dword s0, s[4:5], 0x4
	s_load_dwordx2 s[16:17], s[4:5], 0x50
	v_mul_u32_u24_e32 v1, 0x8d4, v0
	v_mov_b32_e32 v2, 29
	v_mul_lo_u16_sdwa v2, v1, v2 dst_sel:DWORD dst_unused:UNUSED_PAD src0_sel:WORD_1 src1_sel:DWORD
	s_waitcnt lgkmcnt(0)
	s_cmp_eq_u32 s0, 1
	s_cselect_b64 vcc, -1, 0
	s_cmp_lg_u32 s0, 1
	s_cselect_b64 s[20:21], -1, 0
	s_ashr_i32 s7, s6, 31
	s_lshl_b64 s[0:1], s[6:7], 2
	s_add_u32 s2, s2, s0
	s_addc_u32 s3, s3, s1
	s_load_dword s7, s[2:3], 0x0
	s_add_u32 s2, s2, 4
	s_addc_u32 s3, s3, 0
	s_add_u32 s0, s8, s0
	s_addc_u32 s1, s9, s1
	s_cmp_eq_u64 s[8:9], 0
	s_cselect_b32 s1, s3, s1
	s_cselect_b32 s0, s2, s0
	s_load_dword s0, s[0:1], 0x0
	v_sub_u16_e32 v7, v0, v2
	v_mov_b32_e32 v6, 0
	s_waitcnt lgkmcnt(0)
	s_cmp_ge_i32 s7, s0
	s_cbranch_scc1 .LBB348_12
; %bb.8:
	s_load_dwordx4 s[8:11], s[4:5], 0x30
	s_load_dwordx2 s[2:3], s[4:5], 0x40
	s_sub_i32 s4, s0, s18
	s_mov_b32 s0, 0xffff
	s_movk_i32 s1, 0x349
	v_and_b32_sdwa v1, s0, v1 dst_sel:DWORD dst_unused:UNUSED_PAD src0_sel:DWORD src1_sel:WORD_1
	v_subrev_u32_e32 v2, 29, v1
	v_cmp_gt_u32_e64 s[0:1], s1, v0
	s_sub_i32 s5, s7, s18
	v_cndmask_b32_e64 v1, v2, v1, s[0:1]
	s_mul_i32 s1, s5, 0x692
	s_mul_hi_i32 s0, s5, 0x692
	s_waitcnt lgkmcnt(0)
	s_add_u32 s1, s10, s1
	s_addc_u32 s0, s11, s0
	v_lshlrev_b32_e32 v2, 1, v0
	v_cndmask_b32_e32 v1, v7, v1, vcc
	v_mov_b32_e32 v3, s0
	v_add_co_u32_e32 v2, vcc, s1, v2
	v_addc_co_u32_e32 v3, vcc, 0, v3, vcc
	s_movk_i32 s0, 0x348
	v_cmp_lt_u32_e32 vcc, s0, v0
	v_mov_b32_e32 v6, 0
	v_cndmask_b32_e64 v8, 0, 1, vcc
	s_branch .LBB348_10
.LBB348_9:                              ;   in Loop: Header=BB348_10 Depth=1
	s_or_b64 exec, exec, s[0:1]
	s_add_i32 s5, s5, 1
	s_cmp_lt_i32 s5, s4
	s_cbranch_scc0 .LBB348_12
.LBB348_10:                             ; =>This Inner Loop Header: Depth=1
	v_add_u32_e32 v4, s5, v8
	v_cmp_gt_i32_e32 vcc, s4, v4
	s_and_saveexec_b64 s[0:1], vcc
	s_cbranch_execz .LBB348_9
; %bb.11:                               ;   in Loop: Header=BB348_10 Depth=1
	v_ashrrev_i32_e32 v5, 31, v4
	v_lshlrev_b64 v[4:5], 2, v[4:5]
	v_mov_b32_e32 v9, s9
	v_add_co_u32_e32 v4, vcc, s8, v4
	v_addc_co_u32_e32 v5, vcc, v9, v5, vcc
	global_load_dword v4, v[4:5], off
	v_mov_b32_e32 v10, s3
	global_load_ushort v9, v[2:3], off
	s_waitcnt vmcnt(1)
	v_subrev_u32_e32 v4, s18, v4
	v_mad_u64_u32 v[4:5], s[10:11], v4, 29, v[1:2]
	v_ashrrev_i32_e32 v5, 31, v4
	v_lshlrev_b64 v[4:5], 1, v[4:5]
	v_add_co_u32_e32 v4, vcc, s2, v4
	v_addc_co_u32_e32 v5, vcc, v10, v5, vcc
	global_load_ushort v4, v[4:5], off
	v_add_co_u32_e32 v2, vcc, 0x692, v2
	s_waitcnt vmcnt(1)
	v_lshlrev_b32_e32 v5, 16, v9
	v_addc_co_u32_e32 v3, vcc, 0, v3, vcc
	s_waitcnt vmcnt(0)
	v_lshlrev_b32_e32 v4, 16, v4
	v_fmac_f32_e32 v6, v5, v4
	s_branch .LBB348_9
.LBB348_12:
	v_lshlrev_b32_e32 v1, 2, v0
	s_and_b64 vcc, exec, s[20:21]
	ds_write_b32 v1, v6
	s_waitcnt lgkmcnt(0)
	s_barrier
	s_cbranch_vccz .LBB348_24
; %bb.13:
	v_cmp_gt_u16_e32 vcc, 13, v7
	s_and_saveexec_b64 s[0:1], vcc
	s_cbranch_execz .LBB348_15
; %bb.14:
	ds_read2_b32 v[2:3], v1 offset1:16
	s_waitcnt lgkmcnt(0)
	v_add_f32_e32 v2, v3, v2
	ds_write_b32 v1, v2
.LBB348_15:
	s_or_b64 exec, exec, s[0:1]
	v_cmp_gt_u16_e32 vcc, 8, v7
	s_waitcnt lgkmcnt(0)
	s_barrier
	s_and_saveexec_b64 s[0:1], vcc
	s_cbranch_execz .LBB348_17
; %bb.16:
	ds_read2_b32 v[2:3], v1 offset1:8
	s_waitcnt lgkmcnt(0)
	v_add_f32_e32 v2, v3, v2
	ds_write_b32 v1, v2
.LBB348_17:
	s_or_b64 exec, exec, s[0:1]
	v_cmp_gt_u16_e32 vcc, 4, v7
	s_waitcnt lgkmcnt(0)
	s_barrier
	s_and_saveexec_b64 s[0:1], vcc
	s_cbranch_execz .LBB348_19
; %bb.18:
	ds_read2_b32 v[2:3], v1 offset1:4
	s_waitcnt lgkmcnt(0)
	v_add_f32_e32 v2, v3, v2
	ds_write_b32 v1, v2
.LBB348_19:
	s_or_b64 exec, exec, s[0:1]
	v_cmp_gt_u16_e32 vcc, 2, v7
	s_waitcnt lgkmcnt(0)
	s_barrier
	s_and_saveexec_b64 s[0:1], vcc
	s_cbranch_execz .LBB348_21
; %bb.20:
	ds_read2_b32 v[2:3], v1 offset1:2
	s_waitcnt lgkmcnt(0)
	v_add_f32_e32 v2, v3, v2
	ds_write_b32 v1, v2
.LBB348_21:
	s_or_b64 exec, exec, s[0:1]
	v_cmp_gt_u32_e32 vcc, 29, v0
	v_mov_b32_e32 v2, v6
	s_waitcnt lgkmcnt(0)
	s_barrier
	s_and_saveexec_b64 s[0:1], vcc
	s_cbranch_execz .LBB348_23
; %bb.22:
	s_movk_i32 s2, 0x70
	v_mad_u32_u24 v2, v0, s2, v1
	ds_read2_b32 v[2:3], v2 offset1:1
	s_waitcnt lgkmcnt(0)
	v_add_f32_e32 v2, v2, v3
.LBB348_23:
	s_or_b64 exec, exec, s[0:1]
	s_branch .LBB348_36
.LBB348_24:
                                        ; implicit-def: $vgpr2
	s_cbranch_execz .LBB348_36
; %bb.25:
	s_movk_i32 s0, 0x179
	v_cmp_gt_u32_e32 vcc, s0, v0
	s_and_saveexec_b64 s[0:1], vcc
	s_cbranch_execz .LBB348_27
; %bb.26:
	ds_read_b32 v2, v1 offset:1856
	ds_read_b32 v3, v1
	s_waitcnt lgkmcnt(0)
	v_add_f32_e32 v2, v2, v3
	ds_write_b32 v1, v2
.LBB348_27:
	s_or_b64 exec, exec, s[0:1]
	s_movk_i32 s0, 0xe8
	v_cmp_gt_u32_e32 vcc, s0, v0
	s_waitcnt lgkmcnt(0)
	s_barrier
	s_and_saveexec_b64 s[0:1], vcc
	s_cbranch_execz .LBB348_29
; %bb.28:
	ds_read2_b32 v[2:3], v1 offset1:232
	s_waitcnt lgkmcnt(0)
	v_add_f32_e32 v2, v3, v2
	ds_write_b32 v1, v2
.LBB348_29:
	s_or_b64 exec, exec, s[0:1]
	s_movk_i32 s0, 0x74
	v_cmp_gt_u32_e32 vcc, s0, v0
	s_waitcnt lgkmcnt(0)
	s_barrier
	s_and_saveexec_b64 s[0:1], vcc
	s_cbranch_execz .LBB348_31
; %bb.30:
	ds_read2_b32 v[2:3], v1 offset1:116
	s_waitcnt lgkmcnt(0)
	v_add_f32_e32 v2, v3, v2
	ds_write_b32 v1, v2
.LBB348_31:
	s_or_b64 exec, exec, s[0:1]
	v_cmp_gt_u32_e32 vcc, 58, v0
	s_waitcnt lgkmcnt(0)
	s_barrier
	s_and_saveexec_b64 s[0:1], vcc
	s_cbranch_execz .LBB348_33
; %bb.32:
	ds_read2_b32 v[2:3], v1 offset1:58
	s_waitcnt lgkmcnt(0)
	v_add_f32_e32 v2, v3, v2
	ds_write_b32 v1, v2
.LBB348_33:
	s_or_b64 exec, exec, s[0:1]
	v_cmp_gt_u32_e32 vcc, 29, v0
	s_waitcnt lgkmcnt(0)
	s_and_saveexec_b64 s[0:1], vcc
	s_cbranch_execz .LBB348_35
; %bb.34:
	ds_read2_b32 v[1:2], v1 offset1:29
	s_waitcnt lgkmcnt(0)
	v_add_f32_e32 v6, v1, v2
.LBB348_35:
	s_or_b64 exec, exec, s[0:1]
	v_mov_b32_e32 v2, v6
.LBB348_36:
	v_cmp_gt_u32_e32 vcc, 29, v0
	s_and_saveexec_b64 s[0:1], vcc
	s_cbranch_execz .LBB348_40
; %bb.37:
	v_cmp_eq_f32_e64 s[0:1], s12, 0
	s_and_b64 vcc, exec, s[0:1]
	v_mul_f32_e32 v1, s14, v2
	s_cbranch_vccz .LBB348_41
; %bb.38:
	v_mad_u64_u32 v[2:3], s[0:1], s6, 29, v[0:1]
	v_mov_b32_e32 v3, 0
	v_mov_b32_e32 v4, s17
	v_lshlrev_b64 v[2:3], 2, v[2:3]
	v_add_co_u32_e32 v2, vcc, s16, v2
	v_addc_co_u32_e32 v3, vcc, v4, v3, vcc
	global_store_dword v[2:3], v1, off
	s_cbranch_execnz .LBB348_40
.LBB348_39:
	v_mad_u64_u32 v[2:3], s[0:1], s6, 29, v[0:1]
	v_mov_b32_e32 v3, 0
	v_mov_b32_e32 v0, s17
	v_lshlrev_b64 v[2:3], 2, v[2:3]
	v_add_co_u32_e32 v2, vcc, s16, v2
	v_addc_co_u32_e32 v3, vcc, v0, v3, vcc
	global_load_dword v0, v[2:3], off
	s_waitcnt vmcnt(0)
	v_fmac_f32_e32 v1, s12, v0
	global_store_dword v[2:3], v1, off
.LBB348_40:
	s_endpgm
.LBB348_41:
	s_branch .LBB348_39
	.section	.rodata,"a",@progbits
	.p2align	6, 0x0
	.amdhsa_kernel _ZN9rocsparseL20bsrxmvn_17_32_kernelILj29Efii18rocsparse_bfloat16S1_fEEvT2_20rocsparse_direction_NS_24const_host_device_scalarIT0_EES2_PKS2_PKT1_SB_S8_PKT3_PKT4_S6_PT5_21rocsparse_index_base_b
		.amdhsa_group_segment_fixed_size 3364
		.amdhsa_private_segment_fixed_size 0
		.amdhsa_kernarg_size 96
		.amdhsa_user_sgpr_count 6
		.amdhsa_user_sgpr_private_segment_buffer 1
		.amdhsa_user_sgpr_dispatch_ptr 0
		.amdhsa_user_sgpr_queue_ptr 0
		.amdhsa_user_sgpr_kernarg_segment_ptr 1
		.amdhsa_user_sgpr_dispatch_id 0
		.amdhsa_user_sgpr_flat_scratch_init 0
		.amdhsa_user_sgpr_private_segment_size 0
		.amdhsa_uses_dynamic_stack 0
		.amdhsa_system_sgpr_private_segment_wavefront_offset 0
		.amdhsa_system_sgpr_workgroup_id_x 1
		.amdhsa_system_sgpr_workgroup_id_y 0
		.amdhsa_system_sgpr_workgroup_id_z 0
		.amdhsa_system_sgpr_workgroup_info 0
		.amdhsa_system_vgpr_workitem_id 0
		.amdhsa_next_free_vgpr 33
		.amdhsa_next_free_sgpr 77
		.amdhsa_reserve_vcc 1
		.amdhsa_reserve_flat_scratch 0
		.amdhsa_float_round_mode_32 0
		.amdhsa_float_round_mode_16_64 0
		.amdhsa_float_denorm_mode_32 3
		.amdhsa_float_denorm_mode_16_64 3
		.amdhsa_dx10_clamp 1
		.amdhsa_ieee_mode 1
		.amdhsa_fp16_overflow 0
		.amdhsa_exception_fp_ieee_invalid_op 0
		.amdhsa_exception_fp_denorm_src 0
		.amdhsa_exception_fp_ieee_div_zero 0
		.amdhsa_exception_fp_ieee_overflow 0
		.amdhsa_exception_fp_ieee_underflow 0
		.amdhsa_exception_fp_ieee_inexact 0
		.amdhsa_exception_int_div_zero 0
	.end_amdhsa_kernel
	.section	.text._ZN9rocsparseL20bsrxmvn_17_32_kernelILj29Efii18rocsparse_bfloat16S1_fEEvT2_20rocsparse_direction_NS_24const_host_device_scalarIT0_EES2_PKS2_PKT1_SB_S8_PKT3_PKT4_S6_PT5_21rocsparse_index_base_b,"axG",@progbits,_ZN9rocsparseL20bsrxmvn_17_32_kernelILj29Efii18rocsparse_bfloat16S1_fEEvT2_20rocsparse_direction_NS_24const_host_device_scalarIT0_EES2_PKS2_PKT1_SB_S8_PKT3_PKT4_S6_PT5_21rocsparse_index_base_b,comdat
.Lfunc_end348:
	.size	_ZN9rocsparseL20bsrxmvn_17_32_kernelILj29Efii18rocsparse_bfloat16S1_fEEvT2_20rocsparse_direction_NS_24const_host_device_scalarIT0_EES2_PKS2_PKT1_SB_S8_PKT3_PKT4_S6_PT5_21rocsparse_index_base_b, .Lfunc_end348-_ZN9rocsparseL20bsrxmvn_17_32_kernelILj29Efii18rocsparse_bfloat16S1_fEEvT2_20rocsparse_direction_NS_24const_host_device_scalarIT0_EES2_PKS2_PKT1_SB_S8_PKT3_PKT4_S6_PT5_21rocsparse_index_base_b
                                        ; -- End function
	.set _ZN9rocsparseL20bsrxmvn_17_32_kernelILj29Efii18rocsparse_bfloat16S1_fEEvT2_20rocsparse_direction_NS_24const_host_device_scalarIT0_EES2_PKS2_PKT1_SB_S8_PKT3_PKT4_S6_PT5_21rocsparse_index_base_b.num_vgpr, 11
	.set _ZN9rocsparseL20bsrxmvn_17_32_kernelILj29Efii18rocsparse_bfloat16S1_fEEvT2_20rocsparse_direction_NS_24const_host_device_scalarIT0_EES2_PKS2_PKT1_SB_S8_PKT3_PKT4_S6_PT5_21rocsparse_index_base_b.num_agpr, 0
	.set _ZN9rocsparseL20bsrxmvn_17_32_kernelILj29Efii18rocsparse_bfloat16S1_fEEvT2_20rocsparse_direction_NS_24const_host_device_scalarIT0_EES2_PKS2_PKT1_SB_S8_PKT3_PKT4_S6_PT5_21rocsparse_index_base_b.numbered_sgpr, 22
	.set _ZN9rocsparseL20bsrxmvn_17_32_kernelILj29Efii18rocsparse_bfloat16S1_fEEvT2_20rocsparse_direction_NS_24const_host_device_scalarIT0_EES2_PKS2_PKT1_SB_S8_PKT3_PKT4_S6_PT5_21rocsparse_index_base_b.num_named_barrier, 0
	.set _ZN9rocsparseL20bsrxmvn_17_32_kernelILj29Efii18rocsparse_bfloat16S1_fEEvT2_20rocsparse_direction_NS_24const_host_device_scalarIT0_EES2_PKS2_PKT1_SB_S8_PKT3_PKT4_S6_PT5_21rocsparse_index_base_b.private_seg_size, 0
	.set _ZN9rocsparseL20bsrxmvn_17_32_kernelILj29Efii18rocsparse_bfloat16S1_fEEvT2_20rocsparse_direction_NS_24const_host_device_scalarIT0_EES2_PKS2_PKT1_SB_S8_PKT3_PKT4_S6_PT5_21rocsparse_index_base_b.uses_vcc, 1
	.set _ZN9rocsparseL20bsrxmvn_17_32_kernelILj29Efii18rocsparse_bfloat16S1_fEEvT2_20rocsparse_direction_NS_24const_host_device_scalarIT0_EES2_PKS2_PKT1_SB_S8_PKT3_PKT4_S6_PT5_21rocsparse_index_base_b.uses_flat_scratch, 0
	.set _ZN9rocsparseL20bsrxmvn_17_32_kernelILj29Efii18rocsparse_bfloat16S1_fEEvT2_20rocsparse_direction_NS_24const_host_device_scalarIT0_EES2_PKS2_PKT1_SB_S8_PKT3_PKT4_S6_PT5_21rocsparse_index_base_b.has_dyn_sized_stack, 0
	.set _ZN9rocsparseL20bsrxmvn_17_32_kernelILj29Efii18rocsparse_bfloat16S1_fEEvT2_20rocsparse_direction_NS_24const_host_device_scalarIT0_EES2_PKS2_PKT1_SB_S8_PKT3_PKT4_S6_PT5_21rocsparse_index_base_b.has_recursion, 0
	.set _ZN9rocsparseL20bsrxmvn_17_32_kernelILj29Efii18rocsparse_bfloat16S1_fEEvT2_20rocsparse_direction_NS_24const_host_device_scalarIT0_EES2_PKS2_PKT1_SB_S8_PKT3_PKT4_S6_PT5_21rocsparse_index_base_b.has_indirect_call, 0
	.section	.AMDGPU.csdata,"",@progbits
; Kernel info:
; codeLenInByte = 1252
; TotalNumSgprs: 26
; NumVgprs: 11
; ScratchSize: 0
; MemoryBound: 0
; FloatMode: 240
; IeeeMode: 1
; LDSByteSize: 3364 bytes/workgroup (compile time only)
; SGPRBlocks: 10
; VGPRBlocks: 8
; NumSGPRsForWavesPerEU: 81
; NumVGPRsForWavesPerEU: 33
; Occupancy: 7
; WaveLimiterHint : 1
; COMPUTE_PGM_RSRC2:SCRATCH_EN: 0
; COMPUTE_PGM_RSRC2:USER_SGPR: 6
; COMPUTE_PGM_RSRC2:TRAP_HANDLER: 0
; COMPUTE_PGM_RSRC2:TGID_X_EN: 1
; COMPUTE_PGM_RSRC2:TGID_Y_EN: 0
; COMPUTE_PGM_RSRC2:TGID_Z_EN: 0
; COMPUTE_PGM_RSRC2:TIDIG_COMP_CNT: 0
	.section	.text._ZN9rocsparseL20bsrxmvn_17_32_kernelILj30Efii18rocsparse_bfloat16S1_fEEvT2_20rocsparse_direction_NS_24const_host_device_scalarIT0_EES2_PKS2_PKT1_SB_S8_PKT3_PKT4_S6_PT5_21rocsparse_index_base_b,"axG",@progbits,_ZN9rocsparseL20bsrxmvn_17_32_kernelILj30Efii18rocsparse_bfloat16S1_fEEvT2_20rocsparse_direction_NS_24const_host_device_scalarIT0_EES2_PKS2_PKT1_SB_S8_PKT3_PKT4_S6_PT5_21rocsparse_index_base_b,comdat
	.globl	_ZN9rocsparseL20bsrxmvn_17_32_kernelILj30Efii18rocsparse_bfloat16S1_fEEvT2_20rocsparse_direction_NS_24const_host_device_scalarIT0_EES2_PKS2_PKT1_SB_S8_PKT3_PKT4_S6_PT5_21rocsparse_index_base_b ; -- Begin function _ZN9rocsparseL20bsrxmvn_17_32_kernelILj30Efii18rocsparse_bfloat16S1_fEEvT2_20rocsparse_direction_NS_24const_host_device_scalarIT0_EES2_PKS2_PKT1_SB_S8_PKT3_PKT4_S6_PT5_21rocsparse_index_base_b
	.p2align	8
	.type	_ZN9rocsparseL20bsrxmvn_17_32_kernelILj30Efii18rocsparse_bfloat16S1_fEEvT2_20rocsparse_direction_NS_24const_host_device_scalarIT0_EES2_PKS2_PKT1_SB_S8_PKT3_PKT4_S6_PT5_21rocsparse_index_base_b,@function
_ZN9rocsparseL20bsrxmvn_17_32_kernelILj30Efii18rocsparse_bfloat16S1_fEEvT2_20rocsparse_direction_NS_24const_host_device_scalarIT0_EES2_PKS2_PKT1_SB_S8_PKT3_PKT4_S6_PT5_21rocsparse_index_base_b: ; @_ZN9rocsparseL20bsrxmvn_17_32_kernelILj30Efii18rocsparse_bfloat16S1_fEEvT2_20rocsparse_direction_NS_24const_host_device_scalarIT0_EES2_PKS2_PKT1_SB_S8_PKT3_PKT4_S6_PT5_21rocsparse_index_base_b
; %bb.0:
	s_load_dwordx2 s[18:19], s[4:5], 0x58
	s_load_dwordx2 s[14:15], s[4:5], 0x8
	;; [unrolled: 1-line block ×3, first 2 shown]
	s_waitcnt lgkmcnt(0)
	s_bitcmp1_b32 s19, 0
	s_cselect_b64 s[2:3], -1, 0
	s_xor_b64 s[0:1], s[2:3], -1
	s_and_b64 vcc, exec, s[2:3]
	s_cbranch_vccnz .LBB349_2
; %bb.1:
	s_load_dword s14, s[14:15], 0x0
.LBB349_2:
	s_andn2_b64 vcc, exec, s[0:1]
	s_cbranch_vccnz .LBB349_4
; %bb.3:
	s_load_dword s12, s[12:13], 0x0
.LBB349_4:
	s_waitcnt lgkmcnt(0)
	v_cmp_neq_f32_e64 s[0:1], s14, 0
	v_cmp_neq_f32_e64 s[2:3], s12, 1.0
	s_or_b64 s[0:1], s[0:1], s[2:3]
	s_andn2_b64 vcc, exec, s[0:1]
	s_cbranch_vccnz .LBB349_40
; %bb.5:
	s_load_dwordx4 s[0:3], s[4:5], 0x18
	s_load_dwordx2 s[8:9], s[4:5], 0x28
	s_waitcnt lgkmcnt(0)
	s_cmp_eq_u64 s[0:1], 0
	s_cbranch_scc1 .LBB349_7
; %bb.6:
	s_ashr_i32 s7, s6, 31
	s_lshl_b64 s[6:7], s[6:7], 2
	s_add_u32 s0, s0, s6
	s_addc_u32 s1, s1, s7
	s_load_dword s0, s[0:1], 0x0
	s_waitcnt lgkmcnt(0)
	s_sub_i32 s6, s0, s18
.LBB349_7:
	s_load_dword s0, s[4:5], 0x4
	s_load_dwordx2 s[16:17], s[4:5], 0x50
	v_mul_u32_u24_e32 v1, 0x889, v0
	v_mov_b32_e32 v2, 30
	v_mul_lo_u16_sdwa v2, v1, v2 dst_sel:DWORD dst_unused:UNUSED_PAD src0_sel:WORD_1 src1_sel:DWORD
	s_waitcnt lgkmcnt(0)
	s_cmp_eq_u32 s0, 1
	s_cselect_b64 vcc, -1, 0
	s_cmp_lg_u32 s0, 1
	s_cselect_b64 s[20:21], -1, 0
	s_ashr_i32 s7, s6, 31
	s_lshl_b64 s[0:1], s[6:7], 2
	s_add_u32 s2, s2, s0
	s_addc_u32 s3, s3, s1
	s_load_dword s7, s[2:3], 0x0
	s_add_u32 s2, s2, 4
	s_addc_u32 s3, s3, 0
	s_add_u32 s0, s8, s0
	s_addc_u32 s1, s9, s1
	s_cmp_eq_u64 s[8:9], 0
	s_cselect_b32 s1, s3, s1
	s_cselect_b32 s0, s2, s0
	s_load_dword s0, s[0:1], 0x0
	v_sub_u16_e32 v7, v0, v2
	v_mov_b32_e32 v6, 0
	s_waitcnt lgkmcnt(0)
	s_cmp_ge_i32 s7, s0
	s_cbranch_scc1 .LBB349_12
; %bb.8:
	s_load_dwordx4 s[8:11], s[4:5], 0x30
	s_load_dwordx2 s[2:3], s[4:5], 0x40
	s_sub_i32 s4, s0, s18
	s_mov_b32 s0, 0xffff
	s_movk_i32 s1, 0x384
	v_and_b32_sdwa v1, s0, v1 dst_sel:DWORD dst_unused:UNUSED_PAD src0_sel:DWORD src1_sel:WORD_1
	v_subrev_u32_e32 v2, 30, v1
	v_cmp_gt_u32_e64 s[0:1], s1, v0
	s_sub_i32 s5, s7, s18
	v_cndmask_b32_e64 v1, v2, v1, s[0:1]
	s_mul_i32 s1, s5, 0x708
	s_mul_hi_i32 s0, s5, 0x708
	s_waitcnt lgkmcnt(0)
	s_add_u32 s1, s10, s1
	s_addc_u32 s0, s11, s0
	v_lshlrev_b32_e32 v2, 1, v0
	v_cndmask_b32_e32 v1, v7, v1, vcc
	v_mov_b32_e32 v3, s0
	v_add_co_u32_e32 v2, vcc, s1, v2
	v_addc_co_u32_e32 v3, vcc, 0, v3, vcc
	s_movk_i32 s0, 0x383
	v_cmp_lt_u32_e32 vcc, s0, v0
	v_mov_b32_e32 v6, 0
	v_cndmask_b32_e64 v8, 0, 1, vcc
	s_branch .LBB349_10
.LBB349_9:                              ;   in Loop: Header=BB349_10 Depth=1
	s_or_b64 exec, exec, s[0:1]
	s_add_i32 s5, s5, 1
	s_cmp_lt_i32 s5, s4
	s_cbranch_scc0 .LBB349_12
.LBB349_10:                             ; =>This Inner Loop Header: Depth=1
	v_add_u32_e32 v4, s5, v8
	v_cmp_gt_i32_e32 vcc, s4, v4
	s_and_saveexec_b64 s[0:1], vcc
	s_cbranch_execz .LBB349_9
; %bb.11:                               ;   in Loop: Header=BB349_10 Depth=1
	v_ashrrev_i32_e32 v5, 31, v4
	v_lshlrev_b64 v[4:5], 2, v[4:5]
	v_mov_b32_e32 v9, s9
	v_add_co_u32_e32 v4, vcc, s8, v4
	v_addc_co_u32_e32 v5, vcc, v9, v5, vcc
	global_load_dword v4, v[4:5], off
	v_mov_b32_e32 v10, s3
	global_load_ushort v9, v[2:3], off
	s_waitcnt vmcnt(1)
	v_subrev_u32_e32 v4, s18, v4
	v_mad_u64_u32 v[4:5], s[10:11], v4, 30, v[1:2]
	v_ashrrev_i32_e32 v5, 31, v4
	v_lshlrev_b64 v[4:5], 1, v[4:5]
	v_add_co_u32_e32 v4, vcc, s2, v4
	v_addc_co_u32_e32 v5, vcc, v10, v5, vcc
	global_load_ushort v4, v[4:5], off
	v_add_co_u32_e32 v2, vcc, 0x708, v2
	s_waitcnt vmcnt(1)
	v_lshlrev_b32_e32 v5, 16, v9
	v_addc_co_u32_e32 v3, vcc, 0, v3, vcc
	s_waitcnt vmcnt(0)
	v_lshlrev_b32_e32 v4, 16, v4
	v_fmac_f32_e32 v6, v5, v4
	s_branch .LBB349_9
.LBB349_12:
	v_lshlrev_b32_e32 v1, 2, v0
	s_and_b64 vcc, exec, s[20:21]
	ds_write_b32 v1, v6
	s_waitcnt lgkmcnt(0)
	s_barrier
	s_cbranch_vccz .LBB349_24
; %bb.13:
	v_cmp_gt_u16_e32 vcc, 14, v7
	s_and_saveexec_b64 s[0:1], vcc
	s_cbranch_execz .LBB349_15
; %bb.14:
	ds_read2_b32 v[2:3], v1 offset1:16
	s_waitcnt lgkmcnt(0)
	v_add_f32_e32 v2, v3, v2
	ds_write_b32 v1, v2
.LBB349_15:
	s_or_b64 exec, exec, s[0:1]
	v_cmp_gt_u16_e32 vcc, 8, v7
	s_waitcnt lgkmcnt(0)
	s_barrier
	s_and_saveexec_b64 s[0:1], vcc
	s_cbranch_execz .LBB349_17
; %bb.16:
	ds_read2_b32 v[2:3], v1 offset1:8
	s_waitcnt lgkmcnt(0)
	v_add_f32_e32 v2, v3, v2
	ds_write_b32 v1, v2
.LBB349_17:
	s_or_b64 exec, exec, s[0:1]
	v_cmp_gt_u16_e32 vcc, 4, v7
	s_waitcnt lgkmcnt(0)
	s_barrier
	;; [unrolled: 12-line block ×3, first 2 shown]
	s_and_saveexec_b64 s[0:1], vcc
	s_cbranch_execz .LBB349_21
; %bb.20:
	ds_read2_b32 v[2:3], v1 offset1:2
	s_waitcnt lgkmcnt(0)
	v_add_f32_e32 v2, v3, v2
	ds_write_b32 v1, v2
.LBB349_21:
	s_or_b64 exec, exec, s[0:1]
	v_cmp_gt_u32_e32 vcc, 30, v0
	v_mov_b32_e32 v2, v6
	s_waitcnt lgkmcnt(0)
	s_barrier
	s_and_saveexec_b64 s[0:1], vcc
	s_cbranch_execz .LBB349_23
; %bb.22:
	s_movk_i32 s2, 0x74
	v_mad_u32_u24 v2, v0, s2, v1
	ds_read_b64 v[2:3], v2
	s_waitcnt lgkmcnt(0)
	v_add_f32_e32 v2, v2, v3
.LBB349_23:
	s_or_b64 exec, exec, s[0:1]
	s_branch .LBB349_36
.LBB349_24:
                                        ; implicit-def: $vgpr2
	s_cbranch_execz .LBB349_36
; %bb.25:
	s_movk_i32 s0, 0x1a4
	v_cmp_gt_u32_e32 vcc, s0, v0
	s_and_saveexec_b64 s[0:1], vcc
	s_cbranch_execz .LBB349_27
; %bb.26:
	ds_read_b32 v2, v1 offset:1920
	ds_read_b32 v3, v1
	s_waitcnt lgkmcnt(0)
	v_add_f32_e32 v2, v2, v3
	ds_write_b32 v1, v2
.LBB349_27:
	s_or_b64 exec, exec, s[0:1]
	s_movk_i32 s0, 0xf0
	v_cmp_gt_u32_e32 vcc, s0, v0
	s_waitcnt lgkmcnt(0)
	s_barrier
	s_and_saveexec_b64 s[0:1], vcc
	s_cbranch_execz .LBB349_29
; %bb.28:
	ds_read2_b32 v[2:3], v1 offset1:240
	s_waitcnt lgkmcnt(0)
	v_add_f32_e32 v2, v3, v2
	ds_write_b32 v1, v2
.LBB349_29:
	s_or_b64 exec, exec, s[0:1]
	s_movk_i32 s0, 0x78
	v_cmp_gt_u32_e32 vcc, s0, v0
	s_waitcnt lgkmcnt(0)
	s_barrier
	s_and_saveexec_b64 s[0:1], vcc
	s_cbranch_execz .LBB349_31
; %bb.30:
	ds_read2_b32 v[2:3], v1 offset1:120
	s_waitcnt lgkmcnt(0)
	v_add_f32_e32 v2, v3, v2
	ds_write_b32 v1, v2
.LBB349_31:
	s_or_b64 exec, exec, s[0:1]
	v_cmp_gt_u32_e32 vcc, 60, v0
	s_waitcnt lgkmcnt(0)
	s_barrier
	s_and_saveexec_b64 s[0:1], vcc
	s_cbranch_execz .LBB349_33
; %bb.32:
	ds_read2_b32 v[2:3], v1 offset1:60
	s_waitcnt lgkmcnt(0)
	v_add_f32_e32 v2, v3, v2
	ds_write_b32 v1, v2
.LBB349_33:
	s_or_b64 exec, exec, s[0:1]
	v_cmp_gt_u32_e32 vcc, 30, v0
	s_waitcnt lgkmcnt(0)
	s_and_saveexec_b64 s[0:1], vcc
	s_cbranch_execz .LBB349_35
; %bb.34:
	ds_read2_b32 v[1:2], v1 offset1:30
	s_waitcnt lgkmcnt(0)
	v_add_f32_e32 v6, v1, v2
.LBB349_35:
	s_or_b64 exec, exec, s[0:1]
	v_mov_b32_e32 v2, v6
.LBB349_36:
	v_cmp_gt_u32_e32 vcc, 30, v0
	s_and_saveexec_b64 s[0:1], vcc
	s_cbranch_execz .LBB349_40
; %bb.37:
	v_cmp_eq_f32_e64 s[0:1], s12, 0
	s_and_b64 vcc, exec, s[0:1]
	v_mul_f32_e32 v1, s14, v2
	s_cbranch_vccz .LBB349_41
; %bb.38:
	v_mad_u64_u32 v[2:3], s[0:1], s6, 30, v[0:1]
	v_mov_b32_e32 v3, 0
	v_mov_b32_e32 v4, s17
	v_lshlrev_b64 v[2:3], 2, v[2:3]
	v_add_co_u32_e32 v2, vcc, s16, v2
	v_addc_co_u32_e32 v3, vcc, v4, v3, vcc
	global_store_dword v[2:3], v1, off
	s_cbranch_execnz .LBB349_40
.LBB349_39:
	v_mad_u64_u32 v[2:3], s[0:1], s6, 30, v[0:1]
	v_mov_b32_e32 v3, 0
	v_mov_b32_e32 v0, s17
	v_lshlrev_b64 v[2:3], 2, v[2:3]
	v_add_co_u32_e32 v2, vcc, s16, v2
	v_addc_co_u32_e32 v3, vcc, v0, v3, vcc
	global_load_dword v0, v[2:3], off
	s_waitcnt vmcnt(0)
	v_fmac_f32_e32 v1, s12, v0
	global_store_dword v[2:3], v1, off
.LBB349_40:
	s_endpgm
.LBB349_41:
	s_branch .LBB349_39
	.section	.rodata,"a",@progbits
	.p2align	6, 0x0
	.amdhsa_kernel _ZN9rocsparseL20bsrxmvn_17_32_kernelILj30Efii18rocsparse_bfloat16S1_fEEvT2_20rocsparse_direction_NS_24const_host_device_scalarIT0_EES2_PKS2_PKT1_SB_S8_PKT3_PKT4_S6_PT5_21rocsparse_index_base_b
		.amdhsa_group_segment_fixed_size 3600
		.amdhsa_private_segment_fixed_size 0
		.amdhsa_kernarg_size 96
		.amdhsa_user_sgpr_count 6
		.amdhsa_user_sgpr_private_segment_buffer 1
		.amdhsa_user_sgpr_dispatch_ptr 0
		.amdhsa_user_sgpr_queue_ptr 0
		.amdhsa_user_sgpr_kernarg_segment_ptr 1
		.amdhsa_user_sgpr_dispatch_id 0
		.amdhsa_user_sgpr_flat_scratch_init 0
		.amdhsa_user_sgpr_private_segment_size 0
		.amdhsa_uses_dynamic_stack 0
		.amdhsa_system_sgpr_private_segment_wavefront_offset 0
		.amdhsa_system_sgpr_workgroup_id_x 1
		.amdhsa_system_sgpr_workgroup_id_y 0
		.amdhsa_system_sgpr_workgroup_id_z 0
		.amdhsa_system_sgpr_workgroup_info 0
		.amdhsa_system_vgpr_workitem_id 0
		.amdhsa_next_free_vgpr 29
		.amdhsa_next_free_sgpr 61
		.amdhsa_reserve_vcc 1
		.amdhsa_reserve_flat_scratch 0
		.amdhsa_float_round_mode_32 0
		.amdhsa_float_round_mode_16_64 0
		.amdhsa_float_denorm_mode_32 3
		.amdhsa_float_denorm_mode_16_64 3
		.amdhsa_dx10_clamp 1
		.amdhsa_ieee_mode 1
		.amdhsa_fp16_overflow 0
		.amdhsa_exception_fp_ieee_invalid_op 0
		.amdhsa_exception_fp_denorm_src 0
		.amdhsa_exception_fp_ieee_div_zero 0
		.amdhsa_exception_fp_ieee_overflow 0
		.amdhsa_exception_fp_ieee_underflow 0
		.amdhsa_exception_fp_ieee_inexact 0
		.amdhsa_exception_int_div_zero 0
	.end_amdhsa_kernel
	.section	.text._ZN9rocsparseL20bsrxmvn_17_32_kernelILj30Efii18rocsparse_bfloat16S1_fEEvT2_20rocsparse_direction_NS_24const_host_device_scalarIT0_EES2_PKS2_PKT1_SB_S8_PKT3_PKT4_S6_PT5_21rocsparse_index_base_b,"axG",@progbits,_ZN9rocsparseL20bsrxmvn_17_32_kernelILj30Efii18rocsparse_bfloat16S1_fEEvT2_20rocsparse_direction_NS_24const_host_device_scalarIT0_EES2_PKS2_PKT1_SB_S8_PKT3_PKT4_S6_PT5_21rocsparse_index_base_b,comdat
.Lfunc_end349:
	.size	_ZN9rocsparseL20bsrxmvn_17_32_kernelILj30Efii18rocsparse_bfloat16S1_fEEvT2_20rocsparse_direction_NS_24const_host_device_scalarIT0_EES2_PKS2_PKT1_SB_S8_PKT3_PKT4_S6_PT5_21rocsparse_index_base_b, .Lfunc_end349-_ZN9rocsparseL20bsrxmvn_17_32_kernelILj30Efii18rocsparse_bfloat16S1_fEEvT2_20rocsparse_direction_NS_24const_host_device_scalarIT0_EES2_PKS2_PKT1_SB_S8_PKT3_PKT4_S6_PT5_21rocsparse_index_base_b
                                        ; -- End function
	.set _ZN9rocsparseL20bsrxmvn_17_32_kernelILj30Efii18rocsparse_bfloat16S1_fEEvT2_20rocsparse_direction_NS_24const_host_device_scalarIT0_EES2_PKS2_PKT1_SB_S8_PKT3_PKT4_S6_PT5_21rocsparse_index_base_b.num_vgpr, 11
	.set _ZN9rocsparseL20bsrxmvn_17_32_kernelILj30Efii18rocsparse_bfloat16S1_fEEvT2_20rocsparse_direction_NS_24const_host_device_scalarIT0_EES2_PKS2_PKT1_SB_S8_PKT3_PKT4_S6_PT5_21rocsparse_index_base_b.num_agpr, 0
	.set _ZN9rocsparseL20bsrxmvn_17_32_kernelILj30Efii18rocsparse_bfloat16S1_fEEvT2_20rocsparse_direction_NS_24const_host_device_scalarIT0_EES2_PKS2_PKT1_SB_S8_PKT3_PKT4_S6_PT5_21rocsparse_index_base_b.numbered_sgpr, 22
	.set _ZN9rocsparseL20bsrxmvn_17_32_kernelILj30Efii18rocsparse_bfloat16S1_fEEvT2_20rocsparse_direction_NS_24const_host_device_scalarIT0_EES2_PKS2_PKT1_SB_S8_PKT3_PKT4_S6_PT5_21rocsparse_index_base_b.num_named_barrier, 0
	.set _ZN9rocsparseL20bsrxmvn_17_32_kernelILj30Efii18rocsparse_bfloat16S1_fEEvT2_20rocsparse_direction_NS_24const_host_device_scalarIT0_EES2_PKS2_PKT1_SB_S8_PKT3_PKT4_S6_PT5_21rocsparse_index_base_b.private_seg_size, 0
	.set _ZN9rocsparseL20bsrxmvn_17_32_kernelILj30Efii18rocsparse_bfloat16S1_fEEvT2_20rocsparse_direction_NS_24const_host_device_scalarIT0_EES2_PKS2_PKT1_SB_S8_PKT3_PKT4_S6_PT5_21rocsparse_index_base_b.uses_vcc, 1
	.set _ZN9rocsparseL20bsrxmvn_17_32_kernelILj30Efii18rocsparse_bfloat16S1_fEEvT2_20rocsparse_direction_NS_24const_host_device_scalarIT0_EES2_PKS2_PKT1_SB_S8_PKT3_PKT4_S6_PT5_21rocsparse_index_base_b.uses_flat_scratch, 0
	.set _ZN9rocsparseL20bsrxmvn_17_32_kernelILj30Efii18rocsparse_bfloat16S1_fEEvT2_20rocsparse_direction_NS_24const_host_device_scalarIT0_EES2_PKS2_PKT1_SB_S8_PKT3_PKT4_S6_PT5_21rocsparse_index_base_b.has_dyn_sized_stack, 0
	.set _ZN9rocsparseL20bsrxmvn_17_32_kernelILj30Efii18rocsparse_bfloat16S1_fEEvT2_20rocsparse_direction_NS_24const_host_device_scalarIT0_EES2_PKS2_PKT1_SB_S8_PKT3_PKT4_S6_PT5_21rocsparse_index_base_b.has_recursion, 0
	.set _ZN9rocsparseL20bsrxmvn_17_32_kernelILj30Efii18rocsparse_bfloat16S1_fEEvT2_20rocsparse_direction_NS_24const_host_device_scalarIT0_EES2_PKS2_PKT1_SB_S8_PKT3_PKT4_S6_PT5_21rocsparse_index_base_b.has_indirect_call, 0
	.section	.AMDGPU.csdata,"",@progbits
; Kernel info:
; codeLenInByte = 1252
; TotalNumSgprs: 26
; NumVgprs: 11
; ScratchSize: 0
; MemoryBound: 0
; FloatMode: 240
; IeeeMode: 1
; LDSByteSize: 3600 bytes/workgroup (compile time only)
; SGPRBlocks: 8
; VGPRBlocks: 7
; NumSGPRsForWavesPerEU: 65
; NumVGPRsForWavesPerEU: 29
; Occupancy: 8
; WaveLimiterHint : 1
; COMPUTE_PGM_RSRC2:SCRATCH_EN: 0
; COMPUTE_PGM_RSRC2:USER_SGPR: 6
; COMPUTE_PGM_RSRC2:TRAP_HANDLER: 0
; COMPUTE_PGM_RSRC2:TGID_X_EN: 1
; COMPUTE_PGM_RSRC2:TGID_Y_EN: 0
; COMPUTE_PGM_RSRC2:TGID_Z_EN: 0
; COMPUTE_PGM_RSRC2:TIDIG_COMP_CNT: 0
	.section	.text._ZN9rocsparseL20bsrxmvn_17_32_kernelILj31Efii18rocsparse_bfloat16S1_fEEvT2_20rocsparse_direction_NS_24const_host_device_scalarIT0_EES2_PKS2_PKT1_SB_S8_PKT3_PKT4_S6_PT5_21rocsparse_index_base_b,"axG",@progbits,_ZN9rocsparseL20bsrxmvn_17_32_kernelILj31Efii18rocsparse_bfloat16S1_fEEvT2_20rocsparse_direction_NS_24const_host_device_scalarIT0_EES2_PKS2_PKT1_SB_S8_PKT3_PKT4_S6_PT5_21rocsparse_index_base_b,comdat
	.globl	_ZN9rocsparseL20bsrxmvn_17_32_kernelILj31Efii18rocsparse_bfloat16S1_fEEvT2_20rocsparse_direction_NS_24const_host_device_scalarIT0_EES2_PKS2_PKT1_SB_S8_PKT3_PKT4_S6_PT5_21rocsparse_index_base_b ; -- Begin function _ZN9rocsparseL20bsrxmvn_17_32_kernelILj31Efii18rocsparse_bfloat16S1_fEEvT2_20rocsparse_direction_NS_24const_host_device_scalarIT0_EES2_PKS2_PKT1_SB_S8_PKT3_PKT4_S6_PT5_21rocsparse_index_base_b
	.p2align	8
	.type	_ZN9rocsparseL20bsrxmvn_17_32_kernelILj31Efii18rocsparse_bfloat16S1_fEEvT2_20rocsparse_direction_NS_24const_host_device_scalarIT0_EES2_PKS2_PKT1_SB_S8_PKT3_PKT4_S6_PT5_21rocsparse_index_base_b,@function
_ZN9rocsparseL20bsrxmvn_17_32_kernelILj31Efii18rocsparse_bfloat16S1_fEEvT2_20rocsparse_direction_NS_24const_host_device_scalarIT0_EES2_PKS2_PKT1_SB_S8_PKT3_PKT4_S6_PT5_21rocsparse_index_base_b: ; @_ZN9rocsparseL20bsrxmvn_17_32_kernelILj31Efii18rocsparse_bfloat16S1_fEEvT2_20rocsparse_direction_NS_24const_host_device_scalarIT0_EES2_PKS2_PKT1_SB_S8_PKT3_PKT4_S6_PT5_21rocsparse_index_base_b
; %bb.0:
	s_load_dwordx2 s[18:19], s[4:5], 0x58
	s_load_dwordx2 s[14:15], s[4:5], 0x8
	;; [unrolled: 1-line block ×3, first 2 shown]
	s_waitcnt lgkmcnt(0)
	s_bitcmp1_b32 s19, 0
	s_cselect_b64 s[2:3], -1, 0
	s_xor_b64 s[0:1], s[2:3], -1
	s_and_b64 vcc, exec, s[2:3]
	s_cbranch_vccnz .LBB350_2
; %bb.1:
	s_load_dword s14, s[14:15], 0x0
.LBB350_2:
	s_andn2_b64 vcc, exec, s[0:1]
	s_cbranch_vccnz .LBB350_4
; %bb.3:
	s_load_dword s12, s[12:13], 0x0
.LBB350_4:
	s_waitcnt lgkmcnt(0)
	v_cmp_neq_f32_e64 s[0:1], s14, 0
	v_cmp_neq_f32_e64 s[2:3], s12, 1.0
	s_or_b64 s[0:1], s[0:1], s[2:3]
	s_andn2_b64 vcc, exec, s[0:1]
	s_cbranch_vccnz .LBB350_40
; %bb.5:
	s_load_dwordx4 s[0:3], s[4:5], 0x18
	s_load_dwordx2 s[8:9], s[4:5], 0x28
	s_waitcnt lgkmcnt(0)
	s_cmp_eq_u64 s[0:1], 0
	s_cbranch_scc1 .LBB350_7
; %bb.6:
	s_ashr_i32 s7, s6, 31
	s_lshl_b64 s[6:7], s[6:7], 2
	s_add_u32 s0, s0, s6
	s_addc_u32 s1, s1, s7
	s_load_dword s0, s[0:1], 0x0
	s_waitcnt lgkmcnt(0)
	s_sub_i32 s6, s0, s18
.LBB350_7:
	s_load_dword s0, s[4:5], 0x4
	s_load_dwordx2 s[16:17], s[4:5], 0x50
	v_mul_u32_u24_e32 v1, 0x843, v0
	v_mov_b32_e32 v2, 31
	v_mul_lo_u16_sdwa v2, v1, v2 dst_sel:DWORD dst_unused:UNUSED_PAD src0_sel:WORD_1 src1_sel:DWORD
	s_waitcnt lgkmcnt(0)
	s_cmp_eq_u32 s0, 1
	s_cselect_b64 vcc, -1, 0
	s_cmp_lg_u32 s0, 1
	s_cselect_b64 s[20:21], -1, 0
	s_ashr_i32 s7, s6, 31
	s_lshl_b64 s[0:1], s[6:7], 2
	s_add_u32 s2, s2, s0
	s_addc_u32 s3, s3, s1
	s_load_dword s7, s[2:3], 0x0
	s_add_u32 s2, s2, 4
	s_addc_u32 s3, s3, 0
	s_add_u32 s0, s8, s0
	s_addc_u32 s1, s9, s1
	s_cmp_eq_u64 s[8:9], 0
	s_cselect_b32 s1, s3, s1
	s_cselect_b32 s0, s2, s0
	s_load_dword s0, s[0:1], 0x0
	v_sub_u16_e32 v7, v0, v2
	v_mov_b32_e32 v6, 0
	s_waitcnt lgkmcnt(0)
	s_cmp_ge_i32 s7, s0
	s_cbranch_scc1 .LBB350_12
; %bb.8:
	s_load_dwordx4 s[8:11], s[4:5], 0x30
	s_load_dwordx2 s[2:3], s[4:5], 0x40
	s_sub_i32 s4, s0, s18
	s_mov_b32 s0, 0xffff
	s_movk_i32 s1, 0x3c1
	v_and_b32_sdwa v1, s0, v1 dst_sel:DWORD dst_unused:UNUSED_PAD src0_sel:DWORD src1_sel:WORD_1
	v_subrev_u32_e32 v2, 31, v1
	v_cmp_gt_u32_e64 s[0:1], s1, v0
	s_sub_i32 s5, s7, s18
	v_cndmask_b32_e64 v1, v2, v1, s[0:1]
	s_mul_i32 s1, s5, 0x782
	s_mul_hi_i32 s0, s5, 0x782
	s_waitcnt lgkmcnt(0)
	s_add_u32 s1, s10, s1
	s_addc_u32 s0, s11, s0
	v_lshlrev_b32_e32 v2, 1, v0
	v_cndmask_b32_e32 v1, v7, v1, vcc
	v_mov_b32_e32 v3, s0
	v_add_co_u32_e32 v2, vcc, s1, v2
	v_addc_co_u32_e32 v3, vcc, 0, v3, vcc
	s_movk_i32 s0, 0x3c0
	v_cmp_lt_u32_e32 vcc, s0, v0
	v_mov_b32_e32 v6, 0
	v_cndmask_b32_e64 v8, 0, 1, vcc
	s_branch .LBB350_10
.LBB350_9:                              ;   in Loop: Header=BB350_10 Depth=1
	s_or_b64 exec, exec, s[0:1]
	s_add_i32 s5, s5, 1
	s_cmp_lt_i32 s5, s4
	s_cbranch_scc0 .LBB350_12
.LBB350_10:                             ; =>This Inner Loop Header: Depth=1
	v_add_u32_e32 v4, s5, v8
	v_cmp_gt_i32_e32 vcc, s4, v4
	s_and_saveexec_b64 s[0:1], vcc
	s_cbranch_execz .LBB350_9
; %bb.11:                               ;   in Loop: Header=BB350_10 Depth=1
	v_ashrrev_i32_e32 v5, 31, v4
	v_lshlrev_b64 v[4:5], 2, v[4:5]
	v_mov_b32_e32 v9, s9
	v_add_co_u32_e32 v4, vcc, s8, v4
	v_addc_co_u32_e32 v5, vcc, v9, v5, vcc
	global_load_dword v4, v[4:5], off
	v_mov_b32_e32 v10, s3
	global_load_ushort v9, v[2:3], off
	s_waitcnt vmcnt(1)
	v_subrev_u32_e32 v4, s18, v4
	v_mad_u64_u32 v[4:5], s[10:11], v4, 31, v[1:2]
	v_ashrrev_i32_e32 v5, 31, v4
	v_lshlrev_b64 v[4:5], 1, v[4:5]
	v_add_co_u32_e32 v4, vcc, s2, v4
	v_addc_co_u32_e32 v5, vcc, v10, v5, vcc
	global_load_ushort v4, v[4:5], off
	v_add_co_u32_e32 v2, vcc, 0x782, v2
	s_waitcnt vmcnt(1)
	v_lshlrev_b32_e32 v5, 16, v9
	v_addc_co_u32_e32 v3, vcc, 0, v3, vcc
	s_waitcnt vmcnt(0)
	v_lshlrev_b32_e32 v4, 16, v4
	v_fmac_f32_e32 v6, v5, v4
	s_branch .LBB350_9
.LBB350_12:
	v_lshlrev_b32_e32 v1, 2, v0
	s_and_b64 vcc, exec, s[20:21]
	ds_write_b32 v1, v6
	s_waitcnt lgkmcnt(0)
	s_barrier
	s_cbranch_vccz .LBB350_24
; %bb.13:
	v_cmp_gt_u16_e32 vcc, 15, v7
	s_and_saveexec_b64 s[0:1], vcc
	s_cbranch_execz .LBB350_15
; %bb.14:
	ds_read2_b32 v[2:3], v1 offset1:16
	s_waitcnt lgkmcnt(0)
	v_add_f32_e32 v2, v3, v2
	ds_write_b32 v1, v2
.LBB350_15:
	s_or_b64 exec, exec, s[0:1]
	v_cmp_gt_u16_e32 vcc, 8, v7
	s_waitcnt lgkmcnt(0)
	s_barrier
	s_and_saveexec_b64 s[0:1], vcc
	s_cbranch_execz .LBB350_17
; %bb.16:
	ds_read2_b32 v[2:3], v1 offset1:8
	s_waitcnt lgkmcnt(0)
	v_add_f32_e32 v2, v3, v2
	ds_write_b32 v1, v2
.LBB350_17:
	s_or_b64 exec, exec, s[0:1]
	v_cmp_gt_u16_e32 vcc, 4, v7
	s_waitcnt lgkmcnt(0)
	s_barrier
	;; [unrolled: 12-line block ×3, first 2 shown]
	s_and_saveexec_b64 s[0:1], vcc
	s_cbranch_execz .LBB350_21
; %bb.20:
	ds_read2_b32 v[2:3], v1 offset1:2
	s_waitcnt lgkmcnt(0)
	v_add_f32_e32 v2, v3, v2
	ds_write_b32 v1, v2
.LBB350_21:
	s_or_b64 exec, exec, s[0:1]
	v_cmp_gt_u32_e32 vcc, 31, v0
	v_mov_b32_e32 v2, v6
	s_waitcnt lgkmcnt(0)
	s_barrier
	s_and_saveexec_b64 s[0:1], vcc
	s_cbranch_execz .LBB350_23
; %bb.22:
	s_movk_i32 s2, 0x78
	v_mad_u32_u24 v2, v0, s2, v1
	ds_read2_b32 v[2:3], v2 offset1:1
	s_waitcnt lgkmcnt(0)
	v_add_f32_e32 v2, v2, v3
.LBB350_23:
	s_or_b64 exec, exec, s[0:1]
	s_branch .LBB350_36
.LBB350_24:
                                        ; implicit-def: $vgpr2
	s_cbranch_execz .LBB350_36
; %bb.25:
	s_movk_i32 s0, 0x1d1
	v_cmp_gt_u32_e32 vcc, s0, v0
	s_and_saveexec_b64 s[0:1], vcc
	s_cbranch_execz .LBB350_27
; %bb.26:
	ds_read_b32 v2, v1 offset:1984
	ds_read_b32 v3, v1
	s_waitcnt lgkmcnt(0)
	v_add_f32_e32 v2, v2, v3
	ds_write_b32 v1, v2
.LBB350_27:
	s_or_b64 exec, exec, s[0:1]
	s_movk_i32 s0, 0xf8
	v_cmp_gt_u32_e32 vcc, s0, v0
	s_waitcnt lgkmcnt(0)
	s_barrier
	s_and_saveexec_b64 s[0:1], vcc
	s_cbranch_execz .LBB350_29
; %bb.28:
	ds_read2_b32 v[2:3], v1 offset1:248
	s_waitcnt lgkmcnt(0)
	v_add_f32_e32 v2, v3, v2
	ds_write_b32 v1, v2
.LBB350_29:
	s_or_b64 exec, exec, s[0:1]
	s_movk_i32 s0, 0x7c
	v_cmp_gt_u32_e32 vcc, s0, v0
	s_waitcnt lgkmcnt(0)
	s_barrier
	s_and_saveexec_b64 s[0:1], vcc
	s_cbranch_execz .LBB350_31
; %bb.30:
	ds_read2_b32 v[2:3], v1 offset1:124
	s_waitcnt lgkmcnt(0)
	v_add_f32_e32 v2, v3, v2
	ds_write_b32 v1, v2
.LBB350_31:
	s_or_b64 exec, exec, s[0:1]
	v_cmp_gt_u32_e32 vcc, 62, v0
	s_waitcnt lgkmcnt(0)
	s_barrier
	s_and_saveexec_b64 s[0:1], vcc
	s_cbranch_execz .LBB350_33
; %bb.32:
	ds_read2_b32 v[2:3], v1 offset1:62
	s_waitcnt lgkmcnt(0)
	v_add_f32_e32 v2, v3, v2
	ds_write_b32 v1, v2
.LBB350_33:
	s_or_b64 exec, exec, s[0:1]
	v_cmp_gt_u32_e32 vcc, 31, v0
	s_waitcnt lgkmcnt(0)
	s_and_saveexec_b64 s[0:1], vcc
	s_cbranch_execz .LBB350_35
; %bb.34:
	ds_read2_b32 v[1:2], v1 offset1:31
	s_waitcnt lgkmcnt(0)
	v_add_f32_e32 v6, v1, v2
.LBB350_35:
	s_or_b64 exec, exec, s[0:1]
	v_mov_b32_e32 v2, v6
.LBB350_36:
	v_cmp_gt_u32_e32 vcc, 31, v0
	s_and_saveexec_b64 s[0:1], vcc
	s_cbranch_execz .LBB350_40
; %bb.37:
	v_cmp_eq_f32_e64 s[0:1], s12, 0
	s_and_b64 vcc, exec, s[0:1]
	v_mul_f32_e32 v1, s14, v2
	s_cbranch_vccz .LBB350_41
; %bb.38:
	v_mad_u64_u32 v[2:3], s[0:1], s6, 31, v[0:1]
	v_mov_b32_e32 v3, 0
	v_mov_b32_e32 v4, s17
	v_lshlrev_b64 v[2:3], 2, v[2:3]
	v_add_co_u32_e32 v2, vcc, s16, v2
	v_addc_co_u32_e32 v3, vcc, v4, v3, vcc
	global_store_dword v[2:3], v1, off
	s_cbranch_execnz .LBB350_40
.LBB350_39:
	v_mad_u64_u32 v[2:3], s[0:1], s6, 31, v[0:1]
	v_mov_b32_e32 v3, 0
	v_mov_b32_e32 v0, s17
	v_lshlrev_b64 v[2:3], 2, v[2:3]
	v_add_co_u32_e32 v2, vcc, s16, v2
	v_addc_co_u32_e32 v3, vcc, v0, v3, vcc
	global_load_dword v0, v[2:3], off
	s_waitcnt vmcnt(0)
	v_fmac_f32_e32 v1, s12, v0
	global_store_dword v[2:3], v1, off
.LBB350_40:
	s_endpgm
.LBB350_41:
	s_branch .LBB350_39
	.section	.rodata,"a",@progbits
	.p2align	6, 0x0
	.amdhsa_kernel _ZN9rocsparseL20bsrxmvn_17_32_kernelILj31Efii18rocsparse_bfloat16S1_fEEvT2_20rocsparse_direction_NS_24const_host_device_scalarIT0_EES2_PKS2_PKT1_SB_S8_PKT3_PKT4_S6_PT5_21rocsparse_index_base_b
		.amdhsa_group_segment_fixed_size 3844
		.amdhsa_private_segment_fixed_size 0
		.amdhsa_kernarg_size 96
		.amdhsa_user_sgpr_count 6
		.amdhsa_user_sgpr_private_segment_buffer 1
		.amdhsa_user_sgpr_dispatch_ptr 0
		.amdhsa_user_sgpr_queue_ptr 0
		.amdhsa_user_sgpr_kernarg_segment_ptr 1
		.amdhsa_user_sgpr_dispatch_id 0
		.amdhsa_user_sgpr_flat_scratch_init 0
		.amdhsa_user_sgpr_private_segment_size 0
		.amdhsa_uses_dynamic_stack 0
		.amdhsa_system_sgpr_private_segment_wavefront_offset 0
		.amdhsa_system_sgpr_workgroup_id_x 1
		.amdhsa_system_sgpr_workgroup_id_y 0
		.amdhsa_system_sgpr_workgroup_id_z 0
		.amdhsa_system_sgpr_workgroup_info 0
		.amdhsa_system_vgpr_workitem_id 0
		.amdhsa_next_free_vgpr 29
		.amdhsa_next_free_sgpr 61
		.amdhsa_reserve_vcc 1
		.amdhsa_reserve_flat_scratch 0
		.amdhsa_float_round_mode_32 0
		.amdhsa_float_round_mode_16_64 0
		.amdhsa_float_denorm_mode_32 3
		.amdhsa_float_denorm_mode_16_64 3
		.amdhsa_dx10_clamp 1
		.amdhsa_ieee_mode 1
		.amdhsa_fp16_overflow 0
		.amdhsa_exception_fp_ieee_invalid_op 0
		.amdhsa_exception_fp_denorm_src 0
		.amdhsa_exception_fp_ieee_div_zero 0
		.amdhsa_exception_fp_ieee_overflow 0
		.amdhsa_exception_fp_ieee_underflow 0
		.amdhsa_exception_fp_ieee_inexact 0
		.amdhsa_exception_int_div_zero 0
	.end_amdhsa_kernel
	.section	.text._ZN9rocsparseL20bsrxmvn_17_32_kernelILj31Efii18rocsparse_bfloat16S1_fEEvT2_20rocsparse_direction_NS_24const_host_device_scalarIT0_EES2_PKS2_PKT1_SB_S8_PKT3_PKT4_S6_PT5_21rocsparse_index_base_b,"axG",@progbits,_ZN9rocsparseL20bsrxmvn_17_32_kernelILj31Efii18rocsparse_bfloat16S1_fEEvT2_20rocsparse_direction_NS_24const_host_device_scalarIT0_EES2_PKS2_PKT1_SB_S8_PKT3_PKT4_S6_PT5_21rocsparse_index_base_b,comdat
.Lfunc_end350:
	.size	_ZN9rocsparseL20bsrxmvn_17_32_kernelILj31Efii18rocsparse_bfloat16S1_fEEvT2_20rocsparse_direction_NS_24const_host_device_scalarIT0_EES2_PKS2_PKT1_SB_S8_PKT3_PKT4_S6_PT5_21rocsparse_index_base_b, .Lfunc_end350-_ZN9rocsparseL20bsrxmvn_17_32_kernelILj31Efii18rocsparse_bfloat16S1_fEEvT2_20rocsparse_direction_NS_24const_host_device_scalarIT0_EES2_PKS2_PKT1_SB_S8_PKT3_PKT4_S6_PT5_21rocsparse_index_base_b
                                        ; -- End function
	.set _ZN9rocsparseL20bsrxmvn_17_32_kernelILj31Efii18rocsparse_bfloat16S1_fEEvT2_20rocsparse_direction_NS_24const_host_device_scalarIT0_EES2_PKS2_PKT1_SB_S8_PKT3_PKT4_S6_PT5_21rocsparse_index_base_b.num_vgpr, 11
	.set _ZN9rocsparseL20bsrxmvn_17_32_kernelILj31Efii18rocsparse_bfloat16S1_fEEvT2_20rocsparse_direction_NS_24const_host_device_scalarIT0_EES2_PKS2_PKT1_SB_S8_PKT3_PKT4_S6_PT5_21rocsparse_index_base_b.num_agpr, 0
	.set _ZN9rocsparseL20bsrxmvn_17_32_kernelILj31Efii18rocsparse_bfloat16S1_fEEvT2_20rocsparse_direction_NS_24const_host_device_scalarIT0_EES2_PKS2_PKT1_SB_S8_PKT3_PKT4_S6_PT5_21rocsparse_index_base_b.numbered_sgpr, 22
	.set _ZN9rocsparseL20bsrxmvn_17_32_kernelILj31Efii18rocsparse_bfloat16S1_fEEvT2_20rocsparse_direction_NS_24const_host_device_scalarIT0_EES2_PKS2_PKT1_SB_S8_PKT3_PKT4_S6_PT5_21rocsparse_index_base_b.num_named_barrier, 0
	.set _ZN9rocsparseL20bsrxmvn_17_32_kernelILj31Efii18rocsparse_bfloat16S1_fEEvT2_20rocsparse_direction_NS_24const_host_device_scalarIT0_EES2_PKS2_PKT1_SB_S8_PKT3_PKT4_S6_PT5_21rocsparse_index_base_b.private_seg_size, 0
	.set _ZN9rocsparseL20bsrxmvn_17_32_kernelILj31Efii18rocsparse_bfloat16S1_fEEvT2_20rocsparse_direction_NS_24const_host_device_scalarIT0_EES2_PKS2_PKT1_SB_S8_PKT3_PKT4_S6_PT5_21rocsparse_index_base_b.uses_vcc, 1
	.set _ZN9rocsparseL20bsrxmvn_17_32_kernelILj31Efii18rocsparse_bfloat16S1_fEEvT2_20rocsparse_direction_NS_24const_host_device_scalarIT0_EES2_PKS2_PKT1_SB_S8_PKT3_PKT4_S6_PT5_21rocsparse_index_base_b.uses_flat_scratch, 0
	.set _ZN9rocsparseL20bsrxmvn_17_32_kernelILj31Efii18rocsparse_bfloat16S1_fEEvT2_20rocsparse_direction_NS_24const_host_device_scalarIT0_EES2_PKS2_PKT1_SB_S8_PKT3_PKT4_S6_PT5_21rocsparse_index_base_b.has_dyn_sized_stack, 0
	.set _ZN9rocsparseL20bsrxmvn_17_32_kernelILj31Efii18rocsparse_bfloat16S1_fEEvT2_20rocsparse_direction_NS_24const_host_device_scalarIT0_EES2_PKS2_PKT1_SB_S8_PKT3_PKT4_S6_PT5_21rocsparse_index_base_b.has_recursion, 0
	.set _ZN9rocsparseL20bsrxmvn_17_32_kernelILj31Efii18rocsparse_bfloat16S1_fEEvT2_20rocsparse_direction_NS_24const_host_device_scalarIT0_EES2_PKS2_PKT1_SB_S8_PKT3_PKT4_S6_PT5_21rocsparse_index_base_b.has_indirect_call, 0
	.section	.AMDGPU.csdata,"",@progbits
; Kernel info:
; codeLenInByte = 1252
; TotalNumSgprs: 26
; NumVgprs: 11
; ScratchSize: 0
; MemoryBound: 0
; FloatMode: 240
; IeeeMode: 1
; LDSByteSize: 3844 bytes/workgroup (compile time only)
; SGPRBlocks: 8
; VGPRBlocks: 7
; NumSGPRsForWavesPerEU: 65
; NumVGPRsForWavesPerEU: 29
; Occupancy: 8
; WaveLimiterHint : 1
; COMPUTE_PGM_RSRC2:SCRATCH_EN: 0
; COMPUTE_PGM_RSRC2:USER_SGPR: 6
; COMPUTE_PGM_RSRC2:TRAP_HANDLER: 0
; COMPUTE_PGM_RSRC2:TGID_X_EN: 1
; COMPUTE_PGM_RSRC2:TGID_Y_EN: 0
; COMPUTE_PGM_RSRC2:TGID_Z_EN: 0
; COMPUTE_PGM_RSRC2:TIDIG_COMP_CNT: 0
	.section	.text._ZN9rocsparseL20bsrxmvn_17_32_kernelILj32Efii18rocsparse_bfloat16S1_fEEvT2_20rocsparse_direction_NS_24const_host_device_scalarIT0_EES2_PKS2_PKT1_SB_S8_PKT3_PKT4_S6_PT5_21rocsparse_index_base_b,"axG",@progbits,_ZN9rocsparseL20bsrxmvn_17_32_kernelILj32Efii18rocsparse_bfloat16S1_fEEvT2_20rocsparse_direction_NS_24const_host_device_scalarIT0_EES2_PKS2_PKT1_SB_S8_PKT3_PKT4_S6_PT5_21rocsparse_index_base_b,comdat
	.globl	_ZN9rocsparseL20bsrxmvn_17_32_kernelILj32Efii18rocsparse_bfloat16S1_fEEvT2_20rocsparse_direction_NS_24const_host_device_scalarIT0_EES2_PKS2_PKT1_SB_S8_PKT3_PKT4_S6_PT5_21rocsparse_index_base_b ; -- Begin function _ZN9rocsparseL20bsrxmvn_17_32_kernelILj32Efii18rocsparse_bfloat16S1_fEEvT2_20rocsparse_direction_NS_24const_host_device_scalarIT0_EES2_PKS2_PKT1_SB_S8_PKT3_PKT4_S6_PT5_21rocsparse_index_base_b
	.p2align	8
	.type	_ZN9rocsparseL20bsrxmvn_17_32_kernelILj32Efii18rocsparse_bfloat16S1_fEEvT2_20rocsparse_direction_NS_24const_host_device_scalarIT0_EES2_PKS2_PKT1_SB_S8_PKT3_PKT4_S6_PT5_21rocsparse_index_base_b,@function
_ZN9rocsparseL20bsrxmvn_17_32_kernelILj32Efii18rocsparse_bfloat16S1_fEEvT2_20rocsparse_direction_NS_24const_host_device_scalarIT0_EES2_PKS2_PKT1_SB_S8_PKT3_PKT4_S6_PT5_21rocsparse_index_base_b: ; @_ZN9rocsparseL20bsrxmvn_17_32_kernelILj32Efii18rocsparse_bfloat16S1_fEEvT2_20rocsparse_direction_NS_24const_host_device_scalarIT0_EES2_PKS2_PKT1_SB_S8_PKT3_PKT4_S6_PT5_21rocsparse_index_base_b
; %bb.0:
	s_load_dwordx2 s[12:13], s[4:5], 0x58
	s_load_dwordx2 s[10:11], s[4:5], 0x8
	;; [unrolled: 1-line block ×3, first 2 shown]
	s_waitcnt lgkmcnt(0)
	s_bitcmp1_b32 s13, 0
	s_cselect_b64 s[2:3], -1, 0
	s_xor_b64 s[0:1], s[2:3], -1
	s_and_b64 vcc, exec, s[2:3]
	s_cbranch_vccnz .LBB351_2
; %bb.1:
	s_load_dword s10, s[10:11], 0x0
.LBB351_2:
	s_andn2_b64 vcc, exec, s[0:1]
	s_cbranch_vccnz .LBB351_4
; %bb.3:
	s_load_dword s8, s[8:9], 0x0
.LBB351_4:
	s_waitcnt lgkmcnt(0)
	v_cmp_neq_f32_e64 s[0:1], s10, 0
	v_cmp_neq_f32_e64 s[2:3], s8, 1.0
	s_or_b64 s[0:1], s[0:1], s[2:3]
	s_andn2_b64 vcc, exec, s[0:1]
	s_cbranch_vccnz .LBB351_38
; %bb.5:
	s_load_dwordx4 s[0:3], s[4:5], 0x18
	s_load_dwordx2 s[16:17], s[4:5], 0x28
	s_waitcnt lgkmcnt(0)
	s_cmp_eq_u64 s[0:1], 0
	s_cbranch_scc1 .LBB351_7
; %bb.6:
	s_ashr_i32 s7, s6, 31
	s_lshl_b64 s[6:7], s[6:7], 2
	s_add_u32 s0, s0, s6
	s_addc_u32 s1, s1, s7
	s_load_dword s0, s[0:1], 0x0
	s_waitcnt lgkmcnt(0)
	s_sub_i32 s6, s0, s12
.LBB351_7:
	s_load_dword s0, s[4:5], 0x4
	v_and_b32_e32 v4, 31, v0
	v_mov_b32_e32 v3, 0
	s_waitcnt lgkmcnt(0)
	s_cmp_eq_u32 s0, 1
	s_cselect_b64 vcc, -1, 0
	s_cmp_lg_u32 s0, 1
	s_cselect_b64 s[14:15], -1, 0
	s_ashr_i32 s7, s6, 31
	s_lshl_b64 s[0:1], s[6:7], 2
	s_add_u32 s2, s2, s0
	s_addc_u32 s3, s3, s1
	s_load_dword s9, s[2:3], 0x0
	s_add_u32 s2, s2, 4
	s_addc_u32 s3, s3, 0
	s_add_u32 s0, s16, s0
	s_addc_u32 s1, s17, s1
	s_cmp_eq_u64 s[16:17], 0
	s_cselect_b32 s3, s3, s1
	s_cselect_b32 s2, s2, s0
	s_load_dword s7, s[2:3], 0x0
	s_load_dwordx2 s[0:1], s[4:5], 0x50
	s_waitcnt lgkmcnt(0)
	s_cmp_ge_i32 s9, s7
	s_cbranch_scc1 .LBB351_10
; %bb.8:
	s_load_dwordx4 s[16:19], s[4:5], 0x30
	s_load_dwordx2 s[2:3], s[4:5], 0x40
	s_sub_i32 s4, s9, s12
	s_ashr_i32 s5, s4, 31
	s_sub_i32 s7, s7, s12
	s_lshl_b64 s[20:21], s[4:5], 11
	v_lshrrev_b32_e32 v1, 5, v0
	s_waitcnt lgkmcnt(0)
	s_add_u32 s9, s18, s20
	v_cndmask_b32_e32 v5, v4, v1, vcc
	s_addc_u32 s11, s19, s21
	v_lshlrev_b32_e32 v1, 1, v0
	s_lshl_b64 s[18:19], s[4:5], 2
	v_mov_b32_e32 v2, s11
	v_add_co_u32_e32 v1, vcc, s9, v1
	s_add_u32 s16, s16, s18
	v_mov_b32_e32 v3, 0
	v_addc_co_u32_e32 v2, vcc, 0, v2, vcc
	s_addc_u32 s17, s17, s19
	v_mov_b32_e32 v6, s3
.LBB351_9:                              ; =>This Inner Loop Header: Depth=1
	s_load_dword s3, s[16:17], 0x0
	global_load_ushort v9, v[1:2], off
	s_add_i32 s4, s4, 1
	s_waitcnt lgkmcnt(0)
	s_sub_i32 s3, s3, s12
	v_lshl_or_b32 v7, s3, 5, v5
	v_ashrrev_i32_e32 v8, 31, v7
	v_lshlrev_b64 v[7:8], 1, v[7:8]
	s_add_u32 s16, s16, 4
	v_add_co_u32_e32 v7, vcc, s2, v7
	v_addc_co_u32_e32 v8, vcc, v6, v8, vcc
	global_load_ushort v7, v[7:8], off
	v_add_co_u32_e32 v1, vcc, 0x800, v1
	s_addc_u32 s17, s17, 0
	v_addc_co_u32_e32 v2, vcc, 0, v2, vcc
	s_cmp_lt_i32 s4, s7
	s_waitcnt vmcnt(1)
	v_lshlrev_b32_e32 v8, 16, v9
	s_waitcnt vmcnt(0)
	v_lshlrev_b32_e32 v7, 16, v7
	v_fmac_f32_e32 v3, v8, v7
	s_cbranch_scc1 .LBB351_9
.LBB351_10:
	v_lshlrev_b32_e32 v1, 2, v0
	s_and_b64 vcc, exec, s[14:15]
	ds_write_b32 v1, v3
	s_waitcnt lgkmcnt(0)
	s_barrier
	s_cbranch_vccz .LBB351_22
; %bb.11:
	v_cmp_gt_u32_e32 vcc, 16, v4
	s_and_saveexec_b64 s[2:3], vcc
	s_cbranch_execz .LBB351_13
; %bb.12:
	ds_read2_b32 v[5:6], v1 offset1:16
	s_waitcnt lgkmcnt(0)
	v_add_f32_e32 v2, v6, v5
	ds_write_b32 v1, v2
.LBB351_13:
	s_or_b64 exec, exec, s[2:3]
	v_cmp_gt_u32_e32 vcc, 8, v4
	s_waitcnt lgkmcnt(0)
	s_barrier
	s_and_saveexec_b64 s[2:3], vcc
	s_cbranch_execz .LBB351_15
; %bb.14:
	ds_read2_b32 v[5:6], v1 offset1:8
	s_waitcnt lgkmcnt(0)
	v_add_f32_e32 v2, v6, v5
	ds_write_b32 v1, v2
.LBB351_15:
	s_or_b64 exec, exec, s[2:3]
	v_cmp_gt_u32_e32 vcc, 4, v4
	s_waitcnt lgkmcnt(0)
	s_barrier
	;; [unrolled: 12-line block ×3, first 2 shown]
	s_and_saveexec_b64 s[2:3], vcc
	s_cbranch_execz .LBB351_19
; %bb.18:
	ds_read2_b32 v[4:5], v1 offset1:2
	s_waitcnt lgkmcnt(0)
	v_add_f32_e32 v2, v5, v4
	ds_write_b32 v1, v2
.LBB351_19:
	s_or_b64 exec, exec, s[2:3]
	v_cmp_gt_u32_e32 vcc, 32, v0
	v_mov_b32_e32 v2, v3
	s_waitcnt lgkmcnt(0)
	s_barrier
	s_and_saveexec_b64 s[2:3], vcc
	s_cbranch_execz .LBB351_21
; %bb.20:
	s_movk_i32 s4, 0x7c
	v_mad_u32_u24 v2, v0, s4, v1
	ds_read_b64 v[4:5], v2
	s_waitcnt lgkmcnt(0)
	v_add_f32_e32 v2, v4, v5
.LBB351_21:
	s_or_b64 exec, exec, s[2:3]
	s_branch .LBB351_34
.LBB351_22:
                                        ; implicit-def: $vgpr2
	s_cbranch_execz .LBB351_34
; %bb.23:
	s_movk_i32 s2, 0x200
	v_cmp_gt_u32_e32 vcc, s2, v0
	s_and_saveexec_b64 s[2:3], vcc
	s_cbranch_execz .LBB351_25
; %bb.24:
	ds_read2st64_b32 v[4:5], v1 offset1:8
	s_waitcnt lgkmcnt(0)
	v_add_f32_e32 v2, v5, v4
	ds_write_b32 v1, v2
.LBB351_25:
	s_or_b64 exec, exec, s[2:3]
	s_movk_i32 s2, 0x100
	v_cmp_gt_u32_e32 vcc, s2, v0
	s_waitcnt lgkmcnt(0)
	s_barrier
	s_and_saveexec_b64 s[2:3], vcc
	s_cbranch_execz .LBB351_27
; %bb.26:
	ds_read2st64_b32 v[4:5], v1 offset1:4
	s_waitcnt lgkmcnt(0)
	v_add_f32_e32 v2, v5, v4
	ds_write_b32 v1, v2
.LBB351_27:
	s_or_b64 exec, exec, s[2:3]
	s_movk_i32 s2, 0x80
	v_cmp_gt_u32_e32 vcc, s2, v0
	s_waitcnt lgkmcnt(0)
	s_barrier
	s_and_saveexec_b64 s[2:3], vcc
	s_cbranch_execz .LBB351_29
; %bb.28:
	ds_read2st64_b32 v[4:5], v1 offset1:2
	s_waitcnt lgkmcnt(0)
	v_add_f32_e32 v2, v5, v4
	ds_write_b32 v1, v2
.LBB351_29:
	s_or_b64 exec, exec, s[2:3]
	v_cmp_gt_u32_e32 vcc, 64, v0
	s_waitcnt lgkmcnt(0)
	s_barrier
	s_and_saveexec_b64 s[2:3], vcc
	s_cbranch_execz .LBB351_31
; %bb.30:
	ds_read2st64_b32 v[4:5], v1 offset1:1
	s_waitcnt lgkmcnt(0)
	v_add_f32_e32 v2, v5, v4
	ds_write_b32 v1, v2
.LBB351_31:
	s_or_b64 exec, exec, s[2:3]
	v_cmp_gt_u32_e32 vcc, 32, v0
	s_waitcnt lgkmcnt(0)
	s_and_saveexec_b64 s[2:3], vcc
	s_cbranch_execz .LBB351_33
; %bb.32:
	ds_read2_b32 v[1:2], v1 offset1:32
	s_waitcnt lgkmcnt(0)
	v_add_f32_e32 v3, v1, v2
.LBB351_33:
	s_or_b64 exec, exec, s[2:3]
	v_mov_b32_e32 v2, v3
.LBB351_34:
	v_cmp_gt_u32_e32 vcc, 32, v0
	s_and_saveexec_b64 s[2:3], vcc
	s_cbranch_execz .LBB351_38
; %bb.35:
	v_cmp_eq_f32_e64 s[2:3], s8, 0
	s_and_b64 vcc, exec, s[2:3]
	v_mul_f32_e32 v2, s10, v2
	v_lshl_or_b32 v0, s6, 5, v0
	s_cbranch_vccz .LBB351_39
; %bb.36:
	v_mov_b32_e32 v1, 0
	v_lshlrev_b64 v[3:4], 2, v[0:1]
	v_mov_b32_e32 v1, s1
	v_add_co_u32_e32 v3, vcc, s0, v3
	v_addc_co_u32_e32 v4, vcc, v1, v4, vcc
	global_store_dword v[3:4], v2, off
	s_cbranch_execnz .LBB351_38
.LBB351_37:
	v_mov_b32_e32 v1, 0
	v_lshlrev_b64 v[0:1], 2, v[0:1]
	v_mov_b32_e32 v3, s1
	v_add_co_u32_e32 v0, vcc, s0, v0
	v_addc_co_u32_e32 v1, vcc, v3, v1, vcc
	global_load_dword v3, v[0:1], off
	s_waitcnt vmcnt(0)
	v_fmac_f32_e32 v2, s8, v3
	global_store_dword v[0:1], v2, off
.LBB351_38:
	s_endpgm
.LBB351_39:
	s_branch .LBB351_37
	.section	.rodata,"a",@progbits
	.p2align	6, 0x0
	.amdhsa_kernel _ZN9rocsparseL20bsrxmvn_17_32_kernelILj32Efii18rocsparse_bfloat16S1_fEEvT2_20rocsparse_direction_NS_24const_host_device_scalarIT0_EES2_PKS2_PKT1_SB_S8_PKT3_PKT4_S6_PT5_21rocsparse_index_base_b
		.amdhsa_group_segment_fixed_size 4096
		.amdhsa_private_segment_fixed_size 0
		.amdhsa_kernarg_size 96
		.amdhsa_user_sgpr_count 6
		.amdhsa_user_sgpr_private_segment_buffer 1
		.amdhsa_user_sgpr_dispatch_ptr 0
		.amdhsa_user_sgpr_queue_ptr 0
		.amdhsa_user_sgpr_kernarg_segment_ptr 1
		.amdhsa_user_sgpr_dispatch_id 0
		.amdhsa_user_sgpr_flat_scratch_init 0
		.amdhsa_user_sgpr_private_segment_size 0
		.amdhsa_uses_dynamic_stack 0
		.amdhsa_system_sgpr_private_segment_wavefront_offset 0
		.amdhsa_system_sgpr_workgroup_id_x 1
		.amdhsa_system_sgpr_workgroup_id_y 0
		.amdhsa_system_sgpr_workgroup_id_z 0
		.amdhsa_system_sgpr_workgroup_info 0
		.amdhsa_system_vgpr_workitem_id 0
		.amdhsa_next_free_vgpr 29
		.amdhsa_next_free_sgpr 61
		.amdhsa_reserve_vcc 1
		.amdhsa_reserve_flat_scratch 0
		.amdhsa_float_round_mode_32 0
		.amdhsa_float_round_mode_16_64 0
		.amdhsa_float_denorm_mode_32 3
		.amdhsa_float_denorm_mode_16_64 3
		.amdhsa_dx10_clamp 1
		.amdhsa_ieee_mode 1
		.amdhsa_fp16_overflow 0
		.amdhsa_exception_fp_ieee_invalid_op 0
		.amdhsa_exception_fp_denorm_src 0
		.amdhsa_exception_fp_ieee_div_zero 0
		.amdhsa_exception_fp_ieee_overflow 0
		.amdhsa_exception_fp_ieee_underflow 0
		.amdhsa_exception_fp_ieee_inexact 0
		.amdhsa_exception_int_div_zero 0
	.end_amdhsa_kernel
	.section	.text._ZN9rocsparseL20bsrxmvn_17_32_kernelILj32Efii18rocsparse_bfloat16S1_fEEvT2_20rocsparse_direction_NS_24const_host_device_scalarIT0_EES2_PKS2_PKT1_SB_S8_PKT3_PKT4_S6_PT5_21rocsparse_index_base_b,"axG",@progbits,_ZN9rocsparseL20bsrxmvn_17_32_kernelILj32Efii18rocsparse_bfloat16S1_fEEvT2_20rocsparse_direction_NS_24const_host_device_scalarIT0_EES2_PKS2_PKT1_SB_S8_PKT3_PKT4_S6_PT5_21rocsparse_index_base_b,comdat
.Lfunc_end351:
	.size	_ZN9rocsparseL20bsrxmvn_17_32_kernelILj32Efii18rocsparse_bfloat16S1_fEEvT2_20rocsparse_direction_NS_24const_host_device_scalarIT0_EES2_PKS2_PKT1_SB_S8_PKT3_PKT4_S6_PT5_21rocsparse_index_base_b, .Lfunc_end351-_ZN9rocsparseL20bsrxmvn_17_32_kernelILj32Efii18rocsparse_bfloat16S1_fEEvT2_20rocsparse_direction_NS_24const_host_device_scalarIT0_EES2_PKS2_PKT1_SB_S8_PKT3_PKT4_S6_PT5_21rocsparse_index_base_b
                                        ; -- End function
	.set _ZN9rocsparseL20bsrxmvn_17_32_kernelILj32Efii18rocsparse_bfloat16S1_fEEvT2_20rocsparse_direction_NS_24const_host_device_scalarIT0_EES2_PKS2_PKT1_SB_S8_PKT3_PKT4_S6_PT5_21rocsparse_index_base_b.num_vgpr, 10
	.set _ZN9rocsparseL20bsrxmvn_17_32_kernelILj32Efii18rocsparse_bfloat16S1_fEEvT2_20rocsparse_direction_NS_24const_host_device_scalarIT0_EES2_PKS2_PKT1_SB_S8_PKT3_PKT4_S6_PT5_21rocsparse_index_base_b.num_agpr, 0
	.set _ZN9rocsparseL20bsrxmvn_17_32_kernelILj32Efii18rocsparse_bfloat16S1_fEEvT2_20rocsparse_direction_NS_24const_host_device_scalarIT0_EES2_PKS2_PKT1_SB_S8_PKT3_PKT4_S6_PT5_21rocsparse_index_base_b.numbered_sgpr, 22
	.set _ZN9rocsparseL20bsrxmvn_17_32_kernelILj32Efii18rocsparse_bfloat16S1_fEEvT2_20rocsparse_direction_NS_24const_host_device_scalarIT0_EES2_PKS2_PKT1_SB_S8_PKT3_PKT4_S6_PT5_21rocsparse_index_base_b.num_named_barrier, 0
	.set _ZN9rocsparseL20bsrxmvn_17_32_kernelILj32Efii18rocsparse_bfloat16S1_fEEvT2_20rocsparse_direction_NS_24const_host_device_scalarIT0_EES2_PKS2_PKT1_SB_S8_PKT3_PKT4_S6_PT5_21rocsparse_index_base_b.private_seg_size, 0
	.set _ZN9rocsparseL20bsrxmvn_17_32_kernelILj32Efii18rocsparse_bfloat16S1_fEEvT2_20rocsparse_direction_NS_24const_host_device_scalarIT0_EES2_PKS2_PKT1_SB_S8_PKT3_PKT4_S6_PT5_21rocsparse_index_base_b.uses_vcc, 1
	.set _ZN9rocsparseL20bsrxmvn_17_32_kernelILj32Efii18rocsparse_bfloat16S1_fEEvT2_20rocsparse_direction_NS_24const_host_device_scalarIT0_EES2_PKS2_PKT1_SB_S8_PKT3_PKT4_S6_PT5_21rocsparse_index_base_b.uses_flat_scratch, 0
	.set _ZN9rocsparseL20bsrxmvn_17_32_kernelILj32Efii18rocsparse_bfloat16S1_fEEvT2_20rocsparse_direction_NS_24const_host_device_scalarIT0_EES2_PKS2_PKT1_SB_S8_PKT3_PKT4_S6_PT5_21rocsparse_index_base_b.has_dyn_sized_stack, 0
	.set _ZN9rocsparseL20bsrxmvn_17_32_kernelILj32Efii18rocsparse_bfloat16S1_fEEvT2_20rocsparse_direction_NS_24const_host_device_scalarIT0_EES2_PKS2_PKT1_SB_S8_PKT3_PKT4_S6_PT5_21rocsparse_index_base_b.has_recursion, 0
	.set _ZN9rocsparseL20bsrxmvn_17_32_kernelILj32Efii18rocsparse_bfloat16S1_fEEvT2_20rocsparse_direction_NS_24const_host_device_scalarIT0_EES2_PKS2_PKT1_SB_S8_PKT3_PKT4_S6_PT5_21rocsparse_index_base_b.has_indirect_call, 0
	.section	.AMDGPU.csdata,"",@progbits
; Kernel info:
; codeLenInByte = 1124
; TotalNumSgprs: 26
; NumVgprs: 10
; ScratchSize: 0
; MemoryBound: 0
; FloatMode: 240
; IeeeMode: 1
; LDSByteSize: 4096 bytes/workgroup (compile time only)
; SGPRBlocks: 8
; VGPRBlocks: 7
; NumSGPRsForWavesPerEU: 65
; NumVGPRsForWavesPerEU: 29
; Occupancy: 8
; WaveLimiterHint : 1
; COMPUTE_PGM_RSRC2:SCRATCH_EN: 0
; COMPUTE_PGM_RSRC2:USER_SGPR: 6
; COMPUTE_PGM_RSRC2:TRAP_HANDLER: 0
; COMPUTE_PGM_RSRC2:TGID_X_EN: 1
; COMPUTE_PGM_RSRC2:TGID_Y_EN: 0
; COMPUTE_PGM_RSRC2:TGID_Z_EN: 0
; COMPUTE_PGM_RSRC2:TIDIG_COMP_CNT: 0
	.section	.text._ZN9rocsparseL20bsrxmvn_17_32_kernelILj17Efli18rocsparse_bfloat16S1_fEEvT2_20rocsparse_direction_NS_24const_host_device_scalarIT0_EES2_PKS2_PKT1_SB_S8_PKT3_PKT4_S6_PT5_21rocsparse_index_base_b,"axG",@progbits,_ZN9rocsparseL20bsrxmvn_17_32_kernelILj17Efli18rocsparse_bfloat16S1_fEEvT2_20rocsparse_direction_NS_24const_host_device_scalarIT0_EES2_PKS2_PKT1_SB_S8_PKT3_PKT4_S6_PT5_21rocsparse_index_base_b,comdat
	.globl	_ZN9rocsparseL20bsrxmvn_17_32_kernelILj17Efli18rocsparse_bfloat16S1_fEEvT2_20rocsparse_direction_NS_24const_host_device_scalarIT0_EES2_PKS2_PKT1_SB_S8_PKT3_PKT4_S6_PT5_21rocsparse_index_base_b ; -- Begin function _ZN9rocsparseL20bsrxmvn_17_32_kernelILj17Efli18rocsparse_bfloat16S1_fEEvT2_20rocsparse_direction_NS_24const_host_device_scalarIT0_EES2_PKS2_PKT1_SB_S8_PKT3_PKT4_S6_PT5_21rocsparse_index_base_b
	.p2align	8
	.type	_ZN9rocsparseL20bsrxmvn_17_32_kernelILj17Efli18rocsparse_bfloat16S1_fEEvT2_20rocsparse_direction_NS_24const_host_device_scalarIT0_EES2_PKS2_PKT1_SB_S8_PKT3_PKT4_S6_PT5_21rocsparse_index_base_b,@function
_ZN9rocsparseL20bsrxmvn_17_32_kernelILj17Efli18rocsparse_bfloat16S1_fEEvT2_20rocsparse_direction_NS_24const_host_device_scalarIT0_EES2_PKS2_PKT1_SB_S8_PKT3_PKT4_S6_PT5_21rocsparse_index_base_b: ; @_ZN9rocsparseL20bsrxmvn_17_32_kernelILj17Efli18rocsparse_bfloat16S1_fEEvT2_20rocsparse_direction_NS_24const_host_device_scalarIT0_EES2_PKS2_PKT1_SB_S8_PKT3_PKT4_S6_PT5_21rocsparse_index_base_b
; %bb.0:
	s_load_dwordx2 s[18:19], s[4:5], 0x58
	s_load_dwordx2 s[14:15], s[4:5], 0x8
	;; [unrolled: 1-line block ×3, first 2 shown]
	s_waitcnt lgkmcnt(0)
	s_bitcmp1_b32 s19, 0
	s_cselect_b64 s[2:3], -1, 0
	s_xor_b64 s[0:1], s[2:3], -1
	s_and_b64 vcc, exec, s[2:3]
	s_cbranch_vccnz .LBB352_2
; %bb.1:
	s_load_dword s14, s[14:15], 0x0
.LBB352_2:
	s_andn2_b64 vcc, exec, s[0:1]
	s_cbranch_vccnz .LBB352_4
; %bb.3:
	s_load_dword s12, s[12:13], 0x0
.LBB352_4:
	s_waitcnt lgkmcnt(0)
	v_cmp_neq_f32_e64 s[0:1], s14, 0
	v_cmp_neq_f32_e64 s[2:3], s12, 1.0
	s_or_b64 s[0:1], s[0:1], s[2:3]
	s_andn2_b64 vcc, exec, s[0:1]
	s_cbranch_vccnz .LBB352_40
; %bb.5:
	s_load_dwordx4 s[0:3], s[4:5], 0x18
	s_load_dwordx2 s[8:9], s[4:5], 0x28
	s_waitcnt lgkmcnt(0)
	s_cmp_eq_u64 s[0:1], 0
	s_cbranch_scc1 .LBB352_7
; %bb.6:
	s_ashr_i32 s7, s6, 31
	s_lshl_b64 s[6:7], s[6:7], 2
	s_add_u32 s0, s0, s6
	s_addc_u32 s1, s1, s7
	s_load_dword s0, s[0:1], 0x0
	s_waitcnt lgkmcnt(0)
	s_sub_i32 s6, s0, s18
.LBB352_7:
	s_load_dword s7, s[4:5], 0x4
	s_load_dwordx2 s[16:17], s[4:5], 0x50
	v_mul_u32_u24_e32 v1, 0xf10, v0
	v_mov_b32_e32 v2, 17
	v_mul_lo_u16_sdwa v2, v1, v2 dst_sel:DWORD dst_unused:UNUSED_PAD src0_sel:WORD_1 src1_sel:DWORD
	s_waitcnt lgkmcnt(0)
	s_cmp_eq_u32 s7, 1
	s_cselect_b64 s[0:1], -1, 0
	s_cmp_lg_u32 s7, 1
	s_cselect_b64 s[20:21], -1, 0
	s_ashr_i32 s7, s6, 31
	s_lshl_b64 s[10:11], s[6:7], 3
	s_add_u32 s2, s2, s10
	s_addc_u32 s3, s3, s11
	s_add_u32 s7, s2, 8
	s_addc_u32 s13, s3, 0
	;; [unrolled: 2-line block ×3, first 2 shown]
	s_cmp_eq_u64 s[8:9], 0
	s_cselect_b32 s9, s13, s11
	s_cselect_b32 s8, s7, s10
	s_load_dwordx2 s[22:23], s[8:9], 0x0
	s_load_dwordx2 s[24:25], s[2:3], 0x0
	v_sub_u16_e32 v7, v0, v2
	v_mov_b32_e32 v6, 0
	s_waitcnt lgkmcnt(0)
	v_mov_b32_e32 v2, s22
	v_mov_b32_e32 v3, s23
	v_cmp_ge_i64_e32 vcc, s[24:25], v[2:3]
	s_cbranch_vccnz .LBB352_12
; %bb.8:
	v_mov_b32_e32 v2, 31
	v_mul_lo_u16_sdwa v2, v1, v2 dst_sel:DWORD dst_unused:UNUSED_PAD src0_sel:WORD_1 src1_sel:DWORD
	s_load_dwordx4 s[8:11], s[4:5], 0x30
	s_load_dwordx2 s[2:3], s[4:5], 0x40
	s_sub_u32 s4, s22, s18
	v_lshrrev_b16_e32 v2, 9, v2
	s_subb_u32 s5, s23, 0
	v_mul_lo_u16_e32 v2, 17, v2
	v_sub_u16_sdwa v1, v1, v2 dst_sel:DWORD dst_unused:UNUSED_PAD src0_sel:WORD_1 src1_sel:DWORD
	s_sub_u32 s22, s24, s18
	v_and_b32_e32 v1, 0xff, v1
	s_subb_u32 s23, s25, 0
	v_cndmask_b32_e64 v1, v7, v1, s[0:1]
	s_mul_i32 s0, s23, 0x242
	s_mul_hi_u32 s1, s22, 0x242
	s_add_i32 s1, s1, s0
	s_mul_i32 s0, s22, 0x242
	s_waitcnt lgkmcnt(0)
	s_add_u32 s0, s10, s0
	v_lshlrev_b32_e32 v2, 1, v0
	s_addc_u32 s1, s11, s1
	v_add_co_u32_e32 v2, vcc, s0, v2
	s_movk_i32 s0, 0xe3
	v_mov_b32_e32 v3, s1
	v_mul_u32_u24_sdwa v4, v0, s0 dst_sel:DWORD dst_unused:UNUSED_PAD src0_sel:WORD_0 src1_sel:DWORD
	v_addc_co_u32_e32 v3, vcc, 0, v3, vcc
	v_lshrrev_b32_e32 v8, 16, v4
	v_mov_b32_e32 v4, s25
	v_add_co_u32_e32 v5, vcc, s24, v8
	v_addc_co_u32_e32 v9, vcc, 0, v4, vcc
	v_subrev_co_u32_e32 v4, vcc, s18, v5
	v_subbrev_co_u32_e32 v5, vcc, 0, v9, vcc
	v_lshlrev_b64 v[4:5], 2, v[4:5]
	v_mov_b32_e32 v9, s9
	v_add_co_u32_e32 v4, vcc, s8, v4
	v_mov_b32_e32 v6, 0
	v_addc_co_u32_e32 v5, vcc, v9, v5, vcc
	s_branch .LBB352_10
.LBB352_9:                              ;   in Loop: Header=BB352_10 Depth=1
	s_or_b64 exec, exec, s[0:1]
	s_add_u32 s22, s22, 1
	v_mov_b32_e32 v10, s5
	s_addc_u32 s23, s23, 0
	v_mov_b32_e32 v9, s4
	v_cmp_lt_i64_e32 vcc, s[22:23], v[9:10]
	v_add_co_u32_e64 v4, s[0:1], 4, v4
	v_addc_co_u32_e64 v5, s[0:1], 0, v5, s[0:1]
	s_cbranch_vccz .LBB352_12
.LBB352_10:                             ; =>This Inner Loop Header: Depth=1
	v_mov_b32_e32 v10, s23
	v_add_co_u32_e32 v9, vcc, s22, v8
	v_addc_co_u32_e32 v10, vcc, 0, v10, vcc
	v_cmp_gt_i64_e32 vcc, s[4:5], v[9:10]
	s_and_saveexec_b64 s[0:1], vcc
	s_cbranch_execz .LBB352_9
; %bb.11:                               ;   in Loop: Header=BB352_10 Depth=1
	global_load_dword v9, v[4:5], off
	v_mov_b32_e32 v12, s3
	global_load_ushort v11, v[2:3], off
	s_waitcnt vmcnt(1)
	v_subrev_u32_e32 v9, s18, v9
	v_mad_u64_u32 v[9:10], s[8:9], v9, 17, v[1:2]
	v_ashrrev_i32_e32 v10, 31, v9
	v_lshlrev_b64 v[9:10], 1, v[9:10]
	v_add_co_u32_e32 v9, vcc, s2, v9
	v_addc_co_u32_e32 v10, vcc, v12, v10, vcc
	global_load_ushort v9, v[9:10], off
	v_add_co_u32_e32 v2, vcc, 0x242, v2
	s_waitcnt vmcnt(1)
	v_lshlrev_b32_e32 v10, 16, v11
	v_addc_co_u32_e32 v3, vcc, 0, v3, vcc
	s_waitcnt vmcnt(0)
	v_lshlrev_b32_e32 v9, 16, v9
	v_fmac_f32_e32 v6, v10, v9
	s_branch .LBB352_9
.LBB352_12:
	v_lshlrev_b32_e32 v1, 2, v0
	s_and_b64 vcc, exec, s[20:21]
	ds_write_b32 v1, v6
	s_waitcnt lgkmcnt(0)
	s_barrier
	s_cbranch_vccz .LBB352_24
; %bb.13:
	v_cmp_eq_u16_e32 vcc, 0, v7
	s_and_saveexec_b64 s[0:1], vcc
	s_cbranch_execz .LBB352_15
; %bb.14:
	ds_read2_b32 v[2:3], v1 offset1:16
	s_waitcnt lgkmcnt(0)
	v_add_f32_e32 v2, v3, v2
	ds_write_b32 v1, v2
.LBB352_15:
	s_or_b64 exec, exec, s[0:1]
	v_cmp_gt_u16_e32 vcc, 8, v7
	s_waitcnt lgkmcnt(0)
	s_barrier
	s_and_saveexec_b64 s[0:1], vcc
	s_cbranch_execz .LBB352_17
; %bb.16:
	ds_read2_b32 v[2:3], v1 offset1:8
	s_waitcnt lgkmcnt(0)
	v_add_f32_e32 v2, v3, v2
	ds_write_b32 v1, v2
.LBB352_17:
	s_or_b64 exec, exec, s[0:1]
	v_cmp_gt_u16_e32 vcc, 4, v7
	s_waitcnt lgkmcnt(0)
	s_barrier
	;; [unrolled: 12-line block ×3, first 2 shown]
	s_and_saveexec_b64 s[0:1], vcc
	s_cbranch_execz .LBB352_21
; %bb.20:
	ds_read2_b32 v[2:3], v1 offset1:2
	s_waitcnt lgkmcnt(0)
	v_add_f32_e32 v2, v3, v2
	ds_write_b32 v1, v2
.LBB352_21:
	s_or_b64 exec, exec, s[0:1]
	v_cmp_gt_u32_e32 vcc, 17, v0
	v_mov_b32_e32 v2, v6
	s_waitcnt lgkmcnt(0)
	s_barrier
	s_and_saveexec_b64 s[0:1], vcc
	s_cbranch_execz .LBB352_23
; %bb.22:
	v_lshl_add_u32 v2, v0, 6, v1
	ds_read2_b32 v[2:3], v2 offset1:1
	s_waitcnt lgkmcnt(0)
	v_add_f32_e32 v2, v2, v3
.LBB352_23:
	s_or_b64 exec, exec, s[0:1]
	v_cmp_gt_u32_e64 s[0:1], 17, v0
	s_branch .LBB352_36
.LBB352_24:
                                        ; implicit-def: $vgpr2
	v_cmp_gt_u32_e64 s[0:1], 17, v0
	s_cbranch_execz .LBB352_36
; %bb.25:
	s_and_saveexec_b64 s[2:3], s[0:1]
	s_cbranch_execz .LBB352_27
; %bb.26:
	ds_read_b32 v2, v1 offset:1088
	ds_read_b32 v3, v1
	s_waitcnt lgkmcnt(0)
	v_add_f32_e32 v2, v2, v3
	ds_write_b32 v1, v2
.LBB352_27:
	s_or_b64 exec, exec, s[2:3]
	s_movk_i32 s2, 0x88
	v_cmp_gt_u32_e32 vcc, s2, v0
	s_waitcnt lgkmcnt(0)
	s_barrier
	s_and_saveexec_b64 s[2:3], vcc
	s_cbranch_execz .LBB352_29
; %bb.28:
	ds_read2_b32 v[2:3], v1 offset1:136
	s_waitcnt lgkmcnt(0)
	v_add_f32_e32 v2, v3, v2
	ds_write_b32 v1, v2
.LBB352_29:
	s_or_b64 exec, exec, s[2:3]
	s_movk_i32 s2, 0x44
	v_cmp_gt_u32_e32 vcc, s2, v0
	s_waitcnt lgkmcnt(0)
	s_barrier
	s_and_saveexec_b64 s[2:3], vcc
	s_cbranch_execz .LBB352_31
; %bb.30:
	ds_read2_b32 v[2:3], v1 offset1:68
	s_waitcnt lgkmcnt(0)
	v_add_f32_e32 v2, v3, v2
	ds_write_b32 v1, v2
.LBB352_31:
	s_or_b64 exec, exec, s[2:3]
	v_cmp_gt_u32_e32 vcc, 34, v0
	s_waitcnt lgkmcnt(0)
	s_barrier
	s_and_saveexec_b64 s[2:3], vcc
	s_cbranch_execz .LBB352_33
; %bb.32:
	ds_read2_b32 v[2:3], v1 offset1:34
	s_waitcnt lgkmcnt(0)
	v_add_f32_e32 v2, v3, v2
	ds_write_b32 v1, v2
.LBB352_33:
	s_or_b64 exec, exec, s[2:3]
	s_waitcnt lgkmcnt(0)
	s_and_saveexec_b64 s[2:3], s[0:1]
	s_cbranch_execz .LBB352_35
; %bb.34:
	ds_read2_b32 v[1:2], v1 offset1:17
	s_waitcnt lgkmcnt(0)
	v_add_f32_e32 v6, v1, v2
.LBB352_35:
	s_or_b64 exec, exec, s[2:3]
	v_mov_b32_e32 v2, v6
.LBB352_36:
	v_cmp_gt_u32_e32 vcc, 17, v0
	s_and_saveexec_b64 s[0:1], vcc
	s_cbranch_execz .LBB352_40
; %bb.37:
	v_cmp_eq_f32_e64 s[0:1], s12, 0
	s_and_b64 vcc, exec, s[0:1]
	v_mul_f32_e32 v1, s14, v2
	s_cbranch_vccz .LBB352_41
; %bb.38:
	v_mad_u64_u32 v[2:3], s[0:1], s6, 17, v[0:1]
	v_mov_b32_e32 v3, 0
	v_mov_b32_e32 v4, s17
	v_lshlrev_b64 v[2:3], 2, v[2:3]
	v_add_co_u32_e32 v2, vcc, s16, v2
	v_addc_co_u32_e32 v3, vcc, v4, v3, vcc
	global_store_dword v[2:3], v1, off
	s_cbranch_execnz .LBB352_40
.LBB352_39:
	v_mad_u64_u32 v[2:3], s[0:1], s6, 17, v[0:1]
	v_mov_b32_e32 v3, 0
	v_mov_b32_e32 v0, s17
	v_lshlrev_b64 v[2:3], 2, v[2:3]
	v_add_co_u32_e32 v2, vcc, s16, v2
	v_addc_co_u32_e32 v3, vcc, v0, v3, vcc
	global_load_dword v0, v[2:3], off
	s_waitcnt vmcnt(0)
	v_fmac_f32_e32 v1, s12, v0
	global_store_dword v[2:3], v1, off
.LBB352_40:
	s_endpgm
.LBB352_41:
	s_branch .LBB352_39
	.section	.rodata,"a",@progbits
	.p2align	6, 0x0
	.amdhsa_kernel _ZN9rocsparseL20bsrxmvn_17_32_kernelILj17Efli18rocsparse_bfloat16S1_fEEvT2_20rocsparse_direction_NS_24const_host_device_scalarIT0_EES2_PKS2_PKT1_SB_S8_PKT3_PKT4_S6_PT5_21rocsparse_index_base_b
		.amdhsa_group_segment_fixed_size 1156
		.amdhsa_private_segment_fixed_size 0
		.amdhsa_kernarg_size 96
		.amdhsa_user_sgpr_count 6
		.amdhsa_user_sgpr_private_segment_buffer 1
		.amdhsa_user_sgpr_dispatch_ptr 0
		.amdhsa_user_sgpr_queue_ptr 0
		.amdhsa_user_sgpr_kernarg_segment_ptr 1
		.amdhsa_user_sgpr_dispatch_id 0
		.amdhsa_user_sgpr_flat_scratch_init 0
		.amdhsa_user_sgpr_private_segment_size 0
		.amdhsa_uses_dynamic_stack 0
		.amdhsa_system_sgpr_private_segment_wavefront_offset 0
		.amdhsa_system_sgpr_workgroup_id_x 1
		.amdhsa_system_sgpr_workgroup_id_y 0
		.amdhsa_system_sgpr_workgroup_id_z 0
		.amdhsa_system_sgpr_workgroup_info 0
		.amdhsa_system_vgpr_workitem_id 0
		.amdhsa_next_free_vgpr 13
		.amdhsa_next_free_sgpr 26
		.amdhsa_reserve_vcc 1
		.amdhsa_reserve_flat_scratch 0
		.amdhsa_float_round_mode_32 0
		.amdhsa_float_round_mode_16_64 0
		.amdhsa_float_denorm_mode_32 3
		.amdhsa_float_denorm_mode_16_64 3
		.amdhsa_dx10_clamp 1
		.amdhsa_ieee_mode 1
		.amdhsa_fp16_overflow 0
		.amdhsa_exception_fp_ieee_invalid_op 0
		.amdhsa_exception_fp_denorm_src 0
		.amdhsa_exception_fp_ieee_div_zero 0
		.amdhsa_exception_fp_ieee_overflow 0
		.amdhsa_exception_fp_ieee_underflow 0
		.amdhsa_exception_fp_ieee_inexact 0
		.amdhsa_exception_int_div_zero 0
	.end_amdhsa_kernel
	.section	.text._ZN9rocsparseL20bsrxmvn_17_32_kernelILj17Efli18rocsparse_bfloat16S1_fEEvT2_20rocsparse_direction_NS_24const_host_device_scalarIT0_EES2_PKS2_PKT1_SB_S8_PKT3_PKT4_S6_PT5_21rocsparse_index_base_b,"axG",@progbits,_ZN9rocsparseL20bsrxmvn_17_32_kernelILj17Efli18rocsparse_bfloat16S1_fEEvT2_20rocsparse_direction_NS_24const_host_device_scalarIT0_EES2_PKS2_PKT1_SB_S8_PKT3_PKT4_S6_PT5_21rocsparse_index_base_b,comdat
.Lfunc_end352:
	.size	_ZN9rocsparseL20bsrxmvn_17_32_kernelILj17Efli18rocsparse_bfloat16S1_fEEvT2_20rocsparse_direction_NS_24const_host_device_scalarIT0_EES2_PKS2_PKT1_SB_S8_PKT3_PKT4_S6_PT5_21rocsparse_index_base_b, .Lfunc_end352-_ZN9rocsparseL20bsrxmvn_17_32_kernelILj17Efli18rocsparse_bfloat16S1_fEEvT2_20rocsparse_direction_NS_24const_host_device_scalarIT0_EES2_PKS2_PKT1_SB_S8_PKT3_PKT4_S6_PT5_21rocsparse_index_base_b
                                        ; -- End function
	.set _ZN9rocsparseL20bsrxmvn_17_32_kernelILj17Efli18rocsparse_bfloat16S1_fEEvT2_20rocsparse_direction_NS_24const_host_device_scalarIT0_EES2_PKS2_PKT1_SB_S8_PKT3_PKT4_S6_PT5_21rocsparse_index_base_b.num_vgpr, 13
	.set _ZN9rocsparseL20bsrxmvn_17_32_kernelILj17Efli18rocsparse_bfloat16S1_fEEvT2_20rocsparse_direction_NS_24const_host_device_scalarIT0_EES2_PKS2_PKT1_SB_S8_PKT3_PKT4_S6_PT5_21rocsparse_index_base_b.num_agpr, 0
	.set _ZN9rocsparseL20bsrxmvn_17_32_kernelILj17Efli18rocsparse_bfloat16S1_fEEvT2_20rocsparse_direction_NS_24const_host_device_scalarIT0_EES2_PKS2_PKT1_SB_S8_PKT3_PKT4_S6_PT5_21rocsparse_index_base_b.numbered_sgpr, 26
	.set _ZN9rocsparseL20bsrxmvn_17_32_kernelILj17Efli18rocsparse_bfloat16S1_fEEvT2_20rocsparse_direction_NS_24const_host_device_scalarIT0_EES2_PKS2_PKT1_SB_S8_PKT3_PKT4_S6_PT5_21rocsparse_index_base_b.num_named_barrier, 0
	.set _ZN9rocsparseL20bsrxmvn_17_32_kernelILj17Efli18rocsparse_bfloat16S1_fEEvT2_20rocsparse_direction_NS_24const_host_device_scalarIT0_EES2_PKS2_PKT1_SB_S8_PKT3_PKT4_S6_PT5_21rocsparse_index_base_b.private_seg_size, 0
	.set _ZN9rocsparseL20bsrxmvn_17_32_kernelILj17Efli18rocsparse_bfloat16S1_fEEvT2_20rocsparse_direction_NS_24const_host_device_scalarIT0_EES2_PKS2_PKT1_SB_S8_PKT3_PKT4_S6_PT5_21rocsparse_index_base_b.uses_vcc, 1
	.set _ZN9rocsparseL20bsrxmvn_17_32_kernelILj17Efli18rocsparse_bfloat16S1_fEEvT2_20rocsparse_direction_NS_24const_host_device_scalarIT0_EES2_PKS2_PKT1_SB_S8_PKT3_PKT4_S6_PT5_21rocsparse_index_base_b.uses_flat_scratch, 0
	.set _ZN9rocsparseL20bsrxmvn_17_32_kernelILj17Efli18rocsparse_bfloat16S1_fEEvT2_20rocsparse_direction_NS_24const_host_device_scalarIT0_EES2_PKS2_PKT1_SB_S8_PKT3_PKT4_S6_PT5_21rocsparse_index_base_b.has_dyn_sized_stack, 0
	.set _ZN9rocsparseL20bsrxmvn_17_32_kernelILj17Efli18rocsparse_bfloat16S1_fEEvT2_20rocsparse_direction_NS_24const_host_device_scalarIT0_EES2_PKS2_PKT1_SB_S8_PKT3_PKT4_S6_PT5_21rocsparse_index_base_b.has_recursion, 0
	.set _ZN9rocsparseL20bsrxmvn_17_32_kernelILj17Efli18rocsparse_bfloat16S1_fEEvT2_20rocsparse_direction_NS_24const_host_device_scalarIT0_EES2_PKS2_PKT1_SB_S8_PKT3_PKT4_S6_PT5_21rocsparse_index_base_b.has_indirect_call, 0
	.section	.AMDGPU.csdata,"",@progbits
; Kernel info:
; codeLenInByte = 1332
; TotalNumSgprs: 30
; NumVgprs: 13
; ScratchSize: 0
; MemoryBound: 0
; FloatMode: 240
; IeeeMode: 1
; LDSByteSize: 1156 bytes/workgroup (compile time only)
; SGPRBlocks: 3
; VGPRBlocks: 3
; NumSGPRsForWavesPerEU: 30
; NumVGPRsForWavesPerEU: 13
; Occupancy: 10
; WaveLimiterHint : 1
; COMPUTE_PGM_RSRC2:SCRATCH_EN: 0
; COMPUTE_PGM_RSRC2:USER_SGPR: 6
; COMPUTE_PGM_RSRC2:TRAP_HANDLER: 0
; COMPUTE_PGM_RSRC2:TGID_X_EN: 1
; COMPUTE_PGM_RSRC2:TGID_Y_EN: 0
; COMPUTE_PGM_RSRC2:TGID_Z_EN: 0
; COMPUTE_PGM_RSRC2:TIDIG_COMP_CNT: 0
	.section	.text._ZN9rocsparseL20bsrxmvn_17_32_kernelILj18Efli18rocsparse_bfloat16S1_fEEvT2_20rocsparse_direction_NS_24const_host_device_scalarIT0_EES2_PKS2_PKT1_SB_S8_PKT3_PKT4_S6_PT5_21rocsparse_index_base_b,"axG",@progbits,_ZN9rocsparseL20bsrxmvn_17_32_kernelILj18Efli18rocsparse_bfloat16S1_fEEvT2_20rocsparse_direction_NS_24const_host_device_scalarIT0_EES2_PKS2_PKT1_SB_S8_PKT3_PKT4_S6_PT5_21rocsparse_index_base_b,comdat
	.globl	_ZN9rocsparseL20bsrxmvn_17_32_kernelILj18Efli18rocsparse_bfloat16S1_fEEvT2_20rocsparse_direction_NS_24const_host_device_scalarIT0_EES2_PKS2_PKT1_SB_S8_PKT3_PKT4_S6_PT5_21rocsparse_index_base_b ; -- Begin function _ZN9rocsparseL20bsrxmvn_17_32_kernelILj18Efli18rocsparse_bfloat16S1_fEEvT2_20rocsparse_direction_NS_24const_host_device_scalarIT0_EES2_PKS2_PKT1_SB_S8_PKT3_PKT4_S6_PT5_21rocsparse_index_base_b
	.p2align	8
	.type	_ZN9rocsparseL20bsrxmvn_17_32_kernelILj18Efli18rocsparse_bfloat16S1_fEEvT2_20rocsparse_direction_NS_24const_host_device_scalarIT0_EES2_PKS2_PKT1_SB_S8_PKT3_PKT4_S6_PT5_21rocsparse_index_base_b,@function
_ZN9rocsparseL20bsrxmvn_17_32_kernelILj18Efli18rocsparse_bfloat16S1_fEEvT2_20rocsparse_direction_NS_24const_host_device_scalarIT0_EES2_PKS2_PKT1_SB_S8_PKT3_PKT4_S6_PT5_21rocsparse_index_base_b: ; @_ZN9rocsparseL20bsrxmvn_17_32_kernelILj18Efli18rocsparse_bfloat16S1_fEEvT2_20rocsparse_direction_NS_24const_host_device_scalarIT0_EES2_PKS2_PKT1_SB_S8_PKT3_PKT4_S6_PT5_21rocsparse_index_base_b
; %bb.0:
	s_load_dwordx2 s[18:19], s[4:5], 0x58
	s_load_dwordx2 s[14:15], s[4:5], 0x8
	;; [unrolled: 1-line block ×3, first 2 shown]
	s_waitcnt lgkmcnt(0)
	s_bitcmp1_b32 s19, 0
	s_cselect_b64 s[2:3], -1, 0
	s_xor_b64 s[0:1], s[2:3], -1
	s_and_b64 vcc, exec, s[2:3]
	s_cbranch_vccnz .LBB353_2
; %bb.1:
	s_load_dword s14, s[14:15], 0x0
.LBB353_2:
	s_andn2_b64 vcc, exec, s[0:1]
	s_cbranch_vccnz .LBB353_4
; %bb.3:
	s_load_dword s12, s[12:13], 0x0
.LBB353_4:
	s_waitcnt lgkmcnt(0)
	v_cmp_neq_f32_e64 s[0:1], s14, 0
	v_cmp_neq_f32_e64 s[2:3], s12, 1.0
	s_or_b64 s[0:1], s[0:1], s[2:3]
	s_andn2_b64 vcc, exec, s[0:1]
	s_cbranch_vccnz .LBB353_40
; %bb.5:
	s_load_dwordx4 s[0:3], s[4:5], 0x18
	s_load_dwordx2 s[8:9], s[4:5], 0x28
	s_waitcnt lgkmcnt(0)
	s_cmp_eq_u64 s[0:1], 0
	s_cbranch_scc1 .LBB353_7
; %bb.6:
	s_ashr_i32 s7, s6, 31
	s_lshl_b64 s[6:7], s[6:7], 2
	s_add_u32 s0, s0, s6
	s_addc_u32 s1, s1, s7
	s_load_dword s0, s[0:1], 0x0
	s_waitcnt lgkmcnt(0)
	s_sub_i32 s6, s0, s18
.LBB353_7:
	s_load_dword s7, s[4:5], 0x4
	s_load_dwordx2 s[16:17], s[4:5], 0x50
	v_mul_u32_u24_e32 v1, 0xe39, v0
	v_mov_b32_e32 v2, 18
	v_mul_lo_u16_sdwa v3, v1, v2 dst_sel:DWORD dst_unused:UNUSED_PAD src0_sel:WORD_1 src1_sel:DWORD
	s_waitcnt lgkmcnt(0)
	s_cmp_eq_u32 s7, 1
	s_cselect_b64 s[0:1], -1, 0
	s_cmp_lg_u32 s7, 1
	s_cselect_b64 s[20:21], -1, 0
	s_ashr_i32 s7, s6, 31
	s_lshl_b64 s[10:11], s[6:7], 3
	s_add_u32 s2, s2, s10
	s_addc_u32 s3, s3, s11
	s_add_u32 s7, s2, 8
	s_addc_u32 s13, s3, 0
	;; [unrolled: 2-line block ×3, first 2 shown]
	s_cmp_eq_u64 s[8:9], 0
	s_cselect_b32 s9, s13, s11
	s_cselect_b32 s8, s7, s10
	s_load_dwordx2 s[22:23], s[8:9], 0x0
	s_load_dwordx2 s[24:25], s[2:3], 0x0
	v_sub_u16_e32 v7, v0, v3
	v_mov_b32_e32 v6, 0
	s_waitcnt lgkmcnt(0)
	v_mov_b32_e32 v3, s22
	v_mov_b32_e32 v4, s23
	v_cmp_ge_i64_e32 vcc, s[24:25], v[3:4]
	s_cbranch_vccnz .LBB353_12
; %bb.8:
	v_mov_b32_e32 v3, 15
	s_load_dwordx4 s[8:11], s[4:5], 0x30
	s_load_dwordx2 s[2:3], s[4:5], 0x40
	s_sub_u32 s4, s22, s18
	v_mul_lo_u16_sdwa v3, v1, v3 dst_sel:DWORD dst_unused:UNUSED_PAD src0_sel:WORD_1 src1_sel:DWORD
	s_subb_u32 s5, s23, 0
	v_mul_lo_u16_sdwa v2, v3, v2 dst_sel:DWORD dst_unused:UNUSED_PAD src0_sel:BYTE_1 src1_sel:DWORD
	v_sub_u16_sdwa v1, v1, v2 dst_sel:DWORD dst_unused:UNUSED_PAD src0_sel:WORD_1 src1_sel:DWORD
	s_sub_u32 s22, s24, s18
	v_and_b32_e32 v1, 0xff, v1
	s_subb_u32 s23, s25, 0
	v_cndmask_b32_e64 v1, v7, v1, s[0:1]
	s_mul_i32 s0, s23, 0x288
	s_mul_hi_u32 s1, s22, 0x288
	s_add_i32 s1, s1, s0
	s_mul_i32 s0, s22, 0x288
	s_waitcnt lgkmcnt(0)
	s_add_u32 s0, s10, s0
	v_lshlrev_b32_e32 v2, 1, v0
	s_addc_u32 s1, s11, s1
	v_add_co_u32_e32 v2, vcc, s0, v2
	s_movk_i32 s0, 0x195
	v_mov_b32_e32 v3, s1
	v_mul_u32_u24_sdwa v4, v0, s0 dst_sel:DWORD dst_unused:UNUSED_PAD src0_sel:WORD_0 src1_sel:DWORD
	v_addc_co_u32_e32 v3, vcc, 0, v3, vcc
	v_lshrrev_b32_e32 v8, 17, v4
	v_mov_b32_e32 v4, s25
	v_add_co_u32_e32 v5, vcc, s24, v8
	v_addc_co_u32_e32 v9, vcc, 0, v4, vcc
	v_subrev_co_u32_e32 v4, vcc, s18, v5
	v_subbrev_co_u32_e32 v5, vcc, 0, v9, vcc
	v_lshlrev_b64 v[4:5], 2, v[4:5]
	v_mov_b32_e32 v9, s9
	v_add_co_u32_e32 v4, vcc, s8, v4
	v_mov_b32_e32 v6, 0
	v_addc_co_u32_e32 v5, vcc, v9, v5, vcc
	s_branch .LBB353_10
.LBB353_9:                              ;   in Loop: Header=BB353_10 Depth=1
	s_or_b64 exec, exec, s[0:1]
	s_add_u32 s22, s22, 1
	v_mov_b32_e32 v10, s5
	s_addc_u32 s23, s23, 0
	v_mov_b32_e32 v9, s4
	v_cmp_lt_i64_e32 vcc, s[22:23], v[9:10]
	v_add_co_u32_e64 v4, s[0:1], 4, v4
	v_addc_co_u32_e64 v5, s[0:1], 0, v5, s[0:1]
	s_cbranch_vccz .LBB353_12
.LBB353_10:                             ; =>This Inner Loop Header: Depth=1
	v_mov_b32_e32 v10, s23
	v_add_co_u32_e32 v9, vcc, s22, v8
	v_addc_co_u32_e32 v10, vcc, 0, v10, vcc
	v_cmp_gt_i64_e32 vcc, s[4:5], v[9:10]
	s_and_saveexec_b64 s[0:1], vcc
	s_cbranch_execz .LBB353_9
; %bb.11:                               ;   in Loop: Header=BB353_10 Depth=1
	global_load_dword v9, v[4:5], off
	v_mov_b32_e32 v12, s3
	global_load_ushort v11, v[2:3], off
	s_waitcnt vmcnt(1)
	v_subrev_u32_e32 v9, s18, v9
	v_mad_u64_u32 v[9:10], s[8:9], v9, 18, v[1:2]
	v_ashrrev_i32_e32 v10, 31, v9
	v_lshlrev_b64 v[9:10], 1, v[9:10]
	v_add_co_u32_e32 v9, vcc, s2, v9
	v_addc_co_u32_e32 v10, vcc, v12, v10, vcc
	global_load_ushort v9, v[9:10], off
	v_add_co_u32_e32 v2, vcc, 0x288, v2
	s_waitcnt vmcnt(1)
	v_lshlrev_b32_e32 v10, 16, v11
	v_addc_co_u32_e32 v3, vcc, 0, v3, vcc
	s_waitcnt vmcnt(0)
	v_lshlrev_b32_e32 v9, 16, v9
	v_fmac_f32_e32 v6, v10, v9
	s_branch .LBB353_9
.LBB353_12:
	v_lshlrev_b32_e32 v1, 2, v0
	s_and_b64 vcc, exec, s[20:21]
	ds_write_b32 v1, v6
	s_waitcnt lgkmcnt(0)
	s_barrier
	s_cbranch_vccz .LBB353_24
; %bb.13:
	v_cmp_gt_u16_e32 vcc, 2, v7
	s_and_saveexec_b64 s[0:1], vcc
	s_cbranch_execz .LBB353_15
; %bb.14:
	ds_read2_b32 v[2:3], v1 offset1:16
	s_waitcnt lgkmcnt(0)
	v_add_f32_e32 v2, v3, v2
	ds_write_b32 v1, v2
.LBB353_15:
	s_or_b64 exec, exec, s[0:1]
	v_cmp_gt_u16_e64 s[0:1], 8, v7
	s_waitcnt lgkmcnt(0)
	s_barrier
	s_and_saveexec_b64 s[2:3], s[0:1]
	s_cbranch_execz .LBB353_17
; %bb.16:
	ds_read2_b32 v[2:3], v1 offset1:8
	s_waitcnt lgkmcnt(0)
	v_add_f32_e32 v2, v3, v2
	ds_write_b32 v1, v2
.LBB353_17:
	s_or_b64 exec, exec, s[2:3]
	v_cmp_gt_u16_e64 s[0:1], 4, v7
	s_waitcnt lgkmcnt(0)
	s_barrier
	s_and_saveexec_b64 s[2:3], s[0:1]
	s_cbranch_execz .LBB353_19
; %bb.18:
	ds_read2_b32 v[2:3], v1 offset1:4
	s_waitcnt lgkmcnt(0)
	v_add_f32_e32 v2, v3, v2
	ds_write_b32 v1, v2
.LBB353_19:
	s_or_b64 exec, exec, s[2:3]
	s_waitcnt lgkmcnt(0)
	s_barrier
	s_and_saveexec_b64 s[0:1], vcc
	s_cbranch_execz .LBB353_21
; %bb.20:
	ds_read2_b32 v[2:3], v1 offset1:2
	s_waitcnt lgkmcnt(0)
	v_add_f32_e32 v2, v3, v2
	ds_write_b32 v1, v2
.LBB353_21:
	s_or_b64 exec, exec, s[0:1]
	v_cmp_gt_u32_e32 vcc, 18, v0
	v_mov_b32_e32 v2, v6
	s_waitcnt lgkmcnt(0)
	s_barrier
	s_and_saveexec_b64 s[0:1], vcc
	s_cbranch_execz .LBB353_23
; %bb.22:
	s_movk_i32 s2, 0x44
	v_mad_u32_u24 v2, v0, s2, v1
	ds_read_b64 v[2:3], v2
	s_waitcnt lgkmcnt(0)
	v_add_f32_e32 v2, v2, v3
.LBB353_23:
	s_or_b64 exec, exec, s[0:1]
	s_branch .LBB353_36
.LBB353_24:
                                        ; implicit-def: $vgpr2
	s_cbranch_execz .LBB353_36
; %bb.25:
	v_cmp_gt_u32_e32 vcc, 36, v0
	s_and_saveexec_b64 s[0:1], vcc
	s_cbranch_execz .LBB353_27
; %bb.26:
	ds_read_b32 v2, v1 offset:1152
	ds_read_b32 v3, v1
	s_waitcnt lgkmcnt(0)
	v_add_f32_e32 v2, v2, v3
	ds_write_b32 v1, v2
.LBB353_27:
	s_or_b64 exec, exec, s[0:1]
	s_movk_i32 s0, 0x90
	v_cmp_gt_u32_e64 s[0:1], s0, v0
	s_waitcnt lgkmcnt(0)
	s_barrier
	s_and_saveexec_b64 s[2:3], s[0:1]
	s_cbranch_execz .LBB353_29
; %bb.28:
	ds_read2_b32 v[2:3], v1 offset1:144
	s_waitcnt lgkmcnt(0)
	v_add_f32_e32 v2, v3, v2
	ds_write_b32 v1, v2
.LBB353_29:
	s_or_b64 exec, exec, s[2:3]
	s_movk_i32 s0, 0x48
	v_cmp_gt_u32_e64 s[0:1], s0, v0
	s_waitcnt lgkmcnt(0)
	s_barrier
	s_and_saveexec_b64 s[2:3], s[0:1]
	s_cbranch_execz .LBB353_31
; %bb.30:
	ds_read2_b32 v[2:3], v1 offset1:72
	s_waitcnt lgkmcnt(0)
	v_add_f32_e32 v2, v3, v2
	ds_write_b32 v1, v2
.LBB353_31:
	s_or_b64 exec, exec, s[2:3]
	s_waitcnt lgkmcnt(0)
	s_barrier
	s_and_saveexec_b64 s[0:1], vcc
	s_cbranch_execz .LBB353_33
; %bb.32:
	ds_read2_b32 v[2:3], v1 offset1:36
	s_waitcnt lgkmcnt(0)
	v_add_f32_e32 v2, v3, v2
	ds_write_b32 v1, v2
.LBB353_33:
	s_or_b64 exec, exec, s[0:1]
	v_cmp_gt_u32_e32 vcc, 18, v0
	s_waitcnt lgkmcnt(0)
	s_and_saveexec_b64 s[0:1], vcc
	s_cbranch_execz .LBB353_35
; %bb.34:
	ds_read2_b32 v[1:2], v1 offset1:18
	s_waitcnt lgkmcnt(0)
	v_add_f32_e32 v6, v1, v2
.LBB353_35:
	s_or_b64 exec, exec, s[0:1]
	v_mov_b32_e32 v2, v6
.LBB353_36:
	v_cmp_gt_u32_e32 vcc, 18, v0
	s_and_saveexec_b64 s[0:1], vcc
	s_cbranch_execz .LBB353_40
; %bb.37:
	v_cmp_eq_f32_e64 s[0:1], s12, 0
	s_and_b64 vcc, exec, s[0:1]
	v_mul_f32_e32 v1, s14, v2
	s_cbranch_vccz .LBB353_41
; %bb.38:
	v_mad_u64_u32 v[2:3], s[0:1], s6, 18, v[0:1]
	v_mov_b32_e32 v3, 0
	v_mov_b32_e32 v4, s17
	v_lshlrev_b64 v[2:3], 2, v[2:3]
	v_add_co_u32_e32 v2, vcc, s16, v2
	v_addc_co_u32_e32 v3, vcc, v4, v3, vcc
	global_store_dword v[2:3], v1, off
	s_cbranch_execnz .LBB353_40
.LBB353_39:
	v_mad_u64_u32 v[2:3], s[0:1], s6, 18, v[0:1]
	v_mov_b32_e32 v3, 0
	v_mov_b32_e32 v0, s17
	v_lshlrev_b64 v[2:3], 2, v[2:3]
	v_add_co_u32_e32 v2, vcc, s16, v2
	v_addc_co_u32_e32 v3, vcc, v0, v3, vcc
	global_load_dword v0, v[2:3], off
	s_waitcnt vmcnt(0)
	v_fmac_f32_e32 v1, s12, v0
	global_store_dword v[2:3], v1, off
.LBB353_40:
	s_endpgm
.LBB353_41:
	s_branch .LBB353_39
	.section	.rodata,"a",@progbits
	.p2align	6, 0x0
	.amdhsa_kernel _ZN9rocsparseL20bsrxmvn_17_32_kernelILj18Efli18rocsparse_bfloat16S1_fEEvT2_20rocsparse_direction_NS_24const_host_device_scalarIT0_EES2_PKS2_PKT1_SB_S8_PKT3_PKT4_S6_PT5_21rocsparse_index_base_b
		.amdhsa_group_segment_fixed_size 1296
		.amdhsa_private_segment_fixed_size 0
		.amdhsa_kernarg_size 96
		.amdhsa_user_sgpr_count 6
		.amdhsa_user_sgpr_private_segment_buffer 1
		.amdhsa_user_sgpr_dispatch_ptr 0
		.amdhsa_user_sgpr_queue_ptr 0
		.amdhsa_user_sgpr_kernarg_segment_ptr 1
		.amdhsa_user_sgpr_dispatch_id 0
		.amdhsa_user_sgpr_flat_scratch_init 0
		.amdhsa_user_sgpr_private_segment_size 0
		.amdhsa_uses_dynamic_stack 0
		.amdhsa_system_sgpr_private_segment_wavefront_offset 0
		.amdhsa_system_sgpr_workgroup_id_x 1
		.amdhsa_system_sgpr_workgroup_id_y 0
		.amdhsa_system_sgpr_workgroup_id_z 0
		.amdhsa_system_sgpr_workgroup_info 0
		.amdhsa_system_vgpr_workitem_id 0
		.amdhsa_next_free_vgpr 13
		.amdhsa_next_free_sgpr 26
		.amdhsa_reserve_vcc 1
		.amdhsa_reserve_flat_scratch 0
		.amdhsa_float_round_mode_32 0
		.amdhsa_float_round_mode_16_64 0
		.amdhsa_float_denorm_mode_32 3
		.amdhsa_float_denorm_mode_16_64 3
		.amdhsa_dx10_clamp 1
		.amdhsa_ieee_mode 1
		.amdhsa_fp16_overflow 0
		.amdhsa_exception_fp_ieee_invalid_op 0
		.amdhsa_exception_fp_denorm_src 0
		.amdhsa_exception_fp_ieee_div_zero 0
		.amdhsa_exception_fp_ieee_overflow 0
		.amdhsa_exception_fp_ieee_underflow 0
		.amdhsa_exception_fp_ieee_inexact 0
		.amdhsa_exception_int_div_zero 0
	.end_amdhsa_kernel
	.section	.text._ZN9rocsparseL20bsrxmvn_17_32_kernelILj18Efli18rocsparse_bfloat16S1_fEEvT2_20rocsparse_direction_NS_24const_host_device_scalarIT0_EES2_PKS2_PKT1_SB_S8_PKT3_PKT4_S6_PT5_21rocsparse_index_base_b,"axG",@progbits,_ZN9rocsparseL20bsrxmvn_17_32_kernelILj18Efli18rocsparse_bfloat16S1_fEEvT2_20rocsparse_direction_NS_24const_host_device_scalarIT0_EES2_PKS2_PKT1_SB_S8_PKT3_PKT4_S6_PT5_21rocsparse_index_base_b,comdat
.Lfunc_end353:
	.size	_ZN9rocsparseL20bsrxmvn_17_32_kernelILj18Efli18rocsparse_bfloat16S1_fEEvT2_20rocsparse_direction_NS_24const_host_device_scalarIT0_EES2_PKS2_PKT1_SB_S8_PKT3_PKT4_S6_PT5_21rocsparse_index_base_b, .Lfunc_end353-_ZN9rocsparseL20bsrxmvn_17_32_kernelILj18Efli18rocsparse_bfloat16S1_fEEvT2_20rocsparse_direction_NS_24const_host_device_scalarIT0_EES2_PKS2_PKT1_SB_S8_PKT3_PKT4_S6_PT5_21rocsparse_index_base_b
                                        ; -- End function
	.set _ZN9rocsparseL20bsrxmvn_17_32_kernelILj18Efli18rocsparse_bfloat16S1_fEEvT2_20rocsparse_direction_NS_24const_host_device_scalarIT0_EES2_PKS2_PKT1_SB_S8_PKT3_PKT4_S6_PT5_21rocsparse_index_base_b.num_vgpr, 13
	.set _ZN9rocsparseL20bsrxmvn_17_32_kernelILj18Efli18rocsparse_bfloat16S1_fEEvT2_20rocsparse_direction_NS_24const_host_device_scalarIT0_EES2_PKS2_PKT1_SB_S8_PKT3_PKT4_S6_PT5_21rocsparse_index_base_b.num_agpr, 0
	.set _ZN9rocsparseL20bsrxmvn_17_32_kernelILj18Efli18rocsparse_bfloat16S1_fEEvT2_20rocsparse_direction_NS_24const_host_device_scalarIT0_EES2_PKS2_PKT1_SB_S8_PKT3_PKT4_S6_PT5_21rocsparse_index_base_b.numbered_sgpr, 26
	.set _ZN9rocsparseL20bsrxmvn_17_32_kernelILj18Efli18rocsparse_bfloat16S1_fEEvT2_20rocsparse_direction_NS_24const_host_device_scalarIT0_EES2_PKS2_PKT1_SB_S8_PKT3_PKT4_S6_PT5_21rocsparse_index_base_b.num_named_barrier, 0
	.set _ZN9rocsparseL20bsrxmvn_17_32_kernelILj18Efli18rocsparse_bfloat16S1_fEEvT2_20rocsparse_direction_NS_24const_host_device_scalarIT0_EES2_PKS2_PKT1_SB_S8_PKT3_PKT4_S6_PT5_21rocsparse_index_base_b.private_seg_size, 0
	.set _ZN9rocsparseL20bsrxmvn_17_32_kernelILj18Efli18rocsparse_bfloat16S1_fEEvT2_20rocsparse_direction_NS_24const_host_device_scalarIT0_EES2_PKS2_PKT1_SB_S8_PKT3_PKT4_S6_PT5_21rocsparse_index_base_b.uses_vcc, 1
	.set _ZN9rocsparseL20bsrxmvn_17_32_kernelILj18Efli18rocsparse_bfloat16S1_fEEvT2_20rocsparse_direction_NS_24const_host_device_scalarIT0_EES2_PKS2_PKT1_SB_S8_PKT3_PKT4_S6_PT5_21rocsparse_index_base_b.uses_flat_scratch, 0
	.set _ZN9rocsparseL20bsrxmvn_17_32_kernelILj18Efli18rocsparse_bfloat16S1_fEEvT2_20rocsparse_direction_NS_24const_host_device_scalarIT0_EES2_PKS2_PKT1_SB_S8_PKT3_PKT4_S6_PT5_21rocsparse_index_base_b.has_dyn_sized_stack, 0
	.set _ZN9rocsparseL20bsrxmvn_17_32_kernelILj18Efli18rocsparse_bfloat16S1_fEEvT2_20rocsparse_direction_NS_24const_host_device_scalarIT0_EES2_PKS2_PKT1_SB_S8_PKT3_PKT4_S6_PT5_21rocsparse_index_base_b.has_recursion, 0
	.set _ZN9rocsparseL20bsrxmvn_17_32_kernelILj18Efli18rocsparse_bfloat16S1_fEEvT2_20rocsparse_direction_NS_24const_host_device_scalarIT0_EES2_PKS2_PKT1_SB_S8_PKT3_PKT4_S6_PT5_21rocsparse_index_base_b.has_indirect_call, 0
	.section	.AMDGPU.csdata,"",@progbits
; Kernel info:
; codeLenInByte = 1336
; TotalNumSgprs: 30
; NumVgprs: 13
; ScratchSize: 0
; MemoryBound: 0
; FloatMode: 240
; IeeeMode: 1
; LDSByteSize: 1296 bytes/workgroup (compile time only)
; SGPRBlocks: 3
; VGPRBlocks: 3
; NumSGPRsForWavesPerEU: 30
; NumVGPRsForWavesPerEU: 13
; Occupancy: 10
; WaveLimiterHint : 1
; COMPUTE_PGM_RSRC2:SCRATCH_EN: 0
; COMPUTE_PGM_RSRC2:USER_SGPR: 6
; COMPUTE_PGM_RSRC2:TRAP_HANDLER: 0
; COMPUTE_PGM_RSRC2:TGID_X_EN: 1
; COMPUTE_PGM_RSRC2:TGID_Y_EN: 0
; COMPUTE_PGM_RSRC2:TGID_Z_EN: 0
; COMPUTE_PGM_RSRC2:TIDIG_COMP_CNT: 0
	.section	.text._ZN9rocsparseL20bsrxmvn_17_32_kernelILj19Efli18rocsparse_bfloat16S1_fEEvT2_20rocsparse_direction_NS_24const_host_device_scalarIT0_EES2_PKS2_PKT1_SB_S8_PKT3_PKT4_S6_PT5_21rocsparse_index_base_b,"axG",@progbits,_ZN9rocsparseL20bsrxmvn_17_32_kernelILj19Efli18rocsparse_bfloat16S1_fEEvT2_20rocsparse_direction_NS_24const_host_device_scalarIT0_EES2_PKS2_PKT1_SB_S8_PKT3_PKT4_S6_PT5_21rocsparse_index_base_b,comdat
	.globl	_ZN9rocsparseL20bsrxmvn_17_32_kernelILj19Efli18rocsparse_bfloat16S1_fEEvT2_20rocsparse_direction_NS_24const_host_device_scalarIT0_EES2_PKS2_PKT1_SB_S8_PKT3_PKT4_S6_PT5_21rocsparse_index_base_b ; -- Begin function _ZN9rocsparseL20bsrxmvn_17_32_kernelILj19Efli18rocsparse_bfloat16S1_fEEvT2_20rocsparse_direction_NS_24const_host_device_scalarIT0_EES2_PKS2_PKT1_SB_S8_PKT3_PKT4_S6_PT5_21rocsparse_index_base_b
	.p2align	8
	.type	_ZN9rocsparseL20bsrxmvn_17_32_kernelILj19Efli18rocsparse_bfloat16S1_fEEvT2_20rocsparse_direction_NS_24const_host_device_scalarIT0_EES2_PKS2_PKT1_SB_S8_PKT3_PKT4_S6_PT5_21rocsparse_index_base_b,@function
_ZN9rocsparseL20bsrxmvn_17_32_kernelILj19Efli18rocsparse_bfloat16S1_fEEvT2_20rocsparse_direction_NS_24const_host_device_scalarIT0_EES2_PKS2_PKT1_SB_S8_PKT3_PKT4_S6_PT5_21rocsparse_index_base_b: ; @_ZN9rocsparseL20bsrxmvn_17_32_kernelILj19Efli18rocsparse_bfloat16S1_fEEvT2_20rocsparse_direction_NS_24const_host_device_scalarIT0_EES2_PKS2_PKT1_SB_S8_PKT3_PKT4_S6_PT5_21rocsparse_index_base_b
; %bb.0:
	s_load_dwordx2 s[18:19], s[4:5], 0x58
	s_load_dwordx2 s[14:15], s[4:5], 0x8
	;; [unrolled: 1-line block ×3, first 2 shown]
	s_waitcnt lgkmcnt(0)
	s_bitcmp1_b32 s19, 0
	s_cselect_b64 s[2:3], -1, 0
	s_xor_b64 s[0:1], s[2:3], -1
	s_and_b64 vcc, exec, s[2:3]
	s_cbranch_vccnz .LBB354_2
; %bb.1:
	s_load_dword s14, s[14:15], 0x0
.LBB354_2:
	s_andn2_b64 vcc, exec, s[0:1]
	s_cbranch_vccnz .LBB354_4
; %bb.3:
	s_load_dword s12, s[12:13], 0x0
.LBB354_4:
	s_waitcnt lgkmcnt(0)
	v_cmp_neq_f32_e64 s[0:1], s14, 0
	v_cmp_neq_f32_e64 s[2:3], s12, 1.0
	s_or_b64 s[0:1], s[0:1], s[2:3]
	s_andn2_b64 vcc, exec, s[0:1]
	s_cbranch_vccnz .LBB354_40
; %bb.5:
	s_load_dwordx4 s[0:3], s[4:5], 0x18
	s_load_dwordx2 s[8:9], s[4:5], 0x28
	s_waitcnt lgkmcnt(0)
	s_cmp_eq_u64 s[0:1], 0
	s_cbranch_scc1 .LBB354_7
; %bb.6:
	s_ashr_i32 s7, s6, 31
	s_lshl_b64 s[6:7], s[6:7], 2
	s_add_u32 s0, s0, s6
	s_addc_u32 s1, s1, s7
	s_load_dword s0, s[0:1], 0x0
	s_waitcnt lgkmcnt(0)
	s_sub_i32 s6, s0, s18
.LBB354_7:
	s_load_dword s7, s[4:5], 0x4
	s_load_dwordx2 s[16:17], s[4:5], 0x50
	v_mul_u32_u24_e32 v1, 0xd7a, v0
	v_mov_b32_e32 v2, 19
	v_mul_lo_u16_sdwa v3, v1, v2 dst_sel:DWORD dst_unused:UNUSED_PAD src0_sel:WORD_1 src1_sel:DWORD
	s_waitcnt lgkmcnt(0)
	s_cmp_eq_u32 s7, 1
	s_cselect_b64 s[0:1], -1, 0
	s_cmp_lg_u32 s7, 1
	s_cselect_b64 s[20:21], -1, 0
	s_ashr_i32 s7, s6, 31
	s_lshl_b64 s[10:11], s[6:7], 3
	s_add_u32 s2, s2, s10
	s_addc_u32 s3, s3, s11
	s_add_u32 s7, s2, 8
	s_addc_u32 s13, s3, 0
	;; [unrolled: 2-line block ×3, first 2 shown]
	s_cmp_eq_u64 s[8:9], 0
	s_cselect_b32 s9, s13, s11
	s_cselect_b32 s8, s7, s10
	s_load_dwordx2 s[22:23], s[8:9], 0x0
	s_load_dwordx2 s[24:25], s[2:3], 0x0
	v_sub_u16_e32 v7, v0, v3
	v_mov_b32_e32 v6, 0
	s_waitcnt lgkmcnt(0)
	v_mov_b32_e32 v3, s22
	v_mov_b32_e32 v4, s23
	v_cmp_ge_i64_e32 vcc, s[24:25], v[3:4]
	s_cbranch_vccnz .LBB354_12
; %bb.8:
	v_mov_b32_e32 v3, 14
	s_load_dwordx4 s[8:11], s[4:5], 0x30
	s_load_dwordx2 s[2:3], s[4:5], 0x40
	s_sub_u32 s4, s22, s18
	v_mul_lo_u16_sdwa v3, v1, v3 dst_sel:DWORD dst_unused:UNUSED_PAD src0_sel:WORD_1 src1_sel:DWORD
	s_subb_u32 s5, s23, 0
	v_mul_lo_u16_sdwa v2, v3, v2 dst_sel:DWORD dst_unused:UNUSED_PAD src0_sel:BYTE_1 src1_sel:DWORD
	v_sub_u16_sdwa v1, v1, v2 dst_sel:DWORD dst_unused:UNUSED_PAD src0_sel:WORD_1 src1_sel:DWORD
	s_sub_u32 s22, s24, s18
	v_and_b32_e32 v1, 0xff, v1
	s_subb_u32 s23, s25, 0
	v_cndmask_b32_e64 v1, v7, v1, s[0:1]
	s_mul_i32 s0, s23, 0x2d2
	s_mul_hi_u32 s1, s22, 0x2d2
	s_add_i32 s1, s1, s0
	s_mul_i32 s0, s22, 0x2d2
	s_waitcnt lgkmcnt(0)
	s_add_u32 s0, s10, s0
	v_lshlrev_b32_e32 v2, 1, v0
	s_addc_u32 s1, s11, s1
	v_add_co_u32_e32 v2, vcc, s0, v2
	s_movk_i32 s0, 0xb6
	v_mov_b32_e32 v3, s1
	v_mul_u32_u24_sdwa v4, v0, s0 dst_sel:DWORD dst_unused:UNUSED_PAD src0_sel:WORD_0 src1_sel:DWORD
	v_addc_co_u32_e32 v3, vcc, 0, v3, vcc
	v_lshrrev_b32_e32 v8, 16, v4
	v_mov_b32_e32 v4, s25
	v_add_co_u32_e32 v5, vcc, s24, v8
	v_addc_co_u32_e32 v9, vcc, 0, v4, vcc
	v_subrev_co_u32_e32 v4, vcc, s18, v5
	v_subbrev_co_u32_e32 v5, vcc, 0, v9, vcc
	v_lshlrev_b64 v[4:5], 2, v[4:5]
	v_mov_b32_e32 v9, s9
	v_add_co_u32_e32 v4, vcc, s8, v4
	v_mov_b32_e32 v6, 0
	v_addc_co_u32_e32 v5, vcc, v9, v5, vcc
	s_branch .LBB354_10
.LBB354_9:                              ;   in Loop: Header=BB354_10 Depth=1
	s_or_b64 exec, exec, s[0:1]
	s_add_u32 s22, s22, 1
	v_mov_b32_e32 v10, s5
	s_addc_u32 s23, s23, 0
	v_mov_b32_e32 v9, s4
	v_cmp_lt_i64_e32 vcc, s[22:23], v[9:10]
	v_add_co_u32_e64 v4, s[0:1], 4, v4
	v_addc_co_u32_e64 v5, s[0:1], 0, v5, s[0:1]
	s_cbranch_vccz .LBB354_12
.LBB354_10:                             ; =>This Inner Loop Header: Depth=1
	v_mov_b32_e32 v10, s23
	v_add_co_u32_e32 v9, vcc, s22, v8
	v_addc_co_u32_e32 v10, vcc, 0, v10, vcc
	v_cmp_gt_i64_e32 vcc, s[4:5], v[9:10]
	s_and_saveexec_b64 s[0:1], vcc
	s_cbranch_execz .LBB354_9
; %bb.11:                               ;   in Loop: Header=BB354_10 Depth=1
	global_load_dword v9, v[4:5], off
	v_mov_b32_e32 v12, s3
	global_load_ushort v11, v[2:3], off
	s_waitcnt vmcnt(1)
	v_subrev_u32_e32 v9, s18, v9
	v_mad_u64_u32 v[9:10], s[8:9], v9, 19, v[1:2]
	v_ashrrev_i32_e32 v10, 31, v9
	v_lshlrev_b64 v[9:10], 1, v[9:10]
	v_add_co_u32_e32 v9, vcc, s2, v9
	v_addc_co_u32_e32 v10, vcc, v12, v10, vcc
	global_load_ushort v9, v[9:10], off
	v_add_co_u32_e32 v2, vcc, 0x2d2, v2
	s_waitcnt vmcnt(1)
	v_lshlrev_b32_e32 v10, 16, v11
	v_addc_co_u32_e32 v3, vcc, 0, v3, vcc
	s_waitcnt vmcnt(0)
	v_lshlrev_b32_e32 v9, 16, v9
	v_fmac_f32_e32 v6, v10, v9
	s_branch .LBB354_9
.LBB354_12:
	v_lshlrev_b32_e32 v1, 2, v0
	s_and_b64 vcc, exec, s[20:21]
	ds_write_b32 v1, v6
	s_waitcnt lgkmcnt(0)
	s_barrier
	s_cbranch_vccz .LBB354_24
; %bb.13:
	v_cmp_gt_u16_e32 vcc, 3, v7
	s_and_saveexec_b64 s[0:1], vcc
	s_cbranch_execz .LBB354_15
; %bb.14:
	ds_read2_b32 v[2:3], v1 offset1:16
	s_waitcnt lgkmcnt(0)
	v_add_f32_e32 v2, v3, v2
	ds_write_b32 v1, v2
.LBB354_15:
	s_or_b64 exec, exec, s[0:1]
	v_cmp_gt_u16_e32 vcc, 8, v7
	s_waitcnt lgkmcnt(0)
	s_barrier
	s_and_saveexec_b64 s[0:1], vcc
	s_cbranch_execz .LBB354_17
; %bb.16:
	ds_read2_b32 v[2:3], v1 offset1:8
	s_waitcnt lgkmcnt(0)
	v_add_f32_e32 v2, v3, v2
	ds_write_b32 v1, v2
.LBB354_17:
	s_or_b64 exec, exec, s[0:1]
	v_cmp_gt_u16_e32 vcc, 4, v7
	s_waitcnt lgkmcnt(0)
	s_barrier
	;; [unrolled: 12-line block ×3, first 2 shown]
	s_and_saveexec_b64 s[0:1], vcc
	s_cbranch_execz .LBB354_21
; %bb.20:
	ds_read2_b32 v[2:3], v1 offset1:2
	s_waitcnt lgkmcnt(0)
	v_add_f32_e32 v2, v3, v2
	ds_write_b32 v1, v2
.LBB354_21:
	s_or_b64 exec, exec, s[0:1]
	v_cmp_gt_u32_e32 vcc, 19, v0
	v_mov_b32_e32 v2, v6
	s_waitcnt lgkmcnt(0)
	s_barrier
	s_and_saveexec_b64 s[0:1], vcc
	s_cbranch_execz .LBB354_23
; %bb.22:
	s_movk_i32 s2, 0x48
	v_mad_u32_u24 v2, v0, s2, v1
	ds_read2_b32 v[2:3], v2 offset1:1
	s_waitcnt lgkmcnt(0)
	v_add_f32_e32 v2, v2, v3
.LBB354_23:
	s_or_b64 exec, exec, s[0:1]
	s_branch .LBB354_36
.LBB354_24:
                                        ; implicit-def: $vgpr2
	s_cbranch_execz .LBB354_36
; %bb.25:
	v_cmp_gt_u32_e32 vcc, 57, v0
	s_and_saveexec_b64 s[0:1], vcc
	s_cbranch_execz .LBB354_27
; %bb.26:
	ds_read_b32 v2, v1 offset:1216
	ds_read_b32 v3, v1
	s_waitcnt lgkmcnt(0)
	v_add_f32_e32 v2, v2, v3
	ds_write_b32 v1, v2
.LBB354_27:
	s_or_b64 exec, exec, s[0:1]
	s_movk_i32 s0, 0x98
	v_cmp_gt_u32_e32 vcc, s0, v0
	s_waitcnt lgkmcnt(0)
	s_barrier
	s_and_saveexec_b64 s[0:1], vcc
	s_cbranch_execz .LBB354_29
; %bb.28:
	ds_read2_b32 v[2:3], v1 offset1:152
	s_waitcnt lgkmcnt(0)
	v_add_f32_e32 v2, v3, v2
	ds_write_b32 v1, v2
.LBB354_29:
	s_or_b64 exec, exec, s[0:1]
	s_movk_i32 s0, 0x4c
	v_cmp_gt_u32_e32 vcc, s0, v0
	s_waitcnt lgkmcnt(0)
	s_barrier
	s_and_saveexec_b64 s[0:1], vcc
	s_cbranch_execz .LBB354_31
; %bb.30:
	ds_read2_b32 v[2:3], v1 offset1:76
	s_waitcnt lgkmcnt(0)
	v_add_f32_e32 v2, v3, v2
	ds_write_b32 v1, v2
.LBB354_31:
	s_or_b64 exec, exec, s[0:1]
	v_cmp_gt_u32_e32 vcc, 38, v0
	s_waitcnt lgkmcnt(0)
	s_barrier
	s_and_saveexec_b64 s[0:1], vcc
	s_cbranch_execz .LBB354_33
; %bb.32:
	ds_read2_b32 v[2:3], v1 offset1:38
	s_waitcnt lgkmcnt(0)
	v_add_f32_e32 v2, v3, v2
	ds_write_b32 v1, v2
.LBB354_33:
	s_or_b64 exec, exec, s[0:1]
	v_cmp_gt_u32_e32 vcc, 19, v0
	s_waitcnt lgkmcnt(0)
	s_and_saveexec_b64 s[0:1], vcc
	s_cbranch_execz .LBB354_35
; %bb.34:
	ds_read2_b32 v[1:2], v1 offset1:19
	s_waitcnt lgkmcnt(0)
	v_add_f32_e32 v6, v1, v2
.LBB354_35:
	s_or_b64 exec, exec, s[0:1]
	v_mov_b32_e32 v2, v6
.LBB354_36:
	v_cmp_gt_u32_e32 vcc, 19, v0
	s_and_saveexec_b64 s[0:1], vcc
	s_cbranch_execz .LBB354_40
; %bb.37:
	v_cmp_eq_f32_e64 s[0:1], s12, 0
	s_and_b64 vcc, exec, s[0:1]
	v_mul_f32_e32 v1, s14, v2
	s_cbranch_vccz .LBB354_41
; %bb.38:
	v_mad_u64_u32 v[2:3], s[0:1], s6, 19, v[0:1]
	v_mov_b32_e32 v3, 0
	v_mov_b32_e32 v4, s17
	v_lshlrev_b64 v[2:3], 2, v[2:3]
	v_add_co_u32_e32 v2, vcc, s16, v2
	v_addc_co_u32_e32 v3, vcc, v4, v3, vcc
	global_store_dword v[2:3], v1, off
	s_cbranch_execnz .LBB354_40
.LBB354_39:
	v_mad_u64_u32 v[2:3], s[0:1], s6, 19, v[0:1]
	v_mov_b32_e32 v3, 0
	v_mov_b32_e32 v0, s17
	v_lshlrev_b64 v[2:3], 2, v[2:3]
	v_add_co_u32_e32 v2, vcc, s16, v2
	v_addc_co_u32_e32 v3, vcc, v0, v3, vcc
	global_load_dword v0, v[2:3], off
	s_waitcnt vmcnt(0)
	v_fmac_f32_e32 v1, s12, v0
	global_store_dword v[2:3], v1, off
.LBB354_40:
	s_endpgm
.LBB354_41:
	s_branch .LBB354_39
	.section	.rodata,"a",@progbits
	.p2align	6, 0x0
	.amdhsa_kernel _ZN9rocsparseL20bsrxmvn_17_32_kernelILj19Efli18rocsparse_bfloat16S1_fEEvT2_20rocsparse_direction_NS_24const_host_device_scalarIT0_EES2_PKS2_PKT1_SB_S8_PKT3_PKT4_S6_PT5_21rocsparse_index_base_b
		.amdhsa_group_segment_fixed_size 1444
		.amdhsa_private_segment_fixed_size 0
		.amdhsa_kernarg_size 96
		.amdhsa_user_sgpr_count 6
		.amdhsa_user_sgpr_private_segment_buffer 1
		.amdhsa_user_sgpr_dispatch_ptr 0
		.amdhsa_user_sgpr_queue_ptr 0
		.amdhsa_user_sgpr_kernarg_segment_ptr 1
		.amdhsa_user_sgpr_dispatch_id 0
		.amdhsa_user_sgpr_flat_scratch_init 0
		.amdhsa_user_sgpr_private_segment_size 0
		.amdhsa_uses_dynamic_stack 0
		.amdhsa_system_sgpr_private_segment_wavefront_offset 0
		.amdhsa_system_sgpr_workgroup_id_x 1
		.amdhsa_system_sgpr_workgroup_id_y 0
		.amdhsa_system_sgpr_workgroup_id_z 0
		.amdhsa_system_sgpr_workgroup_info 0
		.amdhsa_system_vgpr_workitem_id 0
		.amdhsa_next_free_vgpr 13
		.amdhsa_next_free_sgpr 26
		.amdhsa_reserve_vcc 1
		.amdhsa_reserve_flat_scratch 0
		.amdhsa_float_round_mode_32 0
		.amdhsa_float_round_mode_16_64 0
		.amdhsa_float_denorm_mode_32 3
		.amdhsa_float_denorm_mode_16_64 3
		.amdhsa_dx10_clamp 1
		.amdhsa_ieee_mode 1
		.amdhsa_fp16_overflow 0
		.amdhsa_exception_fp_ieee_invalid_op 0
		.amdhsa_exception_fp_denorm_src 0
		.amdhsa_exception_fp_ieee_div_zero 0
		.amdhsa_exception_fp_ieee_overflow 0
		.amdhsa_exception_fp_ieee_underflow 0
		.amdhsa_exception_fp_ieee_inexact 0
		.amdhsa_exception_int_div_zero 0
	.end_amdhsa_kernel
	.section	.text._ZN9rocsparseL20bsrxmvn_17_32_kernelILj19Efli18rocsparse_bfloat16S1_fEEvT2_20rocsparse_direction_NS_24const_host_device_scalarIT0_EES2_PKS2_PKT1_SB_S8_PKT3_PKT4_S6_PT5_21rocsparse_index_base_b,"axG",@progbits,_ZN9rocsparseL20bsrxmvn_17_32_kernelILj19Efli18rocsparse_bfloat16S1_fEEvT2_20rocsparse_direction_NS_24const_host_device_scalarIT0_EES2_PKS2_PKT1_SB_S8_PKT3_PKT4_S6_PT5_21rocsparse_index_base_b,comdat
.Lfunc_end354:
	.size	_ZN9rocsparseL20bsrxmvn_17_32_kernelILj19Efli18rocsparse_bfloat16S1_fEEvT2_20rocsparse_direction_NS_24const_host_device_scalarIT0_EES2_PKS2_PKT1_SB_S8_PKT3_PKT4_S6_PT5_21rocsparse_index_base_b, .Lfunc_end354-_ZN9rocsparseL20bsrxmvn_17_32_kernelILj19Efli18rocsparse_bfloat16S1_fEEvT2_20rocsparse_direction_NS_24const_host_device_scalarIT0_EES2_PKS2_PKT1_SB_S8_PKT3_PKT4_S6_PT5_21rocsparse_index_base_b
                                        ; -- End function
	.set _ZN9rocsparseL20bsrxmvn_17_32_kernelILj19Efli18rocsparse_bfloat16S1_fEEvT2_20rocsparse_direction_NS_24const_host_device_scalarIT0_EES2_PKS2_PKT1_SB_S8_PKT3_PKT4_S6_PT5_21rocsparse_index_base_b.num_vgpr, 13
	.set _ZN9rocsparseL20bsrxmvn_17_32_kernelILj19Efli18rocsparse_bfloat16S1_fEEvT2_20rocsparse_direction_NS_24const_host_device_scalarIT0_EES2_PKS2_PKT1_SB_S8_PKT3_PKT4_S6_PT5_21rocsparse_index_base_b.num_agpr, 0
	.set _ZN9rocsparseL20bsrxmvn_17_32_kernelILj19Efli18rocsparse_bfloat16S1_fEEvT2_20rocsparse_direction_NS_24const_host_device_scalarIT0_EES2_PKS2_PKT1_SB_S8_PKT3_PKT4_S6_PT5_21rocsparse_index_base_b.numbered_sgpr, 26
	.set _ZN9rocsparseL20bsrxmvn_17_32_kernelILj19Efli18rocsparse_bfloat16S1_fEEvT2_20rocsparse_direction_NS_24const_host_device_scalarIT0_EES2_PKS2_PKT1_SB_S8_PKT3_PKT4_S6_PT5_21rocsparse_index_base_b.num_named_barrier, 0
	.set _ZN9rocsparseL20bsrxmvn_17_32_kernelILj19Efli18rocsparse_bfloat16S1_fEEvT2_20rocsparse_direction_NS_24const_host_device_scalarIT0_EES2_PKS2_PKT1_SB_S8_PKT3_PKT4_S6_PT5_21rocsparse_index_base_b.private_seg_size, 0
	.set _ZN9rocsparseL20bsrxmvn_17_32_kernelILj19Efli18rocsparse_bfloat16S1_fEEvT2_20rocsparse_direction_NS_24const_host_device_scalarIT0_EES2_PKS2_PKT1_SB_S8_PKT3_PKT4_S6_PT5_21rocsparse_index_base_b.uses_vcc, 1
	.set _ZN9rocsparseL20bsrxmvn_17_32_kernelILj19Efli18rocsparse_bfloat16S1_fEEvT2_20rocsparse_direction_NS_24const_host_device_scalarIT0_EES2_PKS2_PKT1_SB_S8_PKT3_PKT4_S6_PT5_21rocsparse_index_base_b.uses_flat_scratch, 0
	.set _ZN9rocsparseL20bsrxmvn_17_32_kernelILj19Efli18rocsparse_bfloat16S1_fEEvT2_20rocsparse_direction_NS_24const_host_device_scalarIT0_EES2_PKS2_PKT1_SB_S8_PKT3_PKT4_S6_PT5_21rocsparse_index_base_b.has_dyn_sized_stack, 0
	.set _ZN9rocsparseL20bsrxmvn_17_32_kernelILj19Efli18rocsparse_bfloat16S1_fEEvT2_20rocsparse_direction_NS_24const_host_device_scalarIT0_EES2_PKS2_PKT1_SB_S8_PKT3_PKT4_S6_PT5_21rocsparse_index_base_b.has_recursion, 0
	.set _ZN9rocsparseL20bsrxmvn_17_32_kernelILj19Efli18rocsparse_bfloat16S1_fEEvT2_20rocsparse_direction_NS_24const_host_device_scalarIT0_EES2_PKS2_PKT1_SB_S8_PKT3_PKT4_S6_PT5_21rocsparse_index_base_b.has_indirect_call, 0
	.section	.AMDGPU.csdata,"",@progbits
; Kernel info:
; codeLenInByte = 1328
; TotalNumSgprs: 30
; NumVgprs: 13
; ScratchSize: 0
; MemoryBound: 0
; FloatMode: 240
; IeeeMode: 1
; LDSByteSize: 1444 bytes/workgroup (compile time only)
; SGPRBlocks: 3
; VGPRBlocks: 3
; NumSGPRsForWavesPerEU: 30
; NumVGPRsForWavesPerEU: 13
; Occupancy: 10
; WaveLimiterHint : 1
; COMPUTE_PGM_RSRC2:SCRATCH_EN: 0
; COMPUTE_PGM_RSRC2:USER_SGPR: 6
; COMPUTE_PGM_RSRC2:TRAP_HANDLER: 0
; COMPUTE_PGM_RSRC2:TGID_X_EN: 1
; COMPUTE_PGM_RSRC2:TGID_Y_EN: 0
; COMPUTE_PGM_RSRC2:TGID_Z_EN: 0
; COMPUTE_PGM_RSRC2:TIDIG_COMP_CNT: 0
	.section	.text._ZN9rocsparseL20bsrxmvn_17_32_kernelILj20Efli18rocsparse_bfloat16S1_fEEvT2_20rocsparse_direction_NS_24const_host_device_scalarIT0_EES2_PKS2_PKT1_SB_S8_PKT3_PKT4_S6_PT5_21rocsparse_index_base_b,"axG",@progbits,_ZN9rocsparseL20bsrxmvn_17_32_kernelILj20Efli18rocsparse_bfloat16S1_fEEvT2_20rocsparse_direction_NS_24const_host_device_scalarIT0_EES2_PKS2_PKT1_SB_S8_PKT3_PKT4_S6_PT5_21rocsparse_index_base_b,comdat
	.globl	_ZN9rocsparseL20bsrxmvn_17_32_kernelILj20Efli18rocsparse_bfloat16S1_fEEvT2_20rocsparse_direction_NS_24const_host_device_scalarIT0_EES2_PKS2_PKT1_SB_S8_PKT3_PKT4_S6_PT5_21rocsparse_index_base_b ; -- Begin function _ZN9rocsparseL20bsrxmvn_17_32_kernelILj20Efli18rocsparse_bfloat16S1_fEEvT2_20rocsparse_direction_NS_24const_host_device_scalarIT0_EES2_PKS2_PKT1_SB_S8_PKT3_PKT4_S6_PT5_21rocsparse_index_base_b
	.p2align	8
	.type	_ZN9rocsparseL20bsrxmvn_17_32_kernelILj20Efli18rocsparse_bfloat16S1_fEEvT2_20rocsparse_direction_NS_24const_host_device_scalarIT0_EES2_PKS2_PKT1_SB_S8_PKT3_PKT4_S6_PT5_21rocsparse_index_base_b,@function
_ZN9rocsparseL20bsrxmvn_17_32_kernelILj20Efli18rocsparse_bfloat16S1_fEEvT2_20rocsparse_direction_NS_24const_host_device_scalarIT0_EES2_PKS2_PKT1_SB_S8_PKT3_PKT4_S6_PT5_21rocsparse_index_base_b: ; @_ZN9rocsparseL20bsrxmvn_17_32_kernelILj20Efli18rocsparse_bfloat16S1_fEEvT2_20rocsparse_direction_NS_24const_host_device_scalarIT0_EES2_PKS2_PKT1_SB_S8_PKT3_PKT4_S6_PT5_21rocsparse_index_base_b
; %bb.0:
	s_load_dwordx2 s[18:19], s[4:5], 0x58
	s_load_dwordx2 s[14:15], s[4:5], 0x8
	;; [unrolled: 1-line block ×3, first 2 shown]
	s_waitcnt lgkmcnt(0)
	s_bitcmp1_b32 s19, 0
	s_cselect_b64 s[2:3], -1, 0
	s_xor_b64 s[0:1], s[2:3], -1
	s_and_b64 vcc, exec, s[2:3]
	s_cbranch_vccnz .LBB355_2
; %bb.1:
	s_load_dword s14, s[14:15], 0x0
.LBB355_2:
	s_andn2_b64 vcc, exec, s[0:1]
	s_cbranch_vccnz .LBB355_4
; %bb.3:
	s_load_dword s12, s[12:13], 0x0
.LBB355_4:
	s_waitcnt lgkmcnt(0)
	v_cmp_neq_f32_e64 s[0:1], s14, 0
	v_cmp_neq_f32_e64 s[2:3], s12, 1.0
	s_or_b64 s[0:1], s[0:1], s[2:3]
	s_andn2_b64 vcc, exec, s[0:1]
	s_cbranch_vccnz .LBB355_40
; %bb.5:
	s_load_dwordx4 s[0:3], s[4:5], 0x18
	s_load_dwordx2 s[8:9], s[4:5], 0x28
	s_waitcnt lgkmcnt(0)
	s_cmp_eq_u64 s[0:1], 0
	s_cbranch_scc1 .LBB355_7
; %bb.6:
	s_ashr_i32 s7, s6, 31
	s_lshl_b64 s[6:7], s[6:7], 2
	s_add_u32 s0, s0, s6
	s_addc_u32 s1, s1, s7
	s_load_dword s0, s[0:1], 0x0
	s_waitcnt lgkmcnt(0)
	s_sub_i32 s6, s0, s18
.LBB355_7:
	s_load_dword s7, s[4:5], 0x4
	s_load_dwordx2 s[16:17], s[4:5], 0x50
	v_mul_u32_u24_e32 v1, 0xccd, v0
	v_mov_b32_e32 v2, 20
	v_mul_lo_u16_sdwa v3, v1, v2 dst_sel:DWORD dst_unused:UNUSED_PAD src0_sel:WORD_1 src1_sel:DWORD
	s_waitcnt lgkmcnt(0)
	s_cmp_eq_u32 s7, 1
	s_cselect_b64 s[0:1], -1, 0
	s_cmp_lg_u32 s7, 1
	s_cselect_b64 s[20:21], -1, 0
	s_ashr_i32 s7, s6, 31
	s_lshl_b64 s[10:11], s[6:7], 3
	s_add_u32 s2, s2, s10
	s_addc_u32 s3, s3, s11
	s_add_u32 s7, s2, 8
	s_addc_u32 s13, s3, 0
	;; [unrolled: 2-line block ×3, first 2 shown]
	s_cmp_eq_u64 s[8:9], 0
	s_cselect_b32 s9, s13, s11
	s_cselect_b32 s8, s7, s10
	s_load_dwordx2 s[22:23], s[8:9], 0x0
	s_load_dwordx2 s[24:25], s[2:3], 0x0
	v_sub_u16_e32 v7, v0, v3
	v_mov_b32_e32 v6, 0
	s_waitcnt lgkmcnt(0)
	v_mov_b32_e32 v3, s22
	v_mov_b32_e32 v4, s23
	v_cmp_ge_i64_e32 vcc, s[24:25], v[3:4]
	s_cbranch_vccnz .LBB355_12
; %bb.8:
	v_mov_b32_e32 v3, 13
	s_load_dwordx4 s[8:11], s[4:5], 0x30
	s_load_dwordx2 s[2:3], s[4:5], 0x40
	s_sub_u32 s4, s22, s18
	v_mul_lo_u16_sdwa v3, v1, v3 dst_sel:DWORD dst_unused:UNUSED_PAD src0_sel:WORD_1 src1_sel:DWORD
	s_subb_u32 s5, s23, 0
	v_mul_lo_u16_sdwa v2, v3, v2 dst_sel:DWORD dst_unused:UNUSED_PAD src0_sel:BYTE_1 src1_sel:DWORD
	v_sub_u16_sdwa v1, v1, v2 dst_sel:DWORD dst_unused:UNUSED_PAD src0_sel:WORD_1 src1_sel:DWORD
	s_sub_u32 s22, s24, s18
	v_and_b32_e32 v1, 0xff, v1
	s_subb_u32 s23, s25, 0
	v_cndmask_b32_e64 v1, v7, v1, s[0:1]
	s_mul_i32 s0, s23, 0x320
	s_mul_hi_u32 s1, s22, 0x320
	s_add_i32 s1, s1, s0
	s_mul_i32 s0, s22, 0x320
	s_waitcnt lgkmcnt(0)
	s_add_u32 s0, s10, s0
	v_lshlrev_b32_e32 v2, 1, v0
	s_addc_u32 s1, s11, s1
	v_add_co_u32_e32 v2, vcc, s0, v2
	s_movk_i32 s0, 0xa4
	v_mov_b32_e32 v3, s1
	v_mul_u32_u24_sdwa v4, v0, s0 dst_sel:DWORD dst_unused:UNUSED_PAD src0_sel:WORD_0 src1_sel:DWORD
	v_addc_co_u32_e32 v3, vcc, 0, v3, vcc
	v_lshrrev_b32_e32 v8, 16, v4
	v_mov_b32_e32 v4, s25
	v_add_co_u32_e32 v5, vcc, s24, v8
	v_addc_co_u32_e32 v9, vcc, 0, v4, vcc
	v_subrev_co_u32_e32 v4, vcc, s18, v5
	v_subbrev_co_u32_e32 v5, vcc, 0, v9, vcc
	v_lshlrev_b64 v[4:5], 2, v[4:5]
	v_mov_b32_e32 v9, s9
	v_add_co_u32_e32 v4, vcc, s8, v4
	v_mov_b32_e32 v6, 0
	v_addc_co_u32_e32 v5, vcc, v9, v5, vcc
	s_branch .LBB355_10
.LBB355_9:                              ;   in Loop: Header=BB355_10 Depth=1
	s_or_b64 exec, exec, s[0:1]
	s_add_u32 s22, s22, 1
	v_mov_b32_e32 v10, s5
	s_addc_u32 s23, s23, 0
	v_mov_b32_e32 v9, s4
	v_cmp_lt_i64_e32 vcc, s[22:23], v[9:10]
	v_add_co_u32_e64 v4, s[0:1], 4, v4
	v_addc_co_u32_e64 v5, s[0:1], 0, v5, s[0:1]
	s_cbranch_vccz .LBB355_12
.LBB355_10:                             ; =>This Inner Loop Header: Depth=1
	v_mov_b32_e32 v10, s23
	v_add_co_u32_e32 v9, vcc, s22, v8
	v_addc_co_u32_e32 v10, vcc, 0, v10, vcc
	v_cmp_gt_i64_e32 vcc, s[4:5], v[9:10]
	s_and_saveexec_b64 s[0:1], vcc
	s_cbranch_execz .LBB355_9
; %bb.11:                               ;   in Loop: Header=BB355_10 Depth=1
	global_load_dword v9, v[4:5], off
	v_mov_b32_e32 v12, s3
	global_load_ushort v11, v[2:3], off
	s_waitcnt vmcnt(1)
	v_subrev_u32_e32 v9, s18, v9
	v_mad_u64_u32 v[9:10], s[8:9], v9, 20, v[1:2]
	v_ashrrev_i32_e32 v10, 31, v9
	v_lshlrev_b64 v[9:10], 1, v[9:10]
	v_add_co_u32_e32 v9, vcc, s2, v9
	v_addc_co_u32_e32 v10, vcc, v12, v10, vcc
	global_load_ushort v9, v[9:10], off
	v_add_co_u32_e32 v2, vcc, 0x320, v2
	s_waitcnt vmcnt(1)
	v_lshlrev_b32_e32 v10, 16, v11
	v_addc_co_u32_e32 v3, vcc, 0, v3, vcc
	s_waitcnt vmcnt(0)
	v_lshlrev_b32_e32 v9, 16, v9
	v_fmac_f32_e32 v6, v10, v9
	s_branch .LBB355_9
.LBB355_12:
	v_lshlrev_b32_e32 v1, 2, v0
	s_and_b64 vcc, exec, s[20:21]
	ds_write_b32 v1, v6
	s_waitcnt lgkmcnt(0)
	s_barrier
	s_cbranch_vccz .LBB355_24
; %bb.13:
	v_cmp_gt_u16_e32 vcc, 4, v7
	s_and_saveexec_b64 s[0:1], vcc
	s_cbranch_execz .LBB355_15
; %bb.14:
	ds_read2_b32 v[2:3], v1 offset1:16
	s_waitcnt lgkmcnt(0)
	v_add_f32_e32 v2, v3, v2
	ds_write_b32 v1, v2
.LBB355_15:
	s_or_b64 exec, exec, s[0:1]
	v_cmp_gt_u16_e64 s[0:1], 8, v7
	s_waitcnt lgkmcnt(0)
	s_barrier
	s_and_saveexec_b64 s[2:3], s[0:1]
	s_cbranch_execz .LBB355_17
; %bb.16:
	ds_read2_b32 v[2:3], v1 offset1:8
	s_waitcnt lgkmcnt(0)
	v_add_f32_e32 v2, v3, v2
	ds_write_b32 v1, v2
.LBB355_17:
	s_or_b64 exec, exec, s[2:3]
	s_waitcnt lgkmcnt(0)
	s_barrier
	s_and_saveexec_b64 s[0:1], vcc
	s_cbranch_execz .LBB355_19
; %bb.18:
	ds_read2_b32 v[2:3], v1 offset1:4
	s_waitcnt lgkmcnt(0)
	v_add_f32_e32 v2, v3, v2
	ds_write_b32 v1, v2
.LBB355_19:
	s_or_b64 exec, exec, s[0:1]
	v_cmp_gt_u16_e32 vcc, 2, v7
	s_waitcnt lgkmcnt(0)
	s_barrier
	s_and_saveexec_b64 s[0:1], vcc
	s_cbranch_execz .LBB355_21
; %bb.20:
	ds_read2_b32 v[2:3], v1 offset1:2
	s_waitcnt lgkmcnt(0)
	v_add_f32_e32 v2, v3, v2
	ds_write_b32 v1, v2
.LBB355_21:
	s_or_b64 exec, exec, s[0:1]
	v_cmp_gt_u32_e32 vcc, 20, v0
	v_mov_b32_e32 v2, v6
	s_waitcnt lgkmcnt(0)
	s_barrier
	s_and_saveexec_b64 s[0:1], vcc
	s_cbranch_execz .LBB355_23
; %bb.22:
	s_movk_i32 s2, 0x4c
	v_mad_u32_u24 v2, v0, s2, v1
	ds_read_b64 v[2:3], v2
	s_waitcnt lgkmcnt(0)
	v_add_f32_e32 v2, v2, v3
.LBB355_23:
	s_or_b64 exec, exec, s[0:1]
	s_branch .LBB355_36
.LBB355_24:
                                        ; implicit-def: $vgpr2
	s_cbranch_execz .LBB355_36
; %bb.25:
	s_movk_i32 s0, 0x50
	v_cmp_gt_u32_e32 vcc, s0, v0
	s_and_saveexec_b64 s[0:1], vcc
	s_cbranch_execz .LBB355_27
; %bb.26:
	ds_read2st64_b32 v[2:3], v1 offset1:5
	s_waitcnt lgkmcnt(0)
	v_add_f32_e32 v2, v3, v2
	ds_write_b32 v1, v2
.LBB355_27:
	s_or_b64 exec, exec, s[0:1]
	s_movk_i32 s0, 0xa0
	v_cmp_gt_u32_e64 s[0:1], s0, v0
	s_waitcnt lgkmcnt(0)
	s_barrier
	s_and_saveexec_b64 s[2:3], s[0:1]
	s_cbranch_execz .LBB355_29
; %bb.28:
	ds_read2_b32 v[2:3], v1 offset1:160
	s_waitcnt lgkmcnt(0)
	v_add_f32_e32 v2, v3, v2
	ds_write_b32 v1, v2
.LBB355_29:
	s_or_b64 exec, exec, s[2:3]
	s_waitcnt lgkmcnt(0)
	s_barrier
	s_and_saveexec_b64 s[0:1], vcc
	s_cbranch_execz .LBB355_31
; %bb.30:
	ds_read2_b32 v[2:3], v1 offset1:80
	s_waitcnt lgkmcnt(0)
	v_add_f32_e32 v2, v3, v2
	ds_write_b32 v1, v2
.LBB355_31:
	s_or_b64 exec, exec, s[0:1]
	v_cmp_gt_u32_e32 vcc, 40, v0
	s_waitcnt lgkmcnt(0)
	s_barrier
	s_and_saveexec_b64 s[0:1], vcc
	s_cbranch_execz .LBB355_33
; %bb.32:
	ds_read2_b32 v[2:3], v1 offset1:40
	s_waitcnt lgkmcnt(0)
	v_add_f32_e32 v2, v3, v2
	ds_write_b32 v1, v2
.LBB355_33:
	s_or_b64 exec, exec, s[0:1]
	v_cmp_gt_u32_e32 vcc, 20, v0
	s_waitcnt lgkmcnt(0)
	s_and_saveexec_b64 s[0:1], vcc
	s_cbranch_execz .LBB355_35
; %bb.34:
	ds_read2_b32 v[1:2], v1 offset1:20
	s_waitcnt lgkmcnt(0)
	v_add_f32_e32 v6, v1, v2
.LBB355_35:
	s_or_b64 exec, exec, s[0:1]
	v_mov_b32_e32 v2, v6
.LBB355_36:
	v_cmp_gt_u32_e32 vcc, 20, v0
	s_and_saveexec_b64 s[0:1], vcc
	s_cbranch_execz .LBB355_40
; %bb.37:
	v_cmp_eq_f32_e64 s[0:1], s12, 0
	s_and_b64 vcc, exec, s[0:1]
	v_mul_f32_e32 v1, s14, v2
	s_cbranch_vccz .LBB355_41
; %bb.38:
	v_mad_u64_u32 v[2:3], s[0:1], s6, 20, v[0:1]
	v_mov_b32_e32 v3, 0
	v_mov_b32_e32 v4, s17
	v_lshlrev_b64 v[2:3], 2, v[2:3]
	v_add_co_u32_e32 v2, vcc, s16, v2
	v_addc_co_u32_e32 v3, vcc, v4, v3, vcc
	global_store_dword v[2:3], v1, off
	s_cbranch_execnz .LBB355_40
.LBB355_39:
	v_mad_u64_u32 v[2:3], s[0:1], s6, 20, v[0:1]
	v_mov_b32_e32 v3, 0
	v_mov_b32_e32 v0, s17
	v_lshlrev_b64 v[2:3], 2, v[2:3]
	v_add_co_u32_e32 v2, vcc, s16, v2
	v_addc_co_u32_e32 v3, vcc, v0, v3, vcc
	global_load_dword v0, v[2:3], off
	s_waitcnt vmcnt(0)
	v_fmac_f32_e32 v1, s12, v0
	global_store_dword v[2:3], v1, off
.LBB355_40:
	s_endpgm
.LBB355_41:
	s_branch .LBB355_39
	.section	.rodata,"a",@progbits
	.p2align	6, 0x0
	.amdhsa_kernel _ZN9rocsparseL20bsrxmvn_17_32_kernelILj20Efli18rocsparse_bfloat16S1_fEEvT2_20rocsparse_direction_NS_24const_host_device_scalarIT0_EES2_PKS2_PKT1_SB_S8_PKT3_PKT4_S6_PT5_21rocsparse_index_base_b
		.amdhsa_group_segment_fixed_size 1600
		.amdhsa_private_segment_fixed_size 0
		.amdhsa_kernarg_size 96
		.amdhsa_user_sgpr_count 6
		.amdhsa_user_sgpr_private_segment_buffer 1
		.amdhsa_user_sgpr_dispatch_ptr 0
		.amdhsa_user_sgpr_queue_ptr 0
		.amdhsa_user_sgpr_kernarg_segment_ptr 1
		.amdhsa_user_sgpr_dispatch_id 0
		.amdhsa_user_sgpr_flat_scratch_init 0
		.amdhsa_user_sgpr_private_segment_size 0
		.amdhsa_uses_dynamic_stack 0
		.amdhsa_system_sgpr_private_segment_wavefront_offset 0
		.amdhsa_system_sgpr_workgroup_id_x 1
		.amdhsa_system_sgpr_workgroup_id_y 0
		.amdhsa_system_sgpr_workgroup_id_z 0
		.amdhsa_system_sgpr_workgroup_info 0
		.amdhsa_system_vgpr_workitem_id 0
		.amdhsa_next_free_vgpr 13
		.amdhsa_next_free_sgpr 26
		.amdhsa_reserve_vcc 1
		.amdhsa_reserve_flat_scratch 0
		.amdhsa_float_round_mode_32 0
		.amdhsa_float_round_mode_16_64 0
		.amdhsa_float_denorm_mode_32 3
		.amdhsa_float_denorm_mode_16_64 3
		.amdhsa_dx10_clamp 1
		.amdhsa_ieee_mode 1
		.amdhsa_fp16_overflow 0
		.amdhsa_exception_fp_ieee_invalid_op 0
		.amdhsa_exception_fp_denorm_src 0
		.amdhsa_exception_fp_ieee_div_zero 0
		.amdhsa_exception_fp_ieee_overflow 0
		.amdhsa_exception_fp_ieee_underflow 0
		.amdhsa_exception_fp_ieee_inexact 0
		.amdhsa_exception_int_div_zero 0
	.end_amdhsa_kernel
	.section	.text._ZN9rocsparseL20bsrxmvn_17_32_kernelILj20Efli18rocsparse_bfloat16S1_fEEvT2_20rocsparse_direction_NS_24const_host_device_scalarIT0_EES2_PKS2_PKT1_SB_S8_PKT3_PKT4_S6_PT5_21rocsparse_index_base_b,"axG",@progbits,_ZN9rocsparseL20bsrxmvn_17_32_kernelILj20Efli18rocsparse_bfloat16S1_fEEvT2_20rocsparse_direction_NS_24const_host_device_scalarIT0_EES2_PKS2_PKT1_SB_S8_PKT3_PKT4_S6_PT5_21rocsparse_index_base_b,comdat
.Lfunc_end355:
	.size	_ZN9rocsparseL20bsrxmvn_17_32_kernelILj20Efli18rocsparse_bfloat16S1_fEEvT2_20rocsparse_direction_NS_24const_host_device_scalarIT0_EES2_PKS2_PKT1_SB_S8_PKT3_PKT4_S6_PT5_21rocsparse_index_base_b, .Lfunc_end355-_ZN9rocsparseL20bsrxmvn_17_32_kernelILj20Efli18rocsparse_bfloat16S1_fEEvT2_20rocsparse_direction_NS_24const_host_device_scalarIT0_EES2_PKS2_PKT1_SB_S8_PKT3_PKT4_S6_PT5_21rocsparse_index_base_b
                                        ; -- End function
	.set _ZN9rocsparseL20bsrxmvn_17_32_kernelILj20Efli18rocsparse_bfloat16S1_fEEvT2_20rocsparse_direction_NS_24const_host_device_scalarIT0_EES2_PKS2_PKT1_SB_S8_PKT3_PKT4_S6_PT5_21rocsparse_index_base_b.num_vgpr, 13
	.set _ZN9rocsparseL20bsrxmvn_17_32_kernelILj20Efli18rocsparse_bfloat16S1_fEEvT2_20rocsparse_direction_NS_24const_host_device_scalarIT0_EES2_PKS2_PKT1_SB_S8_PKT3_PKT4_S6_PT5_21rocsparse_index_base_b.num_agpr, 0
	.set _ZN9rocsparseL20bsrxmvn_17_32_kernelILj20Efli18rocsparse_bfloat16S1_fEEvT2_20rocsparse_direction_NS_24const_host_device_scalarIT0_EES2_PKS2_PKT1_SB_S8_PKT3_PKT4_S6_PT5_21rocsparse_index_base_b.numbered_sgpr, 26
	.set _ZN9rocsparseL20bsrxmvn_17_32_kernelILj20Efli18rocsparse_bfloat16S1_fEEvT2_20rocsparse_direction_NS_24const_host_device_scalarIT0_EES2_PKS2_PKT1_SB_S8_PKT3_PKT4_S6_PT5_21rocsparse_index_base_b.num_named_barrier, 0
	.set _ZN9rocsparseL20bsrxmvn_17_32_kernelILj20Efli18rocsparse_bfloat16S1_fEEvT2_20rocsparse_direction_NS_24const_host_device_scalarIT0_EES2_PKS2_PKT1_SB_S8_PKT3_PKT4_S6_PT5_21rocsparse_index_base_b.private_seg_size, 0
	.set _ZN9rocsparseL20bsrxmvn_17_32_kernelILj20Efli18rocsparse_bfloat16S1_fEEvT2_20rocsparse_direction_NS_24const_host_device_scalarIT0_EES2_PKS2_PKT1_SB_S8_PKT3_PKT4_S6_PT5_21rocsparse_index_base_b.uses_vcc, 1
	.set _ZN9rocsparseL20bsrxmvn_17_32_kernelILj20Efli18rocsparse_bfloat16S1_fEEvT2_20rocsparse_direction_NS_24const_host_device_scalarIT0_EES2_PKS2_PKT1_SB_S8_PKT3_PKT4_S6_PT5_21rocsparse_index_base_b.uses_flat_scratch, 0
	.set _ZN9rocsparseL20bsrxmvn_17_32_kernelILj20Efli18rocsparse_bfloat16S1_fEEvT2_20rocsparse_direction_NS_24const_host_device_scalarIT0_EES2_PKS2_PKT1_SB_S8_PKT3_PKT4_S6_PT5_21rocsparse_index_base_b.has_dyn_sized_stack, 0
	.set _ZN9rocsparseL20bsrxmvn_17_32_kernelILj20Efli18rocsparse_bfloat16S1_fEEvT2_20rocsparse_direction_NS_24const_host_device_scalarIT0_EES2_PKS2_PKT1_SB_S8_PKT3_PKT4_S6_PT5_21rocsparse_index_base_b.has_recursion, 0
	.set _ZN9rocsparseL20bsrxmvn_17_32_kernelILj20Efli18rocsparse_bfloat16S1_fEEvT2_20rocsparse_direction_NS_24const_host_device_scalarIT0_EES2_PKS2_PKT1_SB_S8_PKT3_PKT4_S6_PT5_21rocsparse_index_base_b.has_indirect_call, 0
	.section	.AMDGPU.csdata,"",@progbits
; Kernel info:
; codeLenInByte = 1320
; TotalNumSgprs: 30
; NumVgprs: 13
; ScratchSize: 0
; MemoryBound: 0
; FloatMode: 240
; IeeeMode: 1
; LDSByteSize: 1600 bytes/workgroup (compile time only)
; SGPRBlocks: 3
; VGPRBlocks: 3
; NumSGPRsForWavesPerEU: 30
; NumVGPRsForWavesPerEU: 13
; Occupancy: 10
; WaveLimiterHint : 1
; COMPUTE_PGM_RSRC2:SCRATCH_EN: 0
; COMPUTE_PGM_RSRC2:USER_SGPR: 6
; COMPUTE_PGM_RSRC2:TRAP_HANDLER: 0
; COMPUTE_PGM_RSRC2:TGID_X_EN: 1
; COMPUTE_PGM_RSRC2:TGID_Y_EN: 0
; COMPUTE_PGM_RSRC2:TGID_Z_EN: 0
; COMPUTE_PGM_RSRC2:TIDIG_COMP_CNT: 0
	.section	.text._ZN9rocsparseL20bsrxmvn_17_32_kernelILj21Efli18rocsparse_bfloat16S1_fEEvT2_20rocsparse_direction_NS_24const_host_device_scalarIT0_EES2_PKS2_PKT1_SB_S8_PKT3_PKT4_S6_PT5_21rocsparse_index_base_b,"axG",@progbits,_ZN9rocsparseL20bsrxmvn_17_32_kernelILj21Efli18rocsparse_bfloat16S1_fEEvT2_20rocsparse_direction_NS_24const_host_device_scalarIT0_EES2_PKS2_PKT1_SB_S8_PKT3_PKT4_S6_PT5_21rocsparse_index_base_b,comdat
	.globl	_ZN9rocsparseL20bsrxmvn_17_32_kernelILj21Efli18rocsparse_bfloat16S1_fEEvT2_20rocsparse_direction_NS_24const_host_device_scalarIT0_EES2_PKS2_PKT1_SB_S8_PKT3_PKT4_S6_PT5_21rocsparse_index_base_b ; -- Begin function _ZN9rocsparseL20bsrxmvn_17_32_kernelILj21Efli18rocsparse_bfloat16S1_fEEvT2_20rocsparse_direction_NS_24const_host_device_scalarIT0_EES2_PKS2_PKT1_SB_S8_PKT3_PKT4_S6_PT5_21rocsparse_index_base_b
	.p2align	8
	.type	_ZN9rocsparseL20bsrxmvn_17_32_kernelILj21Efli18rocsparse_bfloat16S1_fEEvT2_20rocsparse_direction_NS_24const_host_device_scalarIT0_EES2_PKS2_PKT1_SB_S8_PKT3_PKT4_S6_PT5_21rocsparse_index_base_b,@function
_ZN9rocsparseL20bsrxmvn_17_32_kernelILj21Efli18rocsparse_bfloat16S1_fEEvT2_20rocsparse_direction_NS_24const_host_device_scalarIT0_EES2_PKS2_PKT1_SB_S8_PKT3_PKT4_S6_PT5_21rocsparse_index_base_b: ; @_ZN9rocsparseL20bsrxmvn_17_32_kernelILj21Efli18rocsparse_bfloat16S1_fEEvT2_20rocsparse_direction_NS_24const_host_device_scalarIT0_EES2_PKS2_PKT1_SB_S8_PKT3_PKT4_S6_PT5_21rocsparse_index_base_b
; %bb.0:
	s_load_dwordx2 s[18:19], s[4:5], 0x58
	s_load_dwordx2 s[14:15], s[4:5], 0x8
	;; [unrolled: 1-line block ×3, first 2 shown]
	s_waitcnt lgkmcnt(0)
	s_bitcmp1_b32 s19, 0
	s_cselect_b64 s[2:3], -1, 0
	s_xor_b64 s[0:1], s[2:3], -1
	s_and_b64 vcc, exec, s[2:3]
	s_cbranch_vccnz .LBB356_2
; %bb.1:
	s_load_dword s14, s[14:15], 0x0
.LBB356_2:
	s_andn2_b64 vcc, exec, s[0:1]
	s_cbranch_vccnz .LBB356_4
; %bb.3:
	s_load_dword s12, s[12:13], 0x0
.LBB356_4:
	s_waitcnt lgkmcnt(0)
	v_cmp_neq_f32_e64 s[0:1], s14, 0
	v_cmp_neq_f32_e64 s[2:3], s12, 1.0
	s_or_b64 s[0:1], s[0:1], s[2:3]
	s_andn2_b64 vcc, exec, s[0:1]
	s_cbranch_vccnz .LBB356_40
; %bb.5:
	s_load_dwordx4 s[0:3], s[4:5], 0x18
	s_load_dwordx2 s[8:9], s[4:5], 0x28
	s_waitcnt lgkmcnt(0)
	s_cmp_eq_u64 s[0:1], 0
	s_cbranch_scc1 .LBB356_7
; %bb.6:
	s_ashr_i32 s7, s6, 31
	s_lshl_b64 s[6:7], s[6:7], 2
	s_add_u32 s0, s0, s6
	s_addc_u32 s1, s1, s7
	s_load_dword s0, s[0:1], 0x0
	s_waitcnt lgkmcnt(0)
	s_sub_i32 s6, s0, s18
.LBB356_7:
	s_load_dword s7, s[4:5], 0x4
	s_load_dwordx2 s[16:17], s[4:5], 0x50
	v_mul_u32_u24_e32 v1, 0xc31, v0
	v_mov_b32_e32 v2, 21
	v_mul_lo_u16_sdwa v2, v1, v2 dst_sel:DWORD dst_unused:UNUSED_PAD src0_sel:WORD_1 src1_sel:DWORD
	s_waitcnt lgkmcnt(0)
	s_cmp_eq_u32 s7, 1
	s_cselect_b64 s[0:1], -1, 0
	s_cmp_lg_u32 s7, 1
	s_cselect_b64 s[20:21], -1, 0
	s_ashr_i32 s7, s6, 31
	s_lshl_b64 s[10:11], s[6:7], 3
	s_add_u32 s2, s2, s10
	s_addc_u32 s3, s3, s11
	s_add_u32 s7, s2, 8
	s_addc_u32 s13, s3, 0
	;; [unrolled: 2-line block ×3, first 2 shown]
	s_cmp_eq_u64 s[8:9], 0
	s_cselect_b32 s9, s13, s11
	s_cselect_b32 s8, s7, s10
	s_load_dwordx2 s[22:23], s[8:9], 0x0
	s_load_dwordx2 s[24:25], s[2:3], 0x0
	v_sub_u16_e32 v7, v0, v2
	v_mov_b32_e32 v6, 0
	s_waitcnt lgkmcnt(0)
	v_mov_b32_e32 v2, s22
	v_mov_b32_e32 v3, s23
	v_cmp_ge_i64_e32 vcc, s[24:25], v[2:3]
	s_cbranch_vccnz .LBB356_12
; %bb.8:
	v_mov_b32_e32 v2, 25
	v_mul_lo_u16_sdwa v2, v1, v2 dst_sel:DWORD dst_unused:UNUSED_PAD src0_sel:WORD_1 src1_sel:DWORD
	s_load_dwordx4 s[8:11], s[4:5], 0x30
	s_load_dwordx2 s[2:3], s[4:5], 0x40
	s_sub_u32 s4, s22, s18
	v_lshrrev_b16_e32 v2, 9, v2
	s_subb_u32 s5, s23, 0
	v_mul_lo_u16_e32 v2, 21, v2
	v_sub_u16_sdwa v1, v1, v2 dst_sel:DWORD dst_unused:UNUSED_PAD src0_sel:WORD_1 src1_sel:DWORD
	s_sub_u32 s22, s24, s18
	v_and_b32_e32 v1, 0xff, v1
	s_subb_u32 s23, s25, 0
	v_cndmask_b32_e64 v1, v7, v1, s[0:1]
	s_mul_i32 s0, s23, 0x372
	s_mul_hi_u32 s1, s22, 0x372
	s_add_i32 s1, s1, s0
	s_mul_i32 s0, s22, 0x372
	s_waitcnt lgkmcnt(0)
	s_add_u32 s0, s10, s0
	v_lshlrev_b32_e32 v2, 1, v0
	s_addc_u32 s1, s11, s1
	v_add_co_u32_e32 v2, vcc, s0, v2
	s_movk_i32 s0, 0x253
	v_mov_b32_e32 v3, s1
	v_mul_u32_u24_sdwa v4, v0, s0 dst_sel:DWORD dst_unused:UNUSED_PAD src0_sel:WORD_0 src1_sel:DWORD
	v_addc_co_u32_e32 v3, vcc, 0, v3, vcc
	v_lshrrev_b32_e32 v8, 18, v4
	v_mov_b32_e32 v4, s25
	v_add_co_u32_e32 v5, vcc, s24, v8
	v_addc_co_u32_e32 v9, vcc, 0, v4, vcc
	v_subrev_co_u32_e32 v4, vcc, s18, v5
	v_subbrev_co_u32_e32 v5, vcc, 0, v9, vcc
	v_lshlrev_b64 v[4:5], 2, v[4:5]
	v_mov_b32_e32 v9, s9
	v_add_co_u32_e32 v4, vcc, s8, v4
	v_mov_b32_e32 v6, 0
	v_addc_co_u32_e32 v5, vcc, v9, v5, vcc
	s_branch .LBB356_10
.LBB356_9:                              ;   in Loop: Header=BB356_10 Depth=1
	s_or_b64 exec, exec, s[0:1]
	s_add_u32 s22, s22, 1
	v_mov_b32_e32 v10, s5
	s_addc_u32 s23, s23, 0
	v_mov_b32_e32 v9, s4
	v_cmp_lt_i64_e32 vcc, s[22:23], v[9:10]
	v_add_co_u32_e64 v4, s[0:1], 4, v4
	v_addc_co_u32_e64 v5, s[0:1], 0, v5, s[0:1]
	s_cbranch_vccz .LBB356_12
.LBB356_10:                             ; =>This Inner Loop Header: Depth=1
	v_mov_b32_e32 v10, s23
	v_add_co_u32_e32 v9, vcc, s22, v8
	v_addc_co_u32_e32 v10, vcc, 0, v10, vcc
	v_cmp_gt_i64_e32 vcc, s[4:5], v[9:10]
	s_and_saveexec_b64 s[0:1], vcc
	s_cbranch_execz .LBB356_9
; %bb.11:                               ;   in Loop: Header=BB356_10 Depth=1
	global_load_dword v9, v[4:5], off
	v_mov_b32_e32 v12, s3
	global_load_ushort v11, v[2:3], off
	s_waitcnt vmcnt(1)
	v_subrev_u32_e32 v9, s18, v9
	v_mad_u64_u32 v[9:10], s[8:9], v9, 21, v[1:2]
	v_ashrrev_i32_e32 v10, 31, v9
	v_lshlrev_b64 v[9:10], 1, v[9:10]
	v_add_co_u32_e32 v9, vcc, s2, v9
	v_addc_co_u32_e32 v10, vcc, v12, v10, vcc
	global_load_ushort v9, v[9:10], off
	v_add_co_u32_e32 v2, vcc, 0x372, v2
	s_waitcnt vmcnt(1)
	v_lshlrev_b32_e32 v10, 16, v11
	v_addc_co_u32_e32 v3, vcc, 0, v3, vcc
	s_waitcnt vmcnt(0)
	v_lshlrev_b32_e32 v9, 16, v9
	v_fmac_f32_e32 v6, v10, v9
	s_branch .LBB356_9
.LBB356_12:
	v_lshlrev_b32_e32 v1, 2, v0
	s_and_b64 vcc, exec, s[20:21]
	ds_write_b32 v1, v6
	s_waitcnt lgkmcnt(0)
	s_barrier
	s_cbranch_vccz .LBB356_24
; %bb.13:
	v_cmp_gt_u16_e32 vcc, 5, v7
	s_and_saveexec_b64 s[0:1], vcc
	s_cbranch_execz .LBB356_15
; %bb.14:
	ds_read2_b32 v[2:3], v1 offset1:16
	s_waitcnt lgkmcnt(0)
	v_add_f32_e32 v2, v3, v2
	ds_write_b32 v1, v2
.LBB356_15:
	s_or_b64 exec, exec, s[0:1]
	v_cmp_gt_u16_e32 vcc, 8, v7
	s_waitcnt lgkmcnt(0)
	s_barrier
	s_and_saveexec_b64 s[0:1], vcc
	s_cbranch_execz .LBB356_17
; %bb.16:
	ds_read2_b32 v[2:3], v1 offset1:8
	s_waitcnt lgkmcnt(0)
	v_add_f32_e32 v2, v3, v2
	ds_write_b32 v1, v2
.LBB356_17:
	s_or_b64 exec, exec, s[0:1]
	v_cmp_gt_u16_e32 vcc, 4, v7
	s_waitcnt lgkmcnt(0)
	s_barrier
	;; [unrolled: 12-line block ×3, first 2 shown]
	s_and_saveexec_b64 s[0:1], vcc
	s_cbranch_execz .LBB356_21
; %bb.20:
	ds_read2_b32 v[2:3], v1 offset1:2
	s_waitcnt lgkmcnt(0)
	v_add_f32_e32 v2, v3, v2
	ds_write_b32 v1, v2
.LBB356_21:
	s_or_b64 exec, exec, s[0:1]
	v_cmp_gt_u32_e32 vcc, 21, v0
	v_mov_b32_e32 v2, v6
	s_waitcnt lgkmcnt(0)
	s_barrier
	s_and_saveexec_b64 s[0:1], vcc
	s_cbranch_execz .LBB356_23
; %bb.22:
	s_movk_i32 s2, 0x50
	v_mad_u32_u24 v2, v0, s2, v1
	ds_read2_b32 v[2:3], v2 offset1:1
	s_waitcnt lgkmcnt(0)
	v_add_f32_e32 v2, v2, v3
.LBB356_23:
	s_or_b64 exec, exec, s[0:1]
	s_branch .LBB356_36
.LBB356_24:
                                        ; implicit-def: $vgpr2
	s_cbranch_execz .LBB356_36
; %bb.25:
	s_movk_i32 s0, 0x69
	v_cmp_gt_u32_e32 vcc, s0, v0
	s_and_saveexec_b64 s[0:1], vcc
	s_cbranch_execz .LBB356_27
; %bb.26:
	ds_read_b32 v2, v1 offset:1344
	ds_read_b32 v3, v1
	s_waitcnt lgkmcnt(0)
	v_add_f32_e32 v2, v2, v3
	ds_write_b32 v1, v2
.LBB356_27:
	s_or_b64 exec, exec, s[0:1]
	s_movk_i32 s0, 0xa8
	v_cmp_gt_u32_e32 vcc, s0, v0
	s_waitcnt lgkmcnt(0)
	s_barrier
	s_and_saveexec_b64 s[0:1], vcc
	s_cbranch_execz .LBB356_29
; %bb.28:
	ds_read2_b32 v[2:3], v1 offset1:168
	s_waitcnt lgkmcnt(0)
	v_add_f32_e32 v2, v3, v2
	ds_write_b32 v1, v2
.LBB356_29:
	s_or_b64 exec, exec, s[0:1]
	s_movk_i32 s0, 0x54
	v_cmp_gt_u32_e32 vcc, s0, v0
	s_waitcnt lgkmcnt(0)
	s_barrier
	s_and_saveexec_b64 s[0:1], vcc
	s_cbranch_execz .LBB356_31
; %bb.30:
	ds_read2_b32 v[2:3], v1 offset1:84
	s_waitcnt lgkmcnt(0)
	v_add_f32_e32 v2, v3, v2
	ds_write_b32 v1, v2
.LBB356_31:
	s_or_b64 exec, exec, s[0:1]
	v_cmp_gt_u32_e32 vcc, 42, v0
	s_waitcnt lgkmcnt(0)
	s_barrier
	s_and_saveexec_b64 s[0:1], vcc
	s_cbranch_execz .LBB356_33
; %bb.32:
	ds_read2_b32 v[2:3], v1 offset1:42
	s_waitcnt lgkmcnt(0)
	v_add_f32_e32 v2, v3, v2
	ds_write_b32 v1, v2
.LBB356_33:
	s_or_b64 exec, exec, s[0:1]
	v_cmp_gt_u32_e32 vcc, 21, v0
	s_waitcnt lgkmcnt(0)
	s_and_saveexec_b64 s[0:1], vcc
	s_cbranch_execz .LBB356_35
; %bb.34:
	ds_read2_b32 v[1:2], v1 offset1:21
	s_waitcnt lgkmcnt(0)
	v_add_f32_e32 v6, v1, v2
.LBB356_35:
	s_or_b64 exec, exec, s[0:1]
	v_mov_b32_e32 v2, v6
.LBB356_36:
	v_cmp_gt_u32_e32 vcc, 21, v0
	s_and_saveexec_b64 s[0:1], vcc
	s_cbranch_execz .LBB356_40
; %bb.37:
	v_cmp_eq_f32_e64 s[0:1], s12, 0
	s_and_b64 vcc, exec, s[0:1]
	v_mul_f32_e32 v1, s14, v2
	s_cbranch_vccz .LBB356_41
; %bb.38:
	v_mad_u64_u32 v[2:3], s[0:1], s6, 21, v[0:1]
	v_mov_b32_e32 v3, 0
	v_mov_b32_e32 v4, s17
	v_lshlrev_b64 v[2:3], 2, v[2:3]
	v_add_co_u32_e32 v2, vcc, s16, v2
	v_addc_co_u32_e32 v3, vcc, v4, v3, vcc
	global_store_dword v[2:3], v1, off
	s_cbranch_execnz .LBB356_40
.LBB356_39:
	v_mad_u64_u32 v[2:3], s[0:1], s6, 21, v[0:1]
	v_mov_b32_e32 v3, 0
	v_mov_b32_e32 v0, s17
	v_lshlrev_b64 v[2:3], 2, v[2:3]
	v_add_co_u32_e32 v2, vcc, s16, v2
	v_addc_co_u32_e32 v3, vcc, v0, v3, vcc
	global_load_dword v0, v[2:3], off
	s_waitcnt vmcnt(0)
	v_fmac_f32_e32 v1, s12, v0
	global_store_dword v[2:3], v1, off
.LBB356_40:
	s_endpgm
.LBB356_41:
	s_branch .LBB356_39
	.section	.rodata,"a",@progbits
	.p2align	6, 0x0
	.amdhsa_kernel _ZN9rocsparseL20bsrxmvn_17_32_kernelILj21Efli18rocsparse_bfloat16S1_fEEvT2_20rocsparse_direction_NS_24const_host_device_scalarIT0_EES2_PKS2_PKT1_SB_S8_PKT3_PKT4_S6_PT5_21rocsparse_index_base_b
		.amdhsa_group_segment_fixed_size 1764
		.amdhsa_private_segment_fixed_size 0
		.amdhsa_kernarg_size 96
		.amdhsa_user_sgpr_count 6
		.amdhsa_user_sgpr_private_segment_buffer 1
		.amdhsa_user_sgpr_dispatch_ptr 0
		.amdhsa_user_sgpr_queue_ptr 0
		.amdhsa_user_sgpr_kernarg_segment_ptr 1
		.amdhsa_user_sgpr_dispatch_id 0
		.amdhsa_user_sgpr_flat_scratch_init 0
		.amdhsa_user_sgpr_private_segment_size 0
		.amdhsa_uses_dynamic_stack 0
		.amdhsa_system_sgpr_private_segment_wavefront_offset 0
		.amdhsa_system_sgpr_workgroup_id_x 1
		.amdhsa_system_sgpr_workgroup_id_y 0
		.amdhsa_system_sgpr_workgroup_id_z 0
		.amdhsa_system_sgpr_workgroup_info 0
		.amdhsa_system_vgpr_workitem_id 0
		.amdhsa_next_free_vgpr 13
		.amdhsa_next_free_sgpr 26
		.amdhsa_reserve_vcc 1
		.amdhsa_reserve_flat_scratch 0
		.amdhsa_float_round_mode_32 0
		.amdhsa_float_round_mode_16_64 0
		.amdhsa_float_denorm_mode_32 3
		.amdhsa_float_denorm_mode_16_64 3
		.amdhsa_dx10_clamp 1
		.amdhsa_ieee_mode 1
		.amdhsa_fp16_overflow 0
		.amdhsa_exception_fp_ieee_invalid_op 0
		.amdhsa_exception_fp_denorm_src 0
		.amdhsa_exception_fp_ieee_div_zero 0
		.amdhsa_exception_fp_ieee_overflow 0
		.amdhsa_exception_fp_ieee_underflow 0
		.amdhsa_exception_fp_ieee_inexact 0
		.amdhsa_exception_int_div_zero 0
	.end_amdhsa_kernel
	.section	.text._ZN9rocsparseL20bsrxmvn_17_32_kernelILj21Efli18rocsparse_bfloat16S1_fEEvT2_20rocsparse_direction_NS_24const_host_device_scalarIT0_EES2_PKS2_PKT1_SB_S8_PKT3_PKT4_S6_PT5_21rocsparse_index_base_b,"axG",@progbits,_ZN9rocsparseL20bsrxmvn_17_32_kernelILj21Efli18rocsparse_bfloat16S1_fEEvT2_20rocsparse_direction_NS_24const_host_device_scalarIT0_EES2_PKS2_PKT1_SB_S8_PKT3_PKT4_S6_PT5_21rocsparse_index_base_b,comdat
.Lfunc_end356:
	.size	_ZN9rocsparseL20bsrxmvn_17_32_kernelILj21Efli18rocsparse_bfloat16S1_fEEvT2_20rocsparse_direction_NS_24const_host_device_scalarIT0_EES2_PKS2_PKT1_SB_S8_PKT3_PKT4_S6_PT5_21rocsparse_index_base_b, .Lfunc_end356-_ZN9rocsparseL20bsrxmvn_17_32_kernelILj21Efli18rocsparse_bfloat16S1_fEEvT2_20rocsparse_direction_NS_24const_host_device_scalarIT0_EES2_PKS2_PKT1_SB_S8_PKT3_PKT4_S6_PT5_21rocsparse_index_base_b
                                        ; -- End function
	.set _ZN9rocsparseL20bsrxmvn_17_32_kernelILj21Efli18rocsparse_bfloat16S1_fEEvT2_20rocsparse_direction_NS_24const_host_device_scalarIT0_EES2_PKS2_PKT1_SB_S8_PKT3_PKT4_S6_PT5_21rocsparse_index_base_b.num_vgpr, 13
	.set _ZN9rocsparseL20bsrxmvn_17_32_kernelILj21Efli18rocsparse_bfloat16S1_fEEvT2_20rocsparse_direction_NS_24const_host_device_scalarIT0_EES2_PKS2_PKT1_SB_S8_PKT3_PKT4_S6_PT5_21rocsparse_index_base_b.num_agpr, 0
	.set _ZN9rocsparseL20bsrxmvn_17_32_kernelILj21Efli18rocsparse_bfloat16S1_fEEvT2_20rocsparse_direction_NS_24const_host_device_scalarIT0_EES2_PKS2_PKT1_SB_S8_PKT3_PKT4_S6_PT5_21rocsparse_index_base_b.numbered_sgpr, 26
	.set _ZN9rocsparseL20bsrxmvn_17_32_kernelILj21Efli18rocsparse_bfloat16S1_fEEvT2_20rocsparse_direction_NS_24const_host_device_scalarIT0_EES2_PKS2_PKT1_SB_S8_PKT3_PKT4_S6_PT5_21rocsparse_index_base_b.num_named_barrier, 0
	.set _ZN9rocsparseL20bsrxmvn_17_32_kernelILj21Efli18rocsparse_bfloat16S1_fEEvT2_20rocsparse_direction_NS_24const_host_device_scalarIT0_EES2_PKS2_PKT1_SB_S8_PKT3_PKT4_S6_PT5_21rocsparse_index_base_b.private_seg_size, 0
	.set _ZN9rocsparseL20bsrxmvn_17_32_kernelILj21Efli18rocsparse_bfloat16S1_fEEvT2_20rocsparse_direction_NS_24const_host_device_scalarIT0_EES2_PKS2_PKT1_SB_S8_PKT3_PKT4_S6_PT5_21rocsparse_index_base_b.uses_vcc, 1
	.set _ZN9rocsparseL20bsrxmvn_17_32_kernelILj21Efli18rocsparse_bfloat16S1_fEEvT2_20rocsparse_direction_NS_24const_host_device_scalarIT0_EES2_PKS2_PKT1_SB_S8_PKT3_PKT4_S6_PT5_21rocsparse_index_base_b.uses_flat_scratch, 0
	.set _ZN9rocsparseL20bsrxmvn_17_32_kernelILj21Efli18rocsparse_bfloat16S1_fEEvT2_20rocsparse_direction_NS_24const_host_device_scalarIT0_EES2_PKS2_PKT1_SB_S8_PKT3_PKT4_S6_PT5_21rocsparse_index_base_b.has_dyn_sized_stack, 0
	.set _ZN9rocsparseL20bsrxmvn_17_32_kernelILj21Efli18rocsparse_bfloat16S1_fEEvT2_20rocsparse_direction_NS_24const_host_device_scalarIT0_EES2_PKS2_PKT1_SB_S8_PKT3_PKT4_S6_PT5_21rocsparse_index_base_b.has_recursion, 0
	.set _ZN9rocsparseL20bsrxmvn_17_32_kernelILj21Efli18rocsparse_bfloat16S1_fEEvT2_20rocsparse_direction_NS_24const_host_device_scalarIT0_EES2_PKS2_PKT1_SB_S8_PKT3_PKT4_S6_PT5_21rocsparse_index_base_b.has_indirect_call, 0
	.section	.AMDGPU.csdata,"",@progbits
; Kernel info:
; codeLenInByte = 1332
; TotalNumSgprs: 30
; NumVgprs: 13
; ScratchSize: 0
; MemoryBound: 0
; FloatMode: 240
; IeeeMode: 1
; LDSByteSize: 1764 bytes/workgroup (compile time only)
; SGPRBlocks: 3
; VGPRBlocks: 3
; NumSGPRsForWavesPerEU: 30
; NumVGPRsForWavesPerEU: 13
; Occupancy: 10
; WaveLimiterHint : 1
; COMPUTE_PGM_RSRC2:SCRATCH_EN: 0
; COMPUTE_PGM_RSRC2:USER_SGPR: 6
; COMPUTE_PGM_RSRC2:TRAP_HANDLER: 0
; COMPUTE_PGM_RSRC2:TGID_X_EN: 1
; COMPUTE_PGM_RSRC2:TGID_Y_EN: 0
; COMPUTE_PGM_RSRC2:TGID_Z_EN: 0
; COMPUTE_PGM_RSRC2:TIDIG_COMP_CNT: 0
	.section	.text._ZN9rocsparseL20bsrxmvn_17_32_kernelILj22Efli18rocsparse_bfloat16S1_fEEvT2_20rocsparse_direction_NS_24const_host_device_scalarIT0_EES2_PKS2_PKT1_SB_S8_PKT3_PKT4_S6_PT5_21rocsparse_index_base_b,"axG",@progbits,_ZN9rocsparseL20bsrxmvn_17_32_kernelILj22Efli18rocsparse_bfloat16S1_fEEvT2_20rocsparse_direction_NS_24const_host_device_scalarIT0_EES2_PKS2_PKT1_SB_S8_PKT3_PKT4_S6_PT5_21rocsparse_index_base_b,comdat
	.globl	_ZN9rocsparseL20bsrxmvn_17_32_kernelILj22Efli18rocsparse_bfloat16S1_fEEvT2_20rocsparse_direction_NS_24const_host_device_scalarIT0_EES2_PKS2_PKT1_SB_S8_PKT3_PKT4_S6_PT5_21rocsparse_index_base_b ; -- Begin function _ZN9rocsparseL20bsrxmvn_17_32_kernelILj22Efli18rocsparse_bfloat16S1_fEEvT2_20rocsparse_direction_NS_24const_host_device_scalarIT0_EES2_PKS2_PKT1_SB_S8_PKT3_PKT4_S6_PT5_21rocsparse_index_base_b
	.p2align	8
	.type	_ZN9rocsparseL20bsrxmvn_17_32_kernelILj22Efli18rocsparse_bfloat16S1_fEEvT2_20rocsparse_direction_NS_24const_host_device_scalarIT0_EES2_PKS2_PKT1_SB_S8_PKT3_PKT4_S6_PT5_21rocsparse_index_base_b,@function
_ZN9rocsparseL20bsrxmvn_17_32_kernelILj22Efli18rocsparse_bfloat16S1_fEEvT2_20rocsparse_direction_NS_24const_host_device_scalarIT0_EES2_PKS2_PKT1_SB_S8_PKT3_PKT4_S6_PT5_21rocsparse_index_base_b: ; @_ZN9rocsparseL20bsrxmvn_17_32_kernelILj22Efli18rocsparse_bfloat16S1_fEEvT2_20rocsparse_direction_NS_24const_host_device_scalarIT0_EES2_PKS2_PKT1_SB_S8_PKT3_PKT4_S6_PT5_21rocsparse_index_base_b
; %bb.0:
	s_load_dwordx2 s[18:19], s[4:5], 0x58
	s_load_dwordx2 s[14:15], s[4:5], 0x8
	;; [unrolled: 1-line block ×3, first 2 shown]
	s_waitcnt lgkmcnt(0)
	s_bitcmp1_b32 s19, 0
	s_cselect_b64 s[2:3], -1, 0
	s_xor_b64 s[0:1], s[2:3], -1
	s_and_b64 vcc, exec, s[2:3]
	s_cbranch_vccnz .LBB357_2
; %bb.1:
	s_load_dword s14, s[14:15], 0x0
.LBB357_2:
	s_andn2_b64 vcc, exec, s[0:1]
	s_cbranch_vccnz .LBB357_4
; %bb.3:
	s_load_dword s12, s[12:13], 0x0
.LBB357_4:
	s_waitcnt lgkmcnt(0)
	v_cmp_neq_f32_e64 s[0:1], s14, 0
	v_cmp_neq_f32_e64 s[2:3], s12, 1.0
	s_or_b64 s[0:1], s[0:1], s[2:3]
	s_andn2_b64 vcc, exec, s[0:1]
	s_cbranch_vccnz .LBB357_40
; %bb.5:
	s_load_dwordx4 s[0:3], s[4:5], 0x18
	s_load_dwordx2 s[8:9], s[4:5], 0x28
	s_waitcnt lgkmcnt(0)
	s_cmp_eq_u64 s[0:1], 0
	s_cbranch_scc1 .LBB357_7
; %bb.6:
	s_ashr_i32 s7, s6, 31
	s_lshl_b64 s[6:7], s[6:7], 2
	s_add_u32 s0, s0, s6
	s_addc_u32 s1, s1, s7
	s_load_dword s0, s[0:1], 0x0
	s_waitcnt lgkmcnt(0)
	s_sub_i32 s6, s0, s18
.LBB357_7:
	s_load_dword s7, s[4:5], 0x4
	s_load_dwordx2 s[16:17], s[4:5], 0x50
	v_mul_u32_u24_e32 v1, 0xba3, v0
	v_mov_b32_e32 v2, 22
	v_mul_lo_u16_sdwa v3, v1, v2 dst_sel:DWORD dst_unused:UNUSED_PAD src0_sel:WORD_1 src1_sel:DWORD
	s_waitcnt lgkmcnt(0)
	s_cmp_eq_u32 s7, 1
	s_cselect_b64 s[0:1], -1, 0
	s_cmp_lg_u32 s7, 1
	s_cselect_b64 s[20:21], -1, 0
	s_ashr_i32 s7, s6, 31
	s_lshl_b64 s[10:11], s[6:7], 3
	s_add_u32 s2, s2, s10
	s_addc_u32 s3, s3, s11
	s_add_u32 s7, s2, 8
	s_addc_u32 s13, s3, 0
	;; [unrolled: 2-line block ×3, first 2 shown]
	s_cmp_eq_u64 s[8:9], 0
	s_cselect_b32 s9, s13, s11
	s_cselect_b32 s8, s7, s10
	s_load_dwordx2 s[22:23], s[8:9], 0x0
	s_load_dwordx2 s[24:25], s[2:3], 0x0
	v_sub_u16_e32 v7, v0, v3
	v_mov_b32_e32 v6, 0
	s_waitcnt lgkmcnt(0)
	v_mov_b32_e32 v3, s22
	v_mov_b32_e32 v4, s23
	v_cmp_ge_i64_e32 vcc, s[24:25], v[3:4]
	s_cbranch_vccnz .LBB357_12
; %bb.8:
	v_mov_b32_e32 v3, 12
	s_load_dwordx4 s[8:11], s[4:5], 0x30
	s_load_dwordx2 s[2:3], s[4:5], 0x40
	s_sub_u32 s4, s22, s18
	v_mul_lo_u16_sdwa v3, v1, v3 dst_sel:DWORD dst_unused:UNUSED_PAD src0_sel:WORD_1 src1_sel:DWORD
	s_subb_u32 s5, s23, 0
	v_mul_lo_u16_sdwa v2, v3, v2 dst_sel:DWORD dst_unused:UNUSED_PAD src0_sel:BYTE_1 src1_sel:DWORD
	v_sub_u16_sdwa v1, v1, v2 dst_sel:DWORD dst_unused:UNUSED_PAD src0_sel:WORD_1 src1_sel:DWORD
	s_sub_u32 s22, s24, s18
	v_and_b32_e32 v1, 0xff, v1
	s_subb_u32 s23, s25, 0
	v_cndmask_b32_e64 v1, v7, v1, s[0:1]
	s_mul_i32 s0, s23, 0x3c8
	s_mul_hi_u32 s1, s22, 0x3c8
	s_add_i32 s1, s1, s0
	s_mul_i32 s0, s22, 0x3c8
	s_waitcnt lgkmcnt(0)
	s_add_u32 s0, s10, s0
	v_lshlrev_b32_e32 v2, 1, v0
	s_addc_u32 s1, s11, s1
	v_add_co_u32_e32 v2, vcc, s0, v2
	s_movk_i32 s0, 0x10f
	v_mov_b32_e32 v3, s1
	v_mul_u32_u24_sdwa v4, v0, s0 dst_sel:DWORD dst_unused:UNUSED_PAD src0_sel:WORD_0 src1_sel:DWORD
	v_addc_co_u32_e32 v3, vcc, 0, v3, vcc
	v_lshrrev_b32_e32 v8, 17, v4
	v_mov_b32_e32 v4, s25
	v_add_co_u32_e32 v5, vcc, s24, v8
	v_addc_co_u32_e32 v9, vcc, 0, v4, vcc
	v_subrev_co_u32_e32 v4, vcc, s18, v5
	v_subbrev_co_u32_e32 v5, vcc, 0, v9, vcc
	v_lshlrev_b64 v[4:5], 2, v[4:5]
	v_mov_b32_e32 v9, s9
	v_add_co_u32_e32 v4, vcc, s8, v4
	v_mov_b32_e32 v6, 0
	v_addc_co_u32_e32 v5, vcc, v9, v5, vcc
	s_branch .LBB357_10
.LBB357_9:                              ;   in Loop: Header=BB357_10 Depth=1
	s_or_b64 exec, exec, s[0:1]
	s_add_u32 s22, s22, 1
	v_mov_b32_e32 v10, s5
	s_addc_u32 s23, s23, 0
	v_mov_b32_e32 v9, s4
	v_cmp_lt_i64_e32 vcc, s[22:23], v[9:10]
	v_add_co_u32_e64 v4, s[0:1], 4, v4
	v_addc_co_u32_e64 v5, s[0:1], 0, v5, s[0:1]
	s_cbranch_vccz .LBB357_12
.LBB357_10:                             ; =>This Inner Loop Header: Depth=1
	v_mov_b32_e32 v10, s23
	v_add_co_u32_e32 v9, vcc, s22, v8
	v_addc_co_u32_e32 v10, vcc, 0, v10, vcc
	v_cmp_gt_i64_e32 vcc, s[4:5], v[9:10]
	s_and_saveexec_b64 s[0:1], vcc
	s_cbranch_execz .LBB357_9
; %bb.11:                               ;   in Loop: Header=BB357_10 Depth=1
	global_load_dword v9, v[4:5], off
	v_mov_b32_e32 v12, s3
	global_load_ushort v11, v[2:3], off
	s_waitcnt vmcnt(1)
	v_subrev_u32_e32 v9, s18, v9
	v_mad_u64_u32 v[9:10], s[8:9], v9, 22, v[1:2]
	v_ashrrev_i32_e32 v10, 31, v9
	v_lshlrev_b64 v[9:10], 1, v[9:10]
	v_add_co_u32_e32 v9, vcc, s2, v9
	v_addc_co_u32_e32 v10, vcc, v12, v10, vcc
	global_load_ushort v9, v[9:10], off
	v_add_co_u32_e32 v2, vcc, 0x3c8, v2
	s_waitcnt vmcnt(1)
	v_lshlrev_b32_e32 v10, 16, v11
	v_addc_co_u32_e32 v3, vcc, 0, v3, vcc
	s_waitcnt vmcnt(0)
	v_lshlrev_b32_e32 v9, 16, v9
	v_fmac_f32_e32 v6, v10, v9
	s_branch .LBB357_9
.LBB357_12:
	v_lshlrev_b32_e32 v1, 2, v0
	s_and_b64 vcc, exec, s[20:21]
	ds_write_b32 v1, v6
	s_waitcnt lgkmcnt(0)
	s_barrier
	s_cbranch_vccz .LBB357_24
; %bb.13:
	v_cmp_gt_u16_e32 vcc, 6, v7
	s_and_saveexec_b64 s[0:1], vcc
	s_cbranch_execz .LBB357_15
; %bb.14:
	ds_read2_b32 v[2:3], v1 offset1:16
	s_waitcnt lgkmcnt(0)
	v_add_f32_e32 v2, v3, v2
	ds_write_b32 v1, v2
.LBB357_15:
	s_or_b64 exec, exec, s[0:1]
	v_cmp_gt_u16_e32 vcc, 8, v7
	s_waitcnt lgkmcnt(0)
	s_barrier
	s_and_saveexec_b64 s[0:1], vcc
	s_cbranch_execz .LBB357_17
; %bb.16:
	ds_read2_b32 v[2:3], v1 offset1:8
	s_waitcnt lgkmcnt(0)
	v_add_f32_e32 v2, v3, v2
	ds_write_b32 v1, v2
.LBB357_17:
	s_or_b64 exec, exec, s[0:1]
	v_cmp_gt_u16_e32 vcc, 4, v7
	s_waitcnt lgkmcnt(0)
	s_barrier
	;; [unrolled: 12-line block ×3, first 2 shown]
	s_and_saveexec_b64 s[0:1], vcc
	s_cbranch_execz .LBB357_21
; %bb.20:
	ds_read2_b32 v[2:3], v1 offset1:2
	s_waitcnt lgkmcnt(0)
	v_add_f32_e32 v2, v3, v2
	ds_write_b32 v1, v2
.LBB357_21:
	s_or_b64 exec, exec, s[0:1]
	v_cmp_gt_u32_e32 vcc, 22, v0
	v_mov_b32_e32 v2, v6
	s_waitcnt lgkmcnt(0)
	s_barrier
	s_and_saveexec_b64 s[0:1], vcc
	s_cbranch_execz .LBB357_23
; %bb.22:
	s_movk_i32 s2, 0x54
	v_mad_u32_u24 v2, v0, s2, v1
	ds_read_b64 v[2:3], v2
	s_waitcnt lgkmcnt(0)
	v_add_f32_e32 v2, v2, v3
.LBB357_23:
	s_or_b64 exec, exec, s[0:1]
	s_branch .LBB357_36
.LBB357_24:
                                        ; implicit-def: $vgpr2
	s_cbranch_execz .LBB357_36
; %bb.25:
	s_movk_i32 s0, 0x84
	v_cmp_gt_u32_e32 vcc, s0, v0
	s_and_saveexec_b64 s[0:1], vcc
	s_cbranch_execz .LBB357_27
; %bb.26:
	ds_read_b32 v2, v1 offset:1408
	ds_read_b32 v3, v1
	s_waitcnt lgkmcnt(0)
	v_add_f32_e32 v2, v2, v3
	ds_write_b32 v1, v2
.LBB357_27:
	s_or_b64 exec, exec, s[0:1]
	s_movk_i32 s0, 0xb0
	v_cmp_gt_u32_e32 vcc, s0, v0
	s_waitcnt lgkmcnt(0)
	s_barrier
	s_and_saveexec_b64 s[0:1], vcc
	s_cbranch_execz .LBB357_29
; %bb.28:
	ds_read2_b32 v[2:3], v1 offset1:176
	s_waitcnt lgkmcnt(0)
	v_add_f32_e32 v2, v3, v2
	ds_write_b32 v1, v2
.LBB357_29:
	s_or_b64 exec, exec, s[0:1]
	s_movk_i32 s0, 0x58
	v_cmp_gt_u32_e32 vcc, s0, v0
	s_waitcnt lgkmcnt(0)
	s_barrier
	s_and_saveexec_b64 s[0:1], vcc
	s_cbranch_execz .LBB357_31
; %bb.30:
	ds_read2_b32 v[2:3], v1 offset1:88
	s_waitcnt lgkmcnt(0)
	v_add_f32_e32 v2, v3, v2
	ds_write_b32 v1, v2
.LBB357_31:
	s_or_b64 exec, exec, s[0:1]
	v_cmp_gt_u32_e32 vcc, 44, v0
	s_waitcnt lgkmcnt(0)
	s_barrier
	s_and_saveexec_b64 s[0:1], vcc
	s_cbranch_execz .LBB357_33
; %bb.32:
	ds_read2_b32 v[2:3], v1 offset1:44
	s_waitcnt lgkmcnt(0)
	v_add_f32_e32 v2, v3, v2
	ds_write_b32 v1, v2
.LBB357_33:
	s_or_b64 exec, exec, s[0:1]
	v_cmp_gt_u32_e32 vcc, 22, v0
	s_waitcnt lgkmcnt(0)
	s_and_saveexec_b64 s[0:1], vcc
	s_cbranch_execz .LBB357_35
; %bb.34:
	ds_read2_b32 v[1:2], v1 offset1:22
	s_waitcnt lgkmcnt(0)
	v_add_f32_e32 v6, v1, v2
.LBB357_35:
	s_or_b64 exec, exec, s[0:1]
	v_mov_b32_e32 v2, v6
.LBB357_36:
	v_cmp_gt_u32_e32 vcc, 22, v0
	s_and_saveexec_b64 s[0:1], vcc
	s_cbranch_execz .LBB357_40
; %bb.37:
	v_cmp_eq_f32_e64 s[0:1], s12, 0
	s_and_b64 vcc, exec, s[0:1]
	v_mul_f32_e32 v1, s14, v2
	s_cbranch_vccz .LBB357_41
; %bb.38:
	v_mad_u64_u32 v[2:3], s[0:1], s6, 22, v[0:1]
	v_mov_b32_e32 v3, 0
	v_mov_b32_e32 v4, s17
	v_lshlrev_b64 v[2:3], 2, v[2:3]
	v_add_co_u32_e32 v2, vcc, s16, v2
	v_addc_co_u32_e32 v3, vcc, v4, v3, vcc
	global_store_dword v[2:3], v1, off
	s_cbranch_execnz .LBB357_40
.LBB357_39:
	v_mad_u64_u32 v[2:3], s[0:1], s6, 22, v[0:1]
	v_mov_b32_e32 v3, 0
	v_mov_b32_e32 v0, s17
	v_lshlrev_b64 v[2:3], 2, v[2:3]
	v_add_co_u32_e32 v2, vcc, s16, v2
	v_addc_co_u32_e32 v3, vcc, v0, v3, vcc
	global_load_dword v0, v[2:3], off
	s_waitcnt vmcnt(0)
	v_fmac_f32_e32 v1, s12, v0
	global_store_dword v[2:3], v1, off
.LBB357_40:
	s_endpgm
.LBB357_41:
	s_branch .LBB357_39
	.section	.rodata,"a",@progbits
	.p2align	6, 0x0
	.amdhsa_kernel _ZN9rocsparseL20bsrxmvn_17_32_kernelILj22Efli18rocsparse_bfloat16S1_fEEvT2_20rocsparse_direction_NS_24const_host_device_scalarIT0_EES2_PKS2_PKT1_SB_S8_PKT3_PKT4_S6_PT5_21rocsparse_index_base_b
		.amdhsa_group_segment_fixed_size 1936
		.amdhsa_private_segment_fixed_size 0
		.amdhsa_kernarg_size 96
		.amdhsa_user_sgpr_count 6
		.amdhsa_user_sgpr_private_segment_buffer 1
		.amdhsa_user_sgpr_dispatch_ptr 0
		.amdhsa_user_sgpr_queue_ptr 0
		.amdhsa_user_sgpr_kernarg_segment_ptr 1
		.amdhsa_user_sgpr_dispatch_id 0
		.amdhsa_user_sgpr_flat_scratch_init 0
		.amdhsa_user_sgpr_private_segment_size 0
		.amdhsa_uses_dynamic_stack 0
		.amdhsa_system_sgpr_private_segment_wavefront_offset 0
		.amdhsa_system_sgpr_workgroup_id_x 1
		.amdhsa_system_sgpr_workgroup_id_y 0
		.amdhsa_system_sgpr_workgroup_id_z 0
		.amdhsa_system_sgpr_workgroup_info 0
		.amdhsa_system_vgpr_workitem_id 0
		.amdhsa_next_free_vgpr 13
		.amdhsa_next_free_sgpr 26
		.amdhsa_reserve_vcc 1
		.amdhsa_reserve_flat_scratch 0
		.amdhsa_float_round_mode_32 0
		.amdhsa_float_round_mode_16_64 0
		.amdhsa_float_denorm_mode_32 3
		.amdhsa_float_denorm_mode_16_64 3
		.amdhsa_dx10_clamp 1
		.amdhsa_ieee_mode 1
		.amdhsa_fp16_overflow 0
		.amdhsa_exception_fp_ieee_invalid_op 0
		.amdhsa_exception_fp_denorm_src 0
		.amdhsa_exception_fp_ieee_div_zero 0
		.amdhsa_exception_fp_ieee_overflow 0
		.amdhsa_exception_fp_ieee_underflow 0
		.amdhsa_exception_fp_ieee_inexact 0
		.amdhsa_exception_int_div_zero 0
	.end_amdhsa_kernel
	.section	.text._ZN9rocsparseL20bsrxmvn_17_32_kernelILj22Efli18rocsparse_bfloat16S1_fEEvT2_20rocsparse_direction_NS_24const_host_device_scalarIT0_EES2_PKS2_PKT1_SB_S8_PKT3_PKT4_S6_PT5_21rocsparse_index_base_b,"axG",@progbits,_ZN9rocsparseL20bsrxmvn_17_32_kernelILj22Efli18rocsparse_bfloat16S1_fEEvT2_20rocsparse_direction_NS_24const_host_device_scalarIT0_EES2_PKS2_PKT1_SB_S8_PKT3_PKT4_S6_PT5_21rocsparse_index_base_b,comdat
.Lfunc_end357:
	.size	_ZN9rocsparseL20bsrxmvn_17_32_kernelILj22Efli18rocsparse_bfloat16S1_fEEvT2_20rocsparse_direction_NS_24const_host_device_scalarIT0_EES2_PKS2_PKT1_SB_S8_PKT3_PKT4_S6_PT5_21rocsparse_index_base_b, .Lfunc_end357-_ZN9rocsparseL20bsrxmvn_17_32_kernelILj22Efli18rocsparse_bfloat16S1_fEEvT2_20rocsparse_direction_NS_24const_host_device_scalarIT0_EES2_PKS2_PKT1_SB_S8_PKT3_PKT4_S6_PT5_21rocsparse_index_base_b
                                        ; -- End function
	.set _ZN9rocsparseL20bsrxmvn_17_32_kernelILj22Efli18rocsparse_bfloat16S1_fEEvT2_20rocsparse_direction_NS_24const_host_device_scalarIT0_EES2_PKS2_PKT1_SB_S8_PKT3_PKT4_S6_PT5_21rocsparse_index_base_b.num_vgpr, 13
	.set _ZN9rocsparseL20bsrxmvn_17_32_kernelILj22Efli18rocsparse_bfloat16S1_fEEvT2_20rocsparse_direction_NS_24const_host_device_scalarIT0_EES2_PKS2_PKT1_SB_S8_PKT3_PKT4_S6_PT5_21rocsparse_index_base_b.num_agpr, 0
	.set _ZN9rocsparseL20bsrxmvn_17_32_kernelILj22Efli18rocsparse_bfloat16S1_fEEvT2_20rocsparse_direction_NS_24const_host_device_scalarIT0_EES2_PKS2_PKT1_SB_S8_PKT3_PKT4_S6_PT5_21rocsparse_index_base_b.numbered_sgpr, 26
	.set _ZN9rocsparseL20bsrxmvn_17_32_kernelILj22Efli18rocsparse_bfloat16S1_fEEvT2_20rocsparse_direction_NS_24const_host_device_scalarIT0_EES2_PKS2_PKT1_SB_S8_PKT3_PKT4_S6_PT5_21rocsparse_index_base_b.num_named_barrier, 0
	.set _ZN9rocsparseL20bsrxmvn_17_32_kernelILj22Efli18rocsparse_bfloat16S1_fEEvT2_20rocsparse_direction_NS_24const_host_device_scalarIT0_EES2_PKS2_PKT1_SB_S8_PKT3_PKT4_S6_PT5_21rocsparse_index_base_b.private_seg_size, 0
	.set _ZN9rocsparseL20bsrxmvn_17_32_kernelILj22Efli18rocsparse_bfloat16S1_fEEvT2_20rocsparse_direction_NS_24const_host_device_scalarIT0_EES2_PKS2_PKT1_SB_S8_PKT3_PKT4_S6_PT5_21rocsparse_index_base_b.uses_vcc, 1
	.set _ZN9rocsparseL20bsrxmvn_17_32_kernelILj22Efli18rocsparse_bfloat16S1_fEEvT2_20rocsparse_direction_NS_24const_host_device_scalarIT0_EES2_PKS2_PKT1_SB_S8_PKT3_PKT4_S6_PT5_21rocsparse_index_base_b.uses_flat_scratch, 0
	.set _ZN9rocsparseL20bsrxmvn_17_32_kernelILj22Efli18rocsparse_bfloat16S1_fEEvT2_20rocsparse_direction_NS_24const_host_device_scalarIT0_EES2_PKS2_PKT1_SB_S8_PKT3_PKT4_S6_PT5_21rocsparse_index_base_b.has_dyn_sized_stack, 0
	.set _ZN9rocsparseL20bsrxmvn_17_32_kernelILj22Efli18rocsparse_bfloat16S1_fEEvT2_20rocsparse_direction_NS_24const_host_device_scalarIT0_EES2_PKS2_PKT1_SB_S8_PKT3_PKT4_S6_PT5_21rocsparse_index_base_b.has_recursion, 0
	.set _ZN9rocsparseL20bsrxmvn_17_32_kernelILj22Efli18rocsparse_bfloat16S1_fEEvT2_20rocsparse_direction_NS_24const_host_device_scalarIT0_EES2_PKS2_PKT1_SB_S8_PKT3_PKT4_S6_PT5_21rocsparse_index_base_b.has_indirect_call, 0
	.section	.AMDGPU.csdata,"",@progbits
; Kernel info:
; codeLenInByte = 1332
; TotalNumSgprs: 30
; NumVgprs: 13
; ScratchSize: 0
; MemoryBound: 0
; FloatMode: 240
; IeeeMode: 1
; LDSByteSize: 1936 bytes/workgroup (compile time only)
; SGPRBlocks: 3
; VGPRBlocks: 3
; NumSGPRsForWavesPerEU: 30
; NumVGPRsForWavesPerEU: 13
; Occupancy: 10
; WaveLimiterHint : 1
; COMPUTE_PGM_RSRC2:SCRATCH_EN: 0
; COMPUTE_PGM_RSRC2:USER_SGPR: 6
; COMPUTE_PGM_RSRC2:TRAP_HANDLER: 0
; COMPUTE_PGM_RSRC2:TGID_X_EN: 1
; COMPUTE_PGM_RSRC2:TGID_Y_EN: 0
; COMPUTE_PGM_RSRC2:TGID_Z_EN: 0
; COMPUTE_PGM_RSRC2:TIDIG_COMP_CNT: 0
	.section	.text._ZN9rocsparseL20bsrxmvn_17_32_kernelILj23Efli18rocsparse_bfloat16S1_fEEvT2_20rocsparse_direction_NS_24const_host_device_scalarIT0_EES2_PKS2_PKT1_SB_S8_PKT3_PKT4_S6_PT5_21rocsparse_index_base_b,"axG",@progbits,_ZN9rocsparseL20bsrxmvn_17_32_kernelILj23Efli18rocsparse_bfloat16S1_fEEvT2_20rocsparse_direction_NS_24const_host_device_scalarIT0_EES2_PKS2_PKT1_SB_S8_PKT3_PKT4_S6_PT5_21rocsparse_index_base_b,comdat
	.globl	_ZN9rocsparseL20bsrxmvn_17_32_kernelILj23Efli18rocsparse_bfloat16S1_fEEvT2_20rocsparse_direction_NS_24const_host_device_scalarIT0_EES2_PKS2_PKT1_SB_S8_PKT3_PKT4_S6_PT5_21rocsparse_index_base_b ; -- Begin function _ZN9rocsparseL20bsrxmvn_17_32_kernelILj23Efli18rocsparse_bfloat16S1_fEEvT2_20rocsparse_direction_NS_24const_host_device_scalarIT0_EES2_PKS2_PKT1_SB_S8_PKT3_PKT4_S6_PT5_21rocsparse_index_base_b
	.p2align	8
	.type	_ZN9rocsparseL20bsrxmvn_17_32_kernelILj23Efli18rocsparse_bfloat16S1_fEEvT2_20rocsparse_direction_NS_24const_host_device_scalarIT0_EES2_PKS2_PKT1_SB_S8_PKT3_PKT4_S6_PT5_21rocsparse_index_base_b,@function
_ZN9rocsparseL20bsrxmvn_17_32_kernelILj23Efli18rocsparse_bfloat16S1_fEEvT2_20rocsparse_direction_NS_24const_host_device_scalarIT0_EES2_PKS2_PKT1_SB_S8_PKT3_PKT4_S6_PT5_21rocsparse_index_base_b: ; @_ZN9rocsparseL20bsrxmvn_17_32_kernelILj23Efli18rocsparse_bfloat16S1_fEEvT2_20rocsparse_direction_NS_24const_host_device_scalarIT0_EES2_PKS2_PKT1_SB_S8_PKT3_PKT4_S6_PT5_21rocsparse_index_base_b
; %bb.0:
	s_load_dwordx2 s[18:19], s[4:5], 0x58
	s_load_dwordx2 s[14:15], s[4:5], 0x8
	;; [unrolled: 1-line block ×3, first 2 shown]
	s_waitcnt lgkmcnt(0)
	s_bitcmp1_b32 s19, 0
	s_cselect_b64 s[2:3], -1, 0
	s_xor_b64 s[0:1], s[2:3], -1
	s_and_b64 vcc, exec, s[2:3]
	s_cbranch_vccnz .LBB358_2
; %bb.1:
	s_load_dword s14, s[14:15], 0x0
.LBB358_2:
	s_andn2_b64 vcc, exec, s[0:1]
	s_cbranch_vccnz .LBB358_4
; %bb.3:
	s_load_dword s12, s[12:13], 0x0
.LBB358_4:
	s_waitcnt lgkmcnt(0)
	v_cmp_neq_f32_e64 s[0:1], s14, 0
	v_cmp_neq_f32_e64 s[2:3], s12, 1.0
	s_or_b64 s[0:1], s[0:1], s[2:3]
	s_andn2_b64 vcc, exec, s[0:1]
	s_cbranch_vccnz .LBB358_40
; %bb.5:
	s_load_dwordx4 s[0:3], s[4:5], 0x18
	s_load_dwordx2 s[8:9], s[4:5], 0x28
	s_waitcnt lgkmcnt(0)
	s_cmp_eq_u64 s[0:1], 0
	s_cbranch_scc1 .LBB358_7
; %bb.6:
	s_ashr_i32 s7, s6, 31
	s_lshl_b64 s[6:7], s[6:7], 2
	s_add_u32 s0, s0, s6
	s_addc_u32 s1, s1, s7
	s_load_dword s0, s[0:1], 0x0
	s_waitcnt lgkmcnt(0)
	s_sub_i32 s6, s0, s18
.LBB358_7:
	s_load_dword s7, s[4:5], 0x4
	s_load_dwordx2 s[16:17], s[4:5], 0x50
	v_mul_u32_u24_e32 v1, 0xb22, v0
	v_mov_b32_e32 v2, 23
	v_mul_lo_u16_sdwa v2, v1, v2 dst_sel:DWORD dst_unused:UNUSED_PAD src0_sel:WORD_1 src1_sel:DWORD
	s_waitcnt lgkmcnt(0)
	s_cmp_eq_u32 s7, 1
	s_cselect_b64 s[0:1], -1, 0
	s_cmp_lg_u32 s7, 1
	s_cselect_b64 s[20:21], -1, 0
	s_ashr_i32 s7, s6, 31
	s_lshl_b64 s[10:11], s[6:7], 3
	s_add_u32 s2, s2, s10
	s_addc_u32 s3, s3, s11
	s_add_u32 s7, s2, 8
	s_addc_u32 s13, s3, 0
	s_add_u32 s10, s8, s10
	s_addc_u32 s11, s9, s11
	s_cmp_eq_u64 s[8:9], 0
	s_cselect_b32 s9, s13, s11
	s_cselect_b32 s8, s7, s10
	s_load_dwordx2 s[22:23], s[8:9], 0x0
	s_load_dwordx2 s[24:25], s[2:3], 0x0
	v_sub_u16_e32 v7, v0, v2
	v_mov_b32_e32 v6, 0
	s_waitcnt lgkmcnt(0)
	v_mov_b32_e32 v2, s22
	v_mov_b32_e32 v3, s23
	v_cmp_ge_i64_e32 vcc, s[24:25], v[2:3]
	s_cbranch_vccnz .LBB358_12
; %bb.8:
	s_load_dwordx4 s[8:11], s[4:5], 0x30
	s_load_dwordx2 s[2:3], s[4:5], 0x40
	s_sub_u32 s4, s22, s18
	s_mov_b32 s7, 0xffff
	s_subb_u32 s5, s23, 0
	s_movk_i32 s13, 0x211
	v_and_b32_sdwa v1, s7, v1 dst_sel:DWORD dst_unused:UNUSED_PAD src0_sel:DWORD src1_sel:WORD_1
	v_subrev_u32_e32 v2, 23, v1
	v_cmp_gt_u32_e32 vcc, s13, v0
	s_sub_u32 s22, s24, s18
	v_cndmask_b32_e32 v1, v2, v1, vcc
	s_subb_u32 s23, s25, 0
	v_cndmask_b32_e64 v1, v7, v1, s[0:1]
	s_mul_i32 s0, s23, 0x422
	s_mul_hi_u32 s1, s22, 0x422
	s_add_i32 s1, s1, s0
	s_mul_i32 s0, s22, 0x422
	s_waitcnt lgkmcnt(0)
	s_add_u32 s0, s10, s0
	s_addc_u32 s1, s11, s1
	v_lshlrev_b32_e32 v2, 1, v0
	v_mov_b32_e32 v3, s1
	v_add_co_u32_e32 v2, vcc, s0, v2
	v_addc_co_u32_e32 v3, vcc, 0, v3, vcc
	s_movk_i32 s0, 0x210
	v_cmp_lt_u32_e32 vcc, s0, v0
	v_cndmask_b32_e64 v8, 0, 1, vcc
	v_mov_b32_e32 v4, s25
	v_add_co_u32_e32 v5, vcc, s24, v8
	v_addc_co_u32_e32 v9, vcc, 0, v4, vcc
	v_subrev_co_u32_e32 v4, vcc, s18, v5
	v_subbrev_co_u32_e32 v5, vcc, 0, v9, vcc
	v_lshlrev_b64 v[4:5], 2, v[4:5]
	v_mov_b32_e32 v9, s9
	v_add_co_u32_e32 v4, vcc, s8, v4
	v_mov_b32_e32 v6, 0
	v_addc_co_u32_e32 v5, vcc, v9, v5, vcc
	s_branch .LBB358_10
.LBB358_9:                              ;   in Loop: Header=BB358_10 Depth=1
	s_or_b64 exec, exec, s[0:1]
	s_add_u32 s22, s22, 1
	v_mov_b32_e32 v10, s5
	s_addc_u32 s23, s23, 0
	v_mov_b32_e32 v9, s4
	v_cmp_lt_i64_e32 vcc, s[22:23], v[9:10]
	v_add_co_u32_e64 v4, s[0:1], 4, v4
	v_addc_co_u32_e64 v5, s[0:1], 0, v5, s[0:1]
	s_cbranch_vccz .LBB358_12
.LBB358_10:                             ; =>This Inner Loop Header: Depth=1
	v_mov_b32_e32 v10, s23
	v_add_co_u32_e32 v9, vcc, s22, v8
	v_addc_co_u32_e32 v10, vcc, 0, v10, vcc
	v_cmp_gt_i64_e32 vcc, s[4:5], v[9:10]
	s_and_saveexec_b64 s[0:1], vcc
	s_cbranch_execz .LBB358_9
; %bb.11:                               ;   in Loop: Header=BB358_10 Depth=1
	global_load_dword v9, v[4:5], off
	v_mov_b32_e32 v12, s3
	global_load_ushort v11, v[2:3], off
	s_waitcnt vmcnt(1)
	v_subrev_u32_e32 v9, s18, v9
	v_mad_u64_u32 v[9:10], s[8:9], v9, 23, v[1:2]
	v_ashrrev_i32_e32 v10, 31, v9
	v_lshlrev_b64 v[9:10], 1, v[9:10]
	v_add_co_u32_e32 v9, vcc, s2, v9
	v_addc_co_u32_e32 v10, vcc, v12, v10, vcc
	global_load_ushort v9, v[9:10], off
	v_add_co_u32_e32 v2, vcc, 0x422, v2
	s_waitcnt vmcnt(1)
	v_lshlrev_b32_e32 v10, 16, v11
	v_addc_co_u32_e32 v3, vcc, 0, v3, vcc
	s_waitcnt vmcnt(0)
	v_lshlrev_b32_e32 v9, 16, v9
	v_fmac_f32_e32 v6, v10, v9
	s_branch .LBB358_9
.LBB358_12:
	v_lshlrev_b32_e32 v1, 2, v0
	s_and_b64 vcc, exec, s[20:21]
	ds_write_b32 v1, v6
	s_waitcnt lgkmcnt(0)
	s_barrier
	s_cbranch_vccz .LBB358_24
; %bb.13:
	v_cmp_gt_u16_e32 vcc, 7, v7
	s_and_saveexec_b64 s[0:1], vcc
	s_cbranch_execz .LBB358_15
; %bb.14:
	ds_read2_b32 v[2:3], v1 offset1:16
	s_waitcnt lgkmcnt(0)
	v_add_f32_e32 v2, v3, v2
	ds_write_b32 v1, v2
.LBB358_15:
	s_or_b64 exec, exec, s[0:1]
	v_cmp_gt_u16_e32 vcc, 8, v7
	s_waitcnt lgkmcnt(0)
	s_barrier
	s_and_saveexec_b64 s[0:1], vcc
	s_cbranch_execz .LBB358_17
; %bb.16:
	ds_read2_b32 v[2:3], v1 offset1:8
	s_waitcnt lgkmcnt(0)
	v_add_f32_e32 v2, v3, v2
	ds_write_b32 v1, v2
.LBB358_17:
	s_or_b64 exec, exec, s[0:1]
	v_cmp_gt_u16_e32 vcc, 4, v7
	s_waitcnt lgkmcnt(0)
	s_barrier
	;; [unrolled: 12-line block ×3, first 2 shown]
	s_and_saveexec_b64 s[0:1], vcc
	s_cbranch_execz .LBB358_21
; %bb.20:
	ds_read2_b32 v[2:3], v1 offset1:2
	s_waitcnt lgkmcnt(0)
	v_add_f32_e32 v2, v3, v2
	ds_write_b32 v1, v2
.LBB358_21:
	s_or_b64 exec, exec, s[0:1]
	v_cmp_gt_u32_e32 vcc, 23, v0
	v_mov_b32_e32 v2, v6
	s_waitcnt lgkmcnt(0)
	s_barrier
	s_and_saveexec_b64 s[0:1], vcc
	s_cbranch_execz .LBB358_23
; %bb.22:
	s_movk_i32 s2, 0x58
	v_mad_u32_u24 v2, v0, s2, v1
	ds_read2_b32 v[2:3], v2 offset1:1
	s_waitcnt lgkmcnt(0)
	v_add_f32_e32 v2, v2, v3
.LBB358_23:
	s_or_b64 exec, exec, s[0:1]
	s_branch .LBB358_36
.LBB358_24:
                                        ; implicit-def: $vgpr2
	s_cbranch_execz .LBB358_36
; %bb.25:
	s_movk_i32 s0, 0xa1
	v_cmp_gt_u32_e32 vcc, s0, v0
	s_and_saveexec_b64 s[0:1], vcc
	s_cbranch_execz .LBB358_27
; %bb.26:
	ds_read_b32 v2, v1 offset:1472
	ds_read_b32 v3, v1
	s_waitcnt lgkmcnt(0)
	v_add_f32_e32 v2, v2, v3
	ds_write_b32 v1, v2
.LBB358_27:
	s_or_b64 exec, exec, s[0:1]
	s_movk_i32 s0, 0xb8
	v_cmp_gt_u32_e32 vcc, s0, v0
	s_waitcnt lgkmcnt(0)
	s_barrier
	s_and_saveexec_b64 s[0:1], vcc
	s_cbranch_execz .LBB358_29
; %bb.28:
	ds_read2_b32 v[2:3], v1 offset1:184
	s_waitcnt lgkmcnt(0)
	v_add_f32_e32 v2, v3, v2
	ds_write_b32 v1, v2
.LBB358_29:
	s_or_b64 exec, exec, s[0:1]
	s_movk_i32 s0, 0x5c
	v_cmp_gt_u32_e32 vcc, s0, v0
	s_waitcnt lgkmcnt(0)
	s_barrier
	s_and_saveexec_b64 s[0:1], vcc
	s_cbranch_execz .LBB358_31
; %bb.30:
	ds_read2_b32 v[2:3], v1 offset1:92
	s_waitcnt lgkmcnt(0)
	v_add_f32_e32 v2, v3, v2
	ds_write_b32 v1, v2
.LBB358_31:
	s_or_b64 exec, exec, s[0:1]
	v_cmp_gt_u32_e32 vcc, 46, v0
	s_waitcnt lgkmcnt(0)
	s_barrier
	s_and_saveexec_b64 s[0:1], vcc
	s_cbranch_execz .LBB358_33
; %bb.32:
	ds_read2_b32 v[2:3], v1 offset1:46
	s_waitcnt lgkmcnt(0)
	v_add_f32_e32 v2, v3, v2
	ds_write_b32 v1, v2
.LBB358_33:
	s_or_b64 exec, exec, s[0:1]
	v_cmp_gt_u32_e32 vcc, 23, v0
	s_waitcnt lgkmcnt(0)
	s_and_saveexec_b64 s[0:1], vcc
	s_cbranch_execz .LBB358_35
; %bb.34:
	ds_read2_b32 v[1:2], v1 offset1:23
	s_waitcnt lgkmcnt(0)
	v_add_f32_e32 v6, v1, v2
.LBB358_35:
	s_or_b64 exec, exec, s[0:1]
	v_mov_b32_e32 v2, v6
.LBB358_36:
	v_cmp_gt_u32_e32 vcc, 23, v0
	s_and_saveexec_b64 s[0:1], vcc
	s_cbranch_execz .LBB358_40
; %bb.37:
	v_cmp_eq_f32_e64 s[0:1], s12, 0
	s_and_b64 vcc, exec, s[0:1]
	v_mul_f32_e32 v1, s14, v2
	s_cbranch_vccz .LBB358_41
; %bb.38:
	v_mad_u64_u32 v[2:3], s[0:1], s6, 23, v[0:1]
	v_mov_b32_e32 v3, 0
	v_mov_b32_e32 v4, s17
	v_lshlrev_b64 v[2:3], 2, v[2:3]
	v_add_co_u32_e32 v2, vcc, s16, v2
	v_addc_co_u32_e32 v3, vcc, v4, v3, vcc
	global_store_dword v[2:3], v1, off
	s_cbranch_execnz .LBB358_40
.LBB358_39:
	v_mad_u64_u32 v[2:3], s[0:1], s6, 23, v[0:1]
	v_mov_b32_e32 v3, 0
	v_mov_b32_e32 v0, s17
	v_lshlrev_b64 v[2:3], 2, v[2:3]
	v_add_co_u32_e32 v2, vcc, s16, v2
	v_addc_co_u32_e32 v3, vcc, v0, v3, vcc
	global_load_dword v0, v[2:3], off
	s_waitcnt vmcnt(0)
	v_fmac_f32_e32 v1, s12, v0
	global_store_dword v[2:3], v1, off
.LBB358_40:
	s_endpgm
.LBB358_41:
	s_branch .LBB358_39
	.section	.rodata,"a",@progbits
	.p2align	6, 0x0
	.amdhsa_kernel _ZN9rocsparseL20bsrxmvn_17_32_kernelILj23Efli18rocsparse_bfloat16S1_fEEvT2_20rocsparse_direction_NS_24const_host_device_scalarIT0_EES2_PKS2_PKT1_SB_S8_PKT3_PKT4_S6_PT5_21rocsparse_index_base_b
		.amdhsa_group_segment_fixed_size 2116
		.amdhsa_private_segment_fixed_size 0
		.amdhsa_kernarg_size 96
		.amdhsa_user_sgpr_count 6
		.amdhsa_user_sgpr_private_segment_buffer 1
		.amdhsa_user_sgpr_dispatch_ptr 0
		.amdhsa_user_sgpr_queue_ptr 0
		.amdhsa_user_sgpr_kernarg_segment_ptr 1
		.amdhsa_user_sgpr_dispatch_id 0
		.amdhsa_user_sgpr_flat_scratch_init 0
		.amdhsa_user_sgpr_private_segment_size 0
		.amdhsa_uses_dynamic_stack 0
		.amdhsa_system_sgpr_private_segment_wavefront_offset 0
		.amdhsa_system_sgpr_workgroup_id_x 1
		.amdhsa_system_sgpr_workgroup_id_y 0
		.amdhsa_system_sgpr_workgroup_id_z 0
		.amdhsa_system_sgpr_workgroup_info 0
		.amdhsa_system_vgpr_workitem_id 0
		.amdhsa_next_free_vgpr 25
		.amdhsa_next_free_sgpr 61
		.amdhsa_reserve_vcc 1
		.amdhsa_reserve_flat_scratch 0
		.amdhsa_float_round_mode_32 0
		.amdhsa_float_round_mode_16_64 0
		.amdhsa_float_denorm_mode_32 3
		.amdhsa_float_denorm_mode_16_64 3
		.amdhsa_dx10_clamp 1
		.amdhsa_ieee_mode 1
		.amdhsa_fp16_overflow 0
		.amdhsa_exception_fp_ieee_invalid_op 0
		.amdhsa_exception_fp_denorm_src 0
		.amdhsa_exception_fp_ieee_div_zero 0
		.amdhsa_exception_fp_ieee_overflow 0
		.amdhsa_exception_fp_ieee_underflow 0
		.amdhsa_exception_fp_ieee_inexact 0
		.amdhsa_exception_int_div_zero 0
	.end_amdhsa_kernel
	.section	.text._ZN9rocsparseL20bsrxmvn_17_32_kernelILj23Efli18rocsparse_bfloat16S1_fEEvT2_20rocsparse_direction_NS_24const_host_device_scalarIT0_EES2_PKS2_PKT1_SB_S8_PKT3_PKT4_S6_PT5_21rocsparse_index_base_b,"axG",@progbits,_ZN9rocsparseL20bsrxmvn_17_32_kernelILj23Efli18rocsparse_bfloat16S1_fEEvT2_20rocsparse_direction_NS_24const_host_device_scalarIT0_EES2_PKS2_PKT1_SB_S8_PKT3_PKT4_S6_PT5_21rocsparse_index_base_b,comdat
.Lfunc_end358:
	.size	_ZN9rocsparseL20bsrxmvn_17_32_kernelILj23Efli18rocsparse_bfloat16S1_fEEvT2_20rocsparse_direction_NS_24const_host_device_scalarIT0_EES2_PKS2_PKT1_SB_S8_PKT3_PKT4_S6_PT5_21rocsparse_index_base_b, .Lfunc_end358-_ZN9rocsparseL20bsrxmvn_17_32_kernelILj23Efli18rocsparse_bfloat16S1_fEEvT2_20rocsparse_direction_NS_24const_host_device_scalarIT0_EES2_PKS2_PKT1_SB_S8_PKT3_PKT4_S6_PT5_21rocsparse_index_base_b
                                        ; -- End function
	.set _ZN9rocsparseL20bsrxmvn_17_32_kernelILj23Efli18rocsparse_bfloat16S1_fEEvT2_20rocsparse_direction_NS_24const_host_device_scalarIT0_EES2_PKS2_PKT1_SB_S8_PKT3_PKT4_S6_PT5_21rocsparse_index_base_b.num_vgpr, 13
	.set _ZN9rocsparseL20bsrxmvn_17_32_kernelILj23Efli18rocsparse_bfloat16S1_fEEvT2_20rocsparse_direction_NS_24const_host_device_scalarIT0_EES2_PKS2_PKT1_SB_S8_PKT3_PKT4_S6_PT5_21rocsparse_index_base_b.num_agpr, 0
	.set _ZN9rocsparseL20bsrxmvn_17_32_kernelILj23Efli18rocsparse_bfloat16S1_fEEvT2_20rocsparse_direction_NS_24const_host_device_scalarIT0_EES2_PKS2_PKT1_SB_S8_PKT3_PKT4_S6_PT5_21rocsparse_index_base_b.numbered_sgpr, 26
	.set _ZN9rocsparseL20bsrxmvn_17_32_kernelILj23Efli18rocsparse_bfloat16S1_fEEvT2_20rocsparse_direction_NS_24const_host_device_scalarIT0_EES2_PKS2_PKT1_SB_S8_PKT3_PKT4_S6_PT5_21rocsparse_index_base_b.num_named_barrier, 0
	.set _ZN9rocsparseL20bsrxmvn_17_32_kernelILj23Efli18rocsparse_bfloat16S1_fEEvT2_20rocsparse_direction_NS_24const_host_device_scalarIT0_EES2_PKS2_PKT1_SB_S8_PKT3_PKT4_S6_PT5_21rocsparse_index_base_b.private_seg_size, 0
	.set _ZN9rocsparseL20bsrxmvn_17_32_kernelILj23Efli18rocsparse_bfloat16S1_fEEvT2_20rocsparse_direction_NS_24const_host_device_scalarIT0_EES2_PKS2_PKT1_SB_S8_PKT3_PKT4_S6_PT5_21rocsparse_index_base_b.uses_vcc, 1
	.set _ZN9rocsparseL20bsrxmvn_17_32_kernelILj23Efli18rocsparse_bfloat16S1_fEEvT2_20rocsparse_direction_NS_24const_host_device_scalarIT0_EES2_PKS2_PKT1_SB_S8_PKT3_PKT4_S6_PT5_21rocsparse_index_base_b.uses_flat_scratch, 0
	.set _ZN9rocsparseL20bsrxmvn_17_32_kernelILj23Efli18rocsparse_bfloat16S1_fEEvT2_20rocsparse_direction_NS_24const_host_device_scalarIT0_EES2_PKS2_PKT1_SB_S8_PKT3_PKT4_S6_PT5_21rocsparse_index_base_b.has_dyn_sized_stack, 0
	.set _ZN9rocsparseL20bsrxmvn_17_32_kernelILj23Efli18rocsparse_bfloat16S1_fEEvT2_20rocsparse_direction_NS_24const_host_device_scalarIT0_EES2_PKS2_PKT1_SB_S8_PKT3_PKT4_S6_PT5_21rocsparse_index_base_b.has_recursion, 0
	.set _ZN9rocsparseL20bsrxmvn_17_32_kernelILj23Efli18rocsparse_bfloat16S1_fEEvT2_20rocsparse_direction_NS_24const_host_device_scalarIT0_EES2_PKS2_PKT1_SB_S8_PKT3_PKT4_S6_PT5_21rocsparse_index_base_b.has_indirect_call, 0
	.section	.AMDGPU.csdata,"",@progbits
; Kernel info:
; codeLenInByte = 1328
; TotalNumSgprs: 30
; NumVgprs: 13
; ScratchSize: 0
; MemoryBound: 0
; FloatMode: 240
; IeeeMode: 1
; LDSByteSize: 2116 bytes/workgroup (compile time only)
; SGPRBlocks: 8
; VGPRBlocks: 6
; NumSGPRsForWavesPerEU: 65
; NumVGPRsForWavesPerEU: 25
; Occupancy: 9
; WaveLimiterHint : 1
; COMPUTE_PGM_RSRC2:SCRATCH_EN: 0
; COMPUTE_PGM_RSRC2:USER_SGPR: 6
; COMPUTE_PGM_RSRC2:TRAP_HANDLER: 0
; COMPUTE_PGM_RSRC2:TGID_X_EN: 1
; COMPUTE_PGM_RSRC2:TGID_Y_EN: 0
; COMPUTE_PGM_RSRC2:TGID_Z_EN: 0
; COMPUTE_PGM_RSRC2:TIDIG_COMP_CNT: 0
	.section	.text._ZN9rocsparseL20bsrxmvn_17_32_kernelILj24Efli18rocsparse_bfloat16S1_fEEvT2_20rocsparse_direction_NS_24const_host_device_scalarIT0_EES2_PKS2_PKT1_SB_S8_PKT3_PKT4_S6_PT5_21rocsparse_index_base_b,"axG",@progbits,_ZN9rocsparseL20bsrxmvn_17_32_kernelILj24Efli18rocsparse_bfloat16S1_fEEvT2_20rocsparse_direction_NS_24const_host_device_scalarIT0_EES2_PKS2_PKT1_SB_S8_PKT3_PKT4_S6_PT5_21rocsparse_index_base_b,comdat
	.globl	_ZN9rocsparseL20bsrxmvn_17_32_kernelILj24Efli18rocsparse_bfloat16S1_fEEvT2_20rocsparse_direction_NS_24const_host_device_scalarIT0_EES2_PKS2_PKT1_SB_S8_PKT3_PKT4_S6_PT5_21rocsparse_index_base_b ; -- Begin function _ZN9rocsparseL20bsrxmvn_17_32_kernelILj24Efli18rocsparse_bfloat16S1_fEEvT2_20rocsparse_direction_NS_24const_host_device_scalarIT0_EES2_PKS2_PKT1_SB_S8_PKT3_PKT4_S6_PT5_21rocsparse_index_base_b
	.p2align	8
	.type	_ZN9rocsparseL20bsrxmvn_17_32_kernelILj24Efli18rocsparse_bfloat16S1_fEEvT2_20rocsparse_direction_NS_24const_host_device_scalarIT0_EES2_PKS2_PKT1_SB_S8_PKT3_PKT4_S6_PT5_21rocsparse_index_base_b,@function
_ZN9rocsparseL20bsrxmvn_17_32_kernelILj24Efli18rocsparse_bfloat16S1_fEEvT2_20rocsparse_direction_NS_24const_host_device_scalarIT0_EES2_PKS2_PKT1_SB_S8_PKT3_PKT4_S6_PT5_21rocsparse_index_base_b: ; @_ZN9rocsparseL20bsrxmvn_17_32_kernelILj24Efli18rocsparse_bfloat16S1_fEEvT2_20rocsparse_direction_NS_24const_host_device_scalarIT0_EES2_PKS2_PKT1_SB_S8_PKT3_PKT4_S6_PT5_21rocsparse_index_base_b
; %bb.0:
	s_load_dwordx2 s[18:19], s[4:5], 0x58
	s_load_dwordx2 s[14:15], s[4:5], 0x8
	;; [unrolled: 1-line block ×3, first 2 shown]
	s_waitcnt lgkmcnt(0)
	s_bitcmp1_b32 s19, 0
	s_cselect_b64 s[2:3], -1, 0
	s_xor_b64 s[0:1], s[2:3], -1
	s_and_b64 vcc, exec, s[2:3]
	s_cbranch_vccnz .LBB359_2
; %bb.1:
	s_load_dword s14, s[14:15], 0x0
.LBB359_2:
	s_andn2_b64 vcc, exec, s[0:1]
	s_cbranch_vccnz .LBB359_4
; %bb.3:
	s_load_dword s12, s[12:13], 0x0
.LBB359_4:
	s_waitcnt lgkmcnt(0)
	v_cmp_neq_f32_e64 s[0:1], s14, 0
	v_cmp_neq_f32_e64 s[2:3], s12, 1.0
	s_or_b64 s[0:1], s[0:1], s[2:3]
	s_andn2_b64 vcc, exec, s[0:1]
	s_cbranch_vccnz .LBB359_40
; %bb.5:
	s_load_dwordx4 s[0:3], s[4:5], 0x18
	s_load_dwordx2 s[8:9], s[4:5], 0x28
	s_waitcnt lgkmcnt(0)
	s_cmp_eq_u64 s[0:1], 0
	s_cbranch_scc1 .LBB359_7
; %bb.6:
	s_ashr_i32 s7, s6, 31
	s_lshl_b64 s[6:7], s[6:7], 2
	s_add_u32 s0, s0, s6
	s_addc_u32 s1, s1, s7
	s_load_dword s0, s[0:1], 0x0
	s_waitcnt lgkmcnt(0)
	s_sub_i32 s6, s0, s18
.LBB359_7:
	s_load_dword s7, s[4:5], 0x4
	s_load_dwordx2 s[16:17], s[4:5], 0x50
	v_mul_u32_u24_e32 v1, 0xaab, v0
	v_mov_b32_e32 v2, 24
	v_mul_lo_u16_sdwa v2, v1, v2 dst_sel:DWORD dst_unused:UNUSED_PAD src0_sel:WORD_1 src1_sel:DWORD
	s_waitcnt lgkmcnt(0)
	s_cmp_eq_u32 s7, 1
	s_cselect_b64 s[0:1], -1, 0
	s_cmp_lg_u32 s7, 1
	s_cselect_b64 s[20:21], -1, 0
	s_ashr_i32 s7, s6, 31
	s_lshl_b64 s[10:11], s[6:7], 3
	s_add_u32 s2, s2, s10
	s_addc_u32 s3, s3, s11
	s_add_u32 s7, s2, 8
	s_addc_u32 s13, s3, 0
	;; [unrolled: 2-line block ×3, first 2 shown]
	s_cmp_eq_u64 s[8:9], 0
	s_cselect_b32 s9, s13, s11
	s_cselect_b32 s8, s7, s10
	s_load_dwordx2 s[22:23], s[8:9], 0x0
	s_load_dwordx2 s[24:25], s[2:3], 0x0
	v_sub_u16_e32 v7, v0, v2
	v_mov_b32_e32 v6, 0
	s_waitcnt lgkmcnt(0)
	v_mov_b32_e32 v2, s22
	v_mov_b32_e32 v3, s23
	v_cmp_ge_i64_e32 vcc, s[24:25], v[2:3]
	s_cbranch_vccnz .LBB359_12
; %bb.8:
	s_load_dwordx4 s[8:11], s[4:5], 0x30
	s_load_dwordx2 s[2:3], s[4:5], 0x40
	s_sub_u32 s4, s22, s18
	s_mov_b32 s7, 0xffff
	s_subb_u32 s5, s23, 0
	s_movk_i32 s13, 0x240
	v_and_b32_sdwa v1, s7, v1 dst_sel:DWORD dst_unused:UNUSED_PAD src0_sel:DWORD src1_sel:WORD_1
	v_subrev_u32_e32 v2, 24, v1
	v_cmp_gt_u32_e32 vcc, s13, v0
	s_sub_u32 s22, s24, s18
	v_cndmask_b32_e32 v1, v2, v1, vcc
	s_subb_u32 s23, s25, 0
	v_cndmask_b32_e64 v1, v7, v1, s[0:1]
	s_mul_i32 s0, s23, 0x480
	s_mul_hi_u32 s1, s22, 0x480
	s_add_i32 s1, s1, s0
	s_mul_i32 s0, s22, 0x480
	s_waitcnt lgkmcnt(0)
	s_add_u32 s0, s10, s0
	s_addc_u32 s1, s11, s1
	v_lshlrev_b32_e32 v2, 1, v0
	v_mov_b32_e32 v3, s1
	v_add_co_u32_e32 v2, vcc, s0, v2
	v_addc_co_u32_e32 v3, vcc, 0, v3, vcc
	s_movk_i32 s0, 0x23f
	v_cmp_lt_u32_e32 vcc, s0, v0
	v_cndmask_b32_e64 v8, 0, 1, vcc
	v_mov_b32_e32 v4, s25
	v_add_co_u32_e32 v5, vcc, s24, v8
	v_addc_co_u32_e32 v9, vcc, 0, v4, vcc
	v_subrev_co_u32_e32 v4, vcc, s18, v5
	v_subbrev_co_u32_e32 v5, vcc, 0, v9, vcc
	v_lshlrev_b64 v[4:5], 2, v[4:5]
	v_mov_b32_e32 v9, s9
	v_add_co_u32_e32 v4, vcc, s8, v4
	v_mov_b32_e32 v6, 0
	v_addc_co_u32_e32 v5, vcc, v9, v5, vcc
	s_branch .LBB359_10
.LBB359_9:                              ;   in Loop: Header=BB359_10 Depth=1
	s_or_b64 exec, exec, s[0:1]
	s_add_u32 s22, s22, 1
	v_mov_b32_e32 v10, s5
	s_addc_u32 s23, s23, 0
	v_mov_b32_e32 v9, s4
	v_cmp_lt_i64_e32 vcc, s[22:23], v[9:10]
	v_add_co_u32_e64 v4, s[0:1], 4, v4
	v_addc_co_u32_e64 v5, s[0:1], 0, v5, s[0:1]
	s_cbranch_vccz .LBB359_12
.LBB359_10:                             ; =>This Inner Loop Header: Depth=1
	v_mov_b32_e32 v10, s23
	v_add_co_u32_e32 v9, vcc, s22, v8
	v_addc_co_u32_e32 v10, vcc, 0, v10, vcc
	v_cmp_gt_i64_e32 vcc, s[4:5], v[9:10]
	s_and_saveexec_b64 s[0:1], vcc
	s_cbranch_execz .LBB359_9
; %bb.11:                               ;   in Loop: Header=BB359_10 Depth=1
	global_load_dword v9, v[4:5], off
	v_mov_b32_e32 v12, s3
	global_load_ushort v11, v[2:3], off
	s_waitcnt vmcnt(1)
	v_subrev_u32_e32 v9, s18, v9
	v_mad_u64_u32 v[9:10], s[8:9], v9, 24, v[1:2]
	v_ashrrev_i32_e32 v10, 31, v9
	v_lshlrev_b64 v[9:10], 1, v[9:10]
	v_add_co_u32_e32 v9, vcc, s2, v9
	v_addc_co_u32_e32 v10, vcc, v12, v10, vcc
	global_load_ushort v9, v[9:10], off
	v_add_co_u32_e32 v2, vcc, 0x480, v2
	s_waitcnt vmcnt(1)
	v_lshlrev_b32_e32 v10, 16, v11
	v_addc_co_u32_e32 v3, vcc, 0, v3, vcc
	s_waitcnt vmcnt(0)
	v_lshlrev_b32_e32 v9, 16, v9
	v_fmac_f32_e32 v6, v10, v9
	s_branch .LBB359_9
.LBB359_12:
	v_lshlrev_b32_e32 v1, 2, v0
	s_and_b64 vcc, exec, s[20:21]
	ds_write_b32 v1, v6
	s_waitcnt lgkmcnt(0)
	s_barrier
	s_cbranch_vccz .LBB359_24
; %bb.13:
	v_cmp_gt_u16_e32 vcc, 8, v7
	s_and_saveexec_b64 s[0:1], vcc
	s_cbranch_execz .LBB359_15
; %bb.14:
	ds_read2_b32 v[2:3], v1 offset1:16
	s_waitcnt lgkmcnt(0)
	v_add_f32_e32 v2, v3, v2
	ds_write_b32 v1, v2
.LBB359_15:
	s_or_b64 exec, exec, s[0:1]
	s_waitcnt lgkmcnt(0)
	s_barrier
	s_and_saveexec_b64 s[0:1], vcc
	s_cbranch_execz .LBB359_17
; %bb.16:
	ds_read2_b32 v[2:3], v1 offset1:8
	s_waitcnt lgkmcnt(0)
	v_add_f32_e32 v2, v3, v2
	ds_write_b32 v1, v2
.LBB359_17:
	s_or_b64 exec, exec, s[0:1]
	v_cmp_gt_u16_e32 vcc, 4, v7
	s_waitcnt lgkmcnt(0)
	s_barrier
	s_and_saveexec_b64 s[0:1], vcc
	s_cbranch_execz .LBB359_19
; %bb.18:
	ds_read2_b32 v[2:3], v1 offset1:4
	s_waitcnt lgkmcnt(0)
	v_add_f32_e32 v2, v3, v2
	ds_write_b32 v1, v2
.LBB359_19:
	s_or_b64 exec, exec, s[0:1]
	v_cmp_gt_u16_e32 vcc, 2, v7
	s_waitcnt lgkmcnt(0)
	s_barrier
	s_and_saveexec_b64 s[0:1], vcc
	s_cbranch_execz .LBB359_21
; %bb.20:
	ds_read2_b32 v[2:3], v1 offset1:2
	s_waitcnt lgkmcnt(0)
	v_add_f32_e32 v2, v3, v2
	ds_write_b32 v1, v2
.LBB359_21:
	s_or_b64 exec, exec, s[0:1]
	v_cmp_gt_u32_e32 vcc, 24, v0
	v_mov_b32_e32 v2, v6
	s_waitcnt lgkmcnt(0)
	s_barrier
	s_and_saveexec_b64 s[0:1], vcc
	s_cbranch_execz .LBB359_23
; %bb.22:
	s_movk_i32 s2, 0x5c
	v_mad_u32_u24 v2, v0, s2, v1
	ds_read_b64 v[2:3], v2
	s_waitcnt lgkmcnt(0)
	v_add_f32_e32 v2, v2, v3
.LBB359_23:
	s_or_b64 exec, exec, s[0:1]
	s_branch .LBB359_36
.LBB359_24:
                                        ; implicit-def: $vgpr2
	s_cbranch_execz .LBB359_36
; %bb.25:
	s_movk_i32 s0, 0xc0
	v_cmp_gt_u32_e32 vcc, s0, v0
	s_and_saveexec_b64 s[0:1], vcc
	s_cbranch_execz .LBB359_27
; %bb.26:
	ds_read2st64_b32 v[2:3], v1 offset1:6
	s_waitcnt lgkmcnt(0)
	v_add_f32_e32 v2, v3, v2
	ds_write_b32 v1, v2
.LBB359_27:
	s_or_b64 exec, exec, s[0:1]
	s_waitcnt lgkmcnt(0)
	s_barrier
	s_and_saveexec_b64 s[0:1], vcc
	s_cbranch_execz .LBB359_29
; %bb.28:
	ds_read2st64_b32 v[2:3], v1 offset1:3
	s_waitcnt lgkmcnt(0)
	v_add_f32_e32 v2, v3, v2
	ds_write_b32 v1, v2
.LBB359_29:
	s_or_b64 exec, exec, s[0:1]
	s_movk_i32 s0, 0x60
	v_cmp_gt_u32_e32 vcc, s0, v0
	s_waitcnt lgkmcnt(0)
	s_barrier
	s_and_saveexec_b64 s[0:1], vcc
	s_cbranch_execz .LBB359_31
; %bb.30:
	ds_read2_b32 v[2:3], v1 offset1:96
	s_waitcnt lgkmcnt(0)
	v_add_f32_e32 v2, v3, v2
	ds_write_b32 v1, v2
.LBB359_31:
	s_or_b64 exec, exec, s[0:1]
	v_cmp_gt_u32_e32 vcc, 48, v0
	s_waitcnt lgkmcnt(0)
	s_barrier
	s_and_saveexec_b64 s[0:1], vcc
	s_cbranch_execz .LBB359_33
; %bb.32:
	ds_read2_b32 v[2:3], v1 offset1:48
	s_waitcnt lgkmcnt(0)
	v_add_f32_e32 v2, v3, v2
	ds_write_b32 v1, v2
.LBB359_33:
	s_or_b64 exec, exec, s[0:1]
	v_cmp_gt_u32_e32 vcc, 24, v0
	s_waitcnt lgkmcnt(0)
	s_and_saveexec_b64 s[0:1], vcc
	s_cbranch_execz .LBB359_35
; %bb.34:
	ds_read2_b32 v[1:2], v1 offset1:24
	s_waitcnt lgkmcnt(0)
	v_add_f32_e32 v6, v1, v2
.LBB359_35:
	s_or_b64 exec, exec, s[0:1]
	v_mov_b32_e32 v2, v6
.LBB359_36:
	v_cmp_gt_u32_e32 vcc, 24, v0
	s_and_saveexec_b64 s[0:1], vcc
	s_cbranch_execz .LBB359_40
; %bb.37:
	v_cmp_eq_f32_e64 s[0:1], s12, 0
	s_and_b64 vcc, exec, s[0:1]
	v_mul_f32_e32 v1, s14, v2
	s_cbranch_vccz .LBB359_41
; %bb.38:
	v_mad_u64_u32 v[2:3], s[0:1], s6, 24, v[0:1]
	v_mov_b32_e32 v3, 0
	v_mov_b32_e32 v4, s17
	v_lshlrev_b64 v[2:3], 2, v[2:3]
	v_add_co_u32_e32 v2, vcc, s16, v2
	v_addc_co_u32_e32 v3, vcc, v4, v3, vcc
	global_store_dword v[2:3], v1, off
	s_cbranch_execnz .LBB359_40
.LBB359_39:
	v_mad_u64_u32 v[2:3], s[0:1], s6, 24, v[0:1]
	v_mov_b32_e32 v3, 0
	v_mov_b32_e32 v0, s17
	v_lshlrev_b64 v[2:3], 2, v[2:3]
	v_add_co_u32_e32 v2, vcc, s16, v2
	v_addc_co_u32_e32 v3, vcc, v0, v3, vcc
	global_load_dword v0, v[2:3], off
	s_waitcnt vmcnt(0)
	v_fmac_f32_e32 v1, s12, v0
	global_store_dword v[2:3], v1, off
.LBB359_40:
	s_endpgm
.LBB359_41:
	s_branch .LBB359_39
	.section	.rodata,"a",@progbits
	.p2align	6, 0x0
	.amdhsa_kernel _ZN9rocsparseL20bsrxmvn_17_32_kernelILj24Efli18rocsparse_bfloat16S1_fEEvT2_20rocsparse_direction_NS_24const_host_device_scalarIT0_EES2_PKS2_PKT1_SB_S8_PKT3_PKT4_S6_PT5_21rocsparse_index_base_b
		.amdhsa_group_segment_fixed_size 2304
		.amdhsa_private_segment_fixed_size 0
		.amdhsa_kernarg_size 96
		.amdhsa_user_sgpr_count 6
		.amdhsa_user_sgpr_private_segment_buffer 1
		.amdhsa_user_sgpr_dispatch_ptr 0
		.amdhsa_user_sgpr_queue_ptr 0
		.amdhsa_user_sgpr_kernarg_segment_ptr 1
		.amdhsa_user_sgpr_dispatch_id 0
		.amdhsa_user_sgpr_flat_scratch_init 0
		.amdhsa_user_sgpr_private_segment_size 0
		.amdhsa_uses_dynamic_stack 0
		.amdhsa_system_sgpr_private_segment_wavefront_offset 0
		.amdhsa_system_sgpr_workgroup_id_x 1
		.amdhsa_system_sgpr_workgroup_id_y 0
		.amdhsa_system_sgpr_workgroup_id_z 0
		.amdhsa_system_sgpr_workgroup_info 0
		.amdhsa_system_vgpr_workitem_id 0
		.amdhsa_next_free_vgpr 25
		.amdhsa_next_free_sgpr 61
		.amdhsa_reserve_vcc 1
		.amdhsa_reserve_flat_scratch 0
		.amdhsa_float_round_mode_32 0
		.amdhsa_float_round_mode_16_64 0
		.amdhsa_float_denorm_mode_32 3
		.amdhsa_float_denorm_mode_16_64 3
		.amdhsa_dx10_clamp 1
		.amdhsa_ieee_mode 1
		.amdhsa_fp16_overflow 0
		.amdhsa_exception_fp_ieee_invalid_op 0
		.amdhsa_exception_fp_denorm_src 0
		.amdhsa_exception_fp_ieee_div_zero 0
		.amdhsa_exception_fp_ieee_overflow 0
		.amdhsa_exception_fp_ieee_underflow 0
		.amdhsa_exception_fp_ieee_inexact 0
		.amdhsa_exception_int_div_zero 0
	.end_amdhsa_kernel
	.section	.text._ZN9rocsparseL20bsrxmvn_17_32_kernelILj24Efli18rocsparse_bfloat16S1_fEEvT2_20rocsparse_direction_NS_24const_host_device_scalarIT0_EES2_PKS2_PKT1_SB_S8_PKT3_PKT4_S6_PT5_21rocsparse_index_base_b,"axG",@progbits,_ZN9rocsparseL20bsrxmvn_17_32_kernelILj24Efli18rocsparse_bfloat16S1_fEEvT2_20rocsparse_direction_NS_24const_host_device_scalarIT0_EES2_PKS2_PKT1_SB_S8_PKT3_PKT4_S6_PT5_21rocsparse_index_base_b,comdat
.Lfunc_end359:
	.size	_ZN9rocsparseL20bsrxmvn_17_32_kernelILj24Efli18rocsparse_bfloat16S1_fEEvT2_20rocsparse_direction_NS_24const_host_device_scalarIT0_EES2_PKS2_PKT1_SB_S8_PKT3_PKT4_S6_PT5_21rocsparse_index_base_b, .Lfunc_end359-_ZN9rocsparseL20bsrxmvn_17_32_kernelILj24Efli18rocsparse_bfloat16S1_fEEvT2_20rocsparse_direction_NS_24const_host_device_scalarIT0_EES2_PKS2_PKT1_SB_S8_PKT3_PKT4_S6_PT5_21rocsparse_index_base_b
                                        ; -- End function
	.set _ZN9rocsparseL20bsrxmvn_17_32_kernelILj24Efli18rocsparse_bfloat16S1_fEEvT2_20rocsparse_direction_NS_24const_host_device_scalarIT0_EES2_PKS2_PKT1_SB_S8_PKT3_PKT4_S6_PT5_21rocsparse_index_base_b.num_vgpr, 13
	.set _ZN9rocsparseL20bsrxmvn_17_32_kernelILj24Efli18rocsparse_bfloat16S1_fEEvT2_20rocsparse_direction_NS_24const_host_device_scalarIT0_EES2_PKS2_PKT1_SB_S8_PKT3_PKT4_S6_PT5_21rocsparse_index_base_b.num_agpr, 0
	.set _ZN9rocsparseL20bsrxmvn_17_32_kernelILj24Efli18rocsparse_bfloat16S1_fEEvT2_20rocsparse_direction_NS_24const_host_device_scalarIT0_EES2_PKS2_PKT1_SB_S8_PKT3_PKT4_S6_PT5_21rocsparse_index_base_b.numbered_sgpr, 26
	.set _ZN9rocsparseL20bsrxmvn_17_32_kernelILj24Efli18rocsparse_bfloat16S1_fEEvT2_20rocsparse_direction_NS_24const_host_device_scalarIT0_EES2_PKS2_PKT1_SB_S8_PKT3_PKT4_S6_PT5_21rocsparse_index_base_b.num_named_barrier, 0
	.set _ZN9rocsparseL20bsrxmvn_17_32_kernelILj24Efli18rocsparse_bfloat16S1_fEEvT2_20rocsparse_direction_NS_24const_host_device_scalarIT0_EES2_PKS2_PKT1_SB_S8_PKT3_PKT4_S6_PT5_21rocsparse_index_base_b.private_seg_size, 0
	.set _ZN9rocsparseL20bsrxmvn_17_32_kernelILj24Efli18rocsparse_bfloat16S1_fEEvT2_20rocsparse_direction_NS_24const_host_device_scalarIT0_EES2_PKS2_PKT1_SB_S8_PKT3_PKT4_S6_PT5_21rocsparse_index_base_b.uses_vcc, 1
	.set _ZN9rocsparseL20bsrxmvn_17_32_kernelILj24Efli18rocsparse_bfloat16S1_fEEvT2_20rocsparse_direction_NS_24const_host_device_scalarIT0_EES2_PKS2_PKT1_SB_S8_PKT3_PKT4_S6_PT5_21rocsparse_index_base_b.uses_flat_scratch, 0
	.set _ZN9rocsparseL20bsrxmvn_17_32_kernelILj24Efli18rocsparse_bfloat16S1_fEEvT2_20rocsparse_direction_NS_24const_host_device_scalarIT0_EES2_PKS2_PKT1_SB_S8_PKT3_PKT4_S6_PT5_21rocsparse_index_base_b.has_dyn_sized_stack, 0
	.set _ZN9rocsparseL20bsrxmvn_17_32_kernelILj24Efli18rocsparse_bfloat16S1_fEEvT2_20rocsparse_direction_NS_24const_host_device_scalarIT0_EES2_PKS2_PKT1_SB_S8_PKT3_PKT4_S6_PT5_21rocsparse_index_base_b.has_recursion, 0
	.set _ZN9rocsparseL20bsrxmvn_17_32_kernelILj24Efli18rocsparse_bfloat16S1_fEEvT2_20rocsparse_direction_NS_24const_host_device_scalarIT0_EES2_PKS2_PKT1_SB_S8_PKT3_PKT4_S6_PT5_21rocsparse_index_base_b.has_indirect_call, 0
	.section	.AMDGPU.csdata,"",@progbits
; Kernel info:
; codeLenInByte = 1308
; TotalNumSgprs: 30
; NumVgprs: 13
; ScratchSize: 0
; MemoryBound: 0
; FloatMode: 240
; IeeeMode: 1
; LDSByteSize: 2304 bytes/workgroup (compile time only)
; SGPRBlocks: 8
; VGPRBlocks: 6
; NumSGPRsForWavesPerEU: 65
; NumVGPRsForWavesPerEU: 25
; Occupancy: 9
; WaveLimiterHint : 1
; COMPUTE_PGM_RSRC2:SCRATCH_EN: 0
; COMPUTE_PGM_RSRC2:USER_SGPR: 6
; COMPUTE_PGM_RSRC2:TRAP_HANDLER: 0
; COMPUTE_PGM_RSRC2:TGID_X_EN: 1
; COMPUTE_PGM_RSRC2:TGID_Y_EN: 0
; COMPUTE_PGM_RSRC2:TGID_Z_EN: 0
; COMPUTE_PGM_RSRC2:TIDIG_COMP_CNT: 0
	.section	.text._ZN9rocsparseL20bsrxmvn_17_32_kernelILj25Efli18rocsparse_bfloat16S1_fEEvT2_20rocsparse_direction_NS_24const_host_device_scalarIT0_EES2_PKS2_PKT1_SB_S8_PKT3_PKT4_S6_PT5_21rocsparse_index_base_b,"axG",@progbits,_ZN9rocsparseL20bsrxmvn_17_32_kernelILj25Efli18rocsparse_bfloat16S1_fEEvT2_20rocsparse_direction_NS_24const_host_device_scalarIT0_EES2_PKS2_PKT1_SB_S8_PKT3_PKT4_S6_PT5_21rocsparse_index_base_b,comdat
	.globl	_ZN9rocsparseL20bsrxmvn_17_32_kernelILj25Efli18rocsparse_bfloat16S1_fEEvT2_20rocsparse_direction_NS_24const_host_device_scalarIT0_EES2_PKS2_PKT1_SB_S8_PKT3_PKT4_S6_PT5_21rocsparse_index_base_b ; -- Begin function _ZN9rocsparseL20bsrxmvn_17_32_kernelILj25Efli18rocsparse_bfloat16S1_fEEvT2_20rocsparse_direction_NS_24const_host_device_scalarIT0_EES2_PKS2_PKT1_SB_S8_PKT3_PKT4_S6_PT5_21rocsparse_index_base_b
	.p2align	8
	.type	_ZN9rocsparseL20bsrxmvn_17_32_kernelILj25Efli18rocsparse_bfloat16S1_fEEvT2_20rocsparse_direction_NS_24const_host_device_scalarIT0_EES2_PKS2_PKT1_SB_S8_PKT3_PKT4_S6_PT5_21rocsparse_index_base_b,@function
_ZN9rocsparseL20bsrxmvn_17_32_kernelILj25Efli18rocsparse_bfloat16S1_fEEvT2_20rocsparse_direction_NS_24const_host_device_scalarIT0_EES2_PKS2_PKT1_SB_S8_PKT3_PKT4_S6_PT5_21rocsparse_index_base_b: ; @_ZN9rocsparseL20bsrxmvn_17_32_kernelILj25Efli18rocsparse_bfloat16S1_fEEvT2_20rocsparse_direction_NS_24const_host_device_scalarIT0_EES2_PKS2_PKT1_SB_S8_PKT3_PKT4_S6_PT5_21rocsparse_index_base_b
; %bb.0:
	s_load_dwordx2 s[18:19], s[4:5], 0x58
	s_load_dwordx2 s[14:15], s[4:5], 0x8
	;; [unrolled: 1-line block ×3, first 2 shown]
	s_waitcnt lgkmcnt(0)
	s_bitcmp1_b32 s19, 0
	s_cselect_b64 s[2:3], -1, 0
	s_xor_b64 s[0:1], s[2:3], -1
	s_and_b64 vcc, exec, s[2:3]
	s_cbranch_vccnz .LBB360_2
; %bb.1:
	s_load_dword s14, s[14:15], 0x0
.LBB360_2:
	s_andn2_b64 vcc, exec, s[0:1]
	s_cbranch_vccnz .LBB360_4
; %bb.3:
	s_load_dword s12, s[12:13], 0x0
.LBB360_4:
	s_waitcnt lgkmcnt(0)
	v_cmp_neq_f32_e64 s[0:1], s14, 0
	v_cmp_neq_f32_e64 s[2:3], s12, 1.0
	s_or_b64 s[0:1], s[0:1], s[2:3]
	s_andn2_b64 vcc, exec, s[0:1]
	s_cbranch_vccnz .LBB360_40
; %bb.5:
	s_load_dwordx4 s[0:3], s[4:5], 0x18
	s_load_dwordx2 s[8:9], s[4:5], 0x28
	s_waitcnt lgkmcnt(0)
	s_cmp_eq_u64 s[0:1], 0
	s_cbranch_scc1 .LBB360_7
; %bb.6:
	s_ashr_i32 s7, s6, 31
	s_lshl_b64 s[6:7], s[6:7], 2
	s_add_u32 s0, s0, s6
	s_addc_u32 s1, s1, s7
	s_load_dword s0, s[0:1], 0x0
	s_waitcnt lgkmcnt(0)
	s_sub_i32 s6, s0, s18
.LBB360_7:
	s_load_dword s7, s[4:5], 0x4
	s_load_dwordx2 s[16:17], s[4:5], 0x50
	v_mul_u32_u24_e32 v1, 0xa3e, v0
	v_mov_b32_e32 v2, 25
	v_mul_lo_u16_sdwa v2, v1, v2 dst_sel:DWORD dst_unused:UNUSED_PAD src0_sel:WORD_1 src1_sel:DWORD
	s_waitcnt lgkmcnt(0)
	s_cmp_eq_u32 s7, 1
	s_cselect_b64 s[0:1], -1, 0
	s_cmp_lg_u32 s7, 1
	s_cselect_b64 s[20:21], -1, 0
	s_ashr_i32 s7, s6, 31
	s_lshl_b64 s[10:11], s[6:7], 3
	s_add_u32 s2, s2, s10
	s_addc_u32 s3, s3, s11
	s_add_u32 s7, s2, 8
	s_addc_u32 s13, s3, 0
	;; [unrolled: 2-line block ×3, first 2 shown]
	s_cmp_eq_u64 s[8:9], 0
	s_cselect_b32 s9, s13, s11
	s_cselect_b32 s8, s7, s10
	s_load_dwordx2 s[22:23], s[8:9], 0x0
	s_load_dwordx2 s[24:25], s[2:3], 0x0
	v_sub_u16_e32 v9, v0, v2
	v_mov_b32_e32 v8, 0
	s_waitcnt lgkmcnt(0)
	v_mov_b32_e32 v2, s22
	v_mov_b32_e32 v3, s23
	v_cmp_ge_i64_e32 vcc, s[24:25], v[2:3]
	s_cbranch_vccnz .LBB360_12
; %bb.8:
	s_load_dwordx4 s[8:11], s[4:5], 0x30
	s_load_dwordx2 s[2:3], s[4:5], 0x40
	s_sub_u32 s4, s22, s18
	s_mov_b32 s7, 0xffff
	s_subb_u32 s5, s23, 0
	s_movk_i32 s13, 0x271
	v_and_b32_sdwa v1, s7, v1 dst_sel:DWORD dst_unused:UNUSED_PAD src0_sel:DWORD src1_sel:WORD_1
	v_subrev_u32_e32 v2, 25, v1
	v_cmp_gt_u32_e32 vcc, s13, v0
	s_sub_u32 s22, s24, s18
	v_cndmask_b32_e32 v1, v2, v1, vcc
	s_subb_u32 s23, s25, 0
	v_cndmask_b32_e64 v1, v9, v1, s[0:1]
	s_mul_i32 s0, s23, 0x4e2
	s_mul_hi_u32 s1, s22, 0x4e2
	s_add_i32 s1, s1, s0
	s_mul_i32 s0, s22, 0x4e2
	s_waitcnt lgkmcnt(0)
	s_add_u32 s0, s10, s0
	s_addc_u32 s1, s11, s1
	v_lshlrev_b32_e32 v2, 1, v0
	v_mov_b32_e32 v3, s1
	v_add_co_u32_e32 v2, vcc, s0, v2
	v_addc_co_u32_e32 v3, vcc, 0, v3, vcc
	s_movk_i32 s0, 0x270
	v_cmp_lt_u32_e32 vcc, s0, v0
	v_cndmask_b32_e64 v10, 0, 1, vcc
	v_mov_b32_e32 v4, s25
	v_add_co_u32_e32 v5, vcc, s24, v10
	v_addc_co_u32_e32 v6, vcc, 0, v4, vcc
	v_subrev_co_u32_e32 v4, vcc, s18, v5
	v_subbrev_co_u32_e32 v5, vcc, 0, v6, vcc
	v_lshlrev_b64 v[4:5], 2, v[4:5]
	v_mov_b32_e32 v6, s9
	v_add_co_u32_e32 v4, vcc, s8, v4
	v_addc_co_u32_e32 v5, vcc, v6, v5, vcc
	v_mov_b32_e32 v7, s5
	v_mov_b32_e32 v8, 0
	;; [unrolled: 1-line block ×3, first 2 shown]
	s_branch .LBB360_10
.LBB360_9:                              ;   in Loop: Header=BB360_10 Depth=1
	s_or_b64 exec, exec, s[0:1]
	s_add_u32 s22, s22, 1
	s_addc_u32 s23, s23, 0
	v_cmp_lt_i64_e32 vcc, s[22:23], v[6:7]
	v_add_co_u32_e64 v4, s[0:1], 4, v4
	v_addc_co_u32_e64 v5, s[0:1], 0, v5, s[0:1]
	s_cbranch_vccz .LBB360_12
.LBB360_10:                             ; =>This Inner Loop Header: Depth=1
	v_mov_b32_e32 v12, s23
	v_add_co_u32_e32 v11, vcc, s22, v10
	v_addc_co_u32_e32 v12, vcc, 0, v12, vcc
	v_cmp_gt_i64_e32 vcc, s[4:5], v[11:12]
	s_and_saveexec_b64 s[0:1], vcc
	s_cbranch_execz .LBB360_9
; %bb.11:                               ;   in Loop: Header=BB360_10 Depth=1
	global_load_dword v11, v[4:5], off
	v_mov_b32_e32 v14, s3
	global_load_ushort v13, v[2:3], off
	s_waitcnt vmcnt(1)
	v_subrev_u32_e32 v11, s18, v11
	v_mad_u64_u32 v[11:12], s[8:9], v11, 25, v[1:2]
	v_ashrrev_i32_e32 v12, 31, v11
	v_lshlrev_b64 v[11:12], 1, v[11:12]
	v_add_co_u32_e32 v11, vcc, s2, v11
	v_addc_co_u32_e32 v12, vcc, v14, v12, vcc
	global_load_ushort v11, v[11:12], off
	v_add_co_u32_e32 v2, vcc, 0x4e2, v2
	s_waitcnt vmcnt(1)
	v_lshlrev_b32_e32 v12, 16, v13
	v_addc_co_u32_e32 v3, vcc, 0, v3, vcc
	s_waitcnt vmcnt(0)
	v_lshlrev_b32_e32 v11, 16, v11
	v_fmac_f32_e32 v8, v12, v11
	s_branch .LBB360_9
.LBB360_12:
	v_lshlrev_b32_e32 v1, 2, v0
	s_and_b64 vcc, exec, s[20:21]
	ds_write_b32 v1, v8
	s_waitcnt lgkmcnt(0)
	s_barrier
	s_cbranch_vccz .LBB360_24
; %bb.13:
	v_cmp_gt_u16_e32 vcc, 9, v9
	s_and_saveexec_b64 s[0:1], vcc
	s_cbranch_execz .LBB360_15
; %bb.14:
	ds_read2_b32 v[2:3], v1 offset1:16
	s_waitcnt lgkmcnt(0)
	v_add_f32_e32 v2, v3, v2
	ds_write_b32 v1, v2
.LBB360_15:
	s_or_b64 exec, exec, s[0:1]
	v_cmp_gt_u16_e32 vcc, 8, v9
	s_waitcnt lgkmcnt(0)
	s_barrier
	s_and_saveexec_b64 s[0:1], vcc
	s_cbranch_execz .LBB360_17
; %bb.16:
	ds_read2_b32 v[2:3], v1 offset1:8
	s_waitcnt lgkmcnt(0)
	v_add_f32_e32 v2, v3, v2
	ds_write_b32 v1, v2
.LBB360_17:
	s_or_b64 exec, exec, s[0:1]
	v_cmp_gt_u16_e32 vcc, 4, v9
	s_waitcnt lgkmcnt(0)
	s_barrier
	;; [unrolled: 12-line block ×3, first 2 shown]
	s_and_saveexec_b64 s[0:1], vcc
	s_cbranch_execz .LBB360_21
; %bb.20:
	ds_read2_b32 v[2:3], v1 offset1:2
	s_waitcnt lgkmcnt(0)
	v_add_f32_e32 v2, v3, v2
	ds_write_b32 v1, v2
.LBB360_21:
	s_or_b64 exec, exec, s[0:1]
	v_cmp_gt_u32_e32 vcc, 25, v0
	v_mov_b32_e32 v2, v8
	s_waitcnt lgkmcnt(0)
	s_barrier
	s_and_saveexec_b64 s[0:1], vcc
	s_cbranch_execz .LBB360_23
; %bb.22:
	s_movk_i32 s2, 0x60
	v_mad_u32_u24 v2, v0, s2, v1
	ds_read2_b32 v[2:3], v2 offset1:1
	s_waitcnt lgkmcnt(0)
	v_add_f32_e32 v2, v2, v3
.LBB360_23:
	s_or_b64 exec, exec, s[0:1]
	s_branch .LBB360_36
.LBB360_24:
                                        ; implicit-def: $vgpr2
	s_cbranch_execz .LBB360_36
; %bb.25:
	s_movk_i32 s0, 0xe1
	v_cmp_gt_u32_e32 vcc, s0, v0
	s_and_saveexec_b64 s[0:1], vcc
	s_cbranch_execz .LBB360_27
; %bb.26:
	ds_read_b32 v2, v1 offset:1600
	ds_read_b32 v3, v1
	s_waitcnt lgkmcnt(0)
	v_add_f32_e32 v2, v2, v3
	ds_write_b32 v1, v2
.LBB360_27:
	s_or_b64 exec, exec, s[0:1]
	s_movk_i32 s0, 0xc8
	v_cmp_gt_u32_e32 vcc, s0, v0
	s_waitcnt lgkmcnt(0)
	s_barrier
	s_and_saveexec_b64 s[0:1], vcc
	s_cbranch_execz .LBB360_29
; %bb.28:
	ds_read2_b32 v[2:3], v1 offset1:200
	s_waitcnt lgkmcnt(0)
	v_add_f32_e32 v2, v3, v2
	ds_write_b32 v1, v2
.LBB360_29:
	s_or_b64 exec, exec, s[0:1]
	s_movk_i32 s0, 0x64
	v_cmp_gt_u32_e32 vcc, s0, v0
	s_waitcnt lgkmcnt(0)
	s_barrier
	s_and_saveexec_b64 s[0:1], vcc
	s_cbranch_execz .LBB360_31
; %bb.30:
	ds_read2_b32 v[2:3], v1 offset1:100
	s_waitcnt lgkmcnt(0)
	v_add_f32_e32 v2, v3, v2
	ds_write_b32 v1, v2
.LBB360_31:
	s_or_b64 exec, exec, s[0:1]
	v_cmp_gt_u32_e32 vcc, 50, v0
	s_waitcnt lgkmcnt(0)
	s_barrier
	s_and_saveexec_b64 s[0:1], vcc
	s_cbranch_execz .LBB360_33
; %bb.32:
	ds_read2_b32 v[2:3], v1 offset1:50
	s_waitcnt lgkmcnt(0)
	v_add_f32_e32 v2, v3, v2
	ds_write_b32 v1, v2
.LBB360_33:
	s_or_b64 exec, exec, s[0:1]
	v_cmp_gt_u32_e32 vcc, 25, v0
	s_waitcnt lgkmcnt(0)
	s_and_saveexec_b64 s[0:1], vcc
	s_cbranch_execz .LBB360_35
; %bb.34:
	ds_read2_b32 v[1:2], v1 offset1:25
	s_waitcnt lgkmcnt(0)
	v_add_f32_e32 v8, v1, v2
.LBB360_35:
	s_or_b64 exec, exec, s[0:1]
	v_mov_b32_e32 v2, v8
.LBB360_36:
	v_cmp_gt_u32_e32 vcc, 25, v0
	s_and_saveexec_b64 s[0:1], vcc
	s_cbranch_execz .LBB360_40
; %bb.37:
	v_cmp_eq_f32_e64 s[0:1], s12, 0
	s_and_b64 vcc, exec, s[0:1]
	v_mul_f32_e32 v1, s14, v2
	s_cbranch_vccz .LBB360_41
; %bb.38:
	v_mad_u64_u32 v[2:3], s[0:1], s6, 25, v[0:1]
	v_mov_b32_e32 v3, 0
	v_mov_b32_e32 v4, s17
	v_lshlrev_b64 v[2:3], 2, v[2:3]
	v_add_co_u32_e32 v2, vcc, s16, v2
	v_addc_co_u32_e32 v3, vcc, v4, v3, vcc
	global_store_dword v[2:3], v1, off
	s_cbranch_execnz .LBB360_40
.LBB360_39:
	v_mad_u64_u32 v[2:3], s[0:1], s6, 25, v[0:1]
	v_mov_b32_e32 v3, 0
	v_mov_b32_e32 v0, s17
	v_lshlrev_b64 v[2:3], 2, v[2:3]
	v_add_co_u32_e32 v2, vcc, s16, v2
	v_addc_co_u32_e32 v3, vcc, v0, v3, vcc
	global_load_dword v0, v[2:3], off
	s_waitcnt vmcnt(0)
	v_fmac_f32_e32 v1, s12, v0
	global_store_dword v[2:3], v1, off
.LBB360_40:
	s_endpgm
.LBB360_41:
	s_branch .LBB360_39
	.section	.rodata,"a",@progbits
	.p2align	6, 0x0
	.amdhsa_kernel _ZN9rocsparseL20bsrxmvn_17_32_kernelILj25Efli18rocsparse_bfloat16S1_fEEvT2_20rocsparse_direction_NS_24const_host_device_scalarIT0_EES2_PKS2_PKT1_SB_S8_PKT3_PKT4_S6_PT5_21rocsparse_index_base_b
		.amdhsa_group_segment_fixed_size 2500
		.amdhsa_private_segment_fixed_size 0
		.amdhsa_kernarg_size 96
		.amdhsa_user_sgpr_count 6
		.amdhsa_user_sgpr_private_segment_buffer 1
		.amdhsa_user_sgpr_dispatch_ptr 0
		.amdhsa_user_sgpr_queue_ptr 0
		.amdhsa_user_sgpr_kernarg_segment_ptr 1
		.amdhsa_user_sgpr_dispatch_id 0
		.amdhsa_user_sgpr_flat_scratch_init 0
		.amdhsa_user_sgpr_private_segment_size 0
		.amdhsa_uses_dynamic_stack 0
		.amdhsa_system_sgpr_private_segment_wavefront_offset 0
		.amdhsa_system_sgpr_workgroup_id_x 1
		.amdhsa_system_sgpr_workgroup_id_y 0
		.amdhsa_system_sgpr_workgroup_id_z 0
		.amdhsa_system_sgpr_workgroup_info 0
		.amdhsa_system_vgpr_workitem_id 0
		.amdhsa_next_free_vgpr 15
		.amdhsa_next_free_sgpr 26
		.amdhsa_reserve_vcc 1
		.amdhsa_reserve_flat_scratch 0
		.amdhsa_float_round_mode_32 0
		.amdhsa_float_round_mode_16_64 0
		.amdhsa_float_denorm_mode_32 3
		.amdhsa_float_denorm_mode_16_64 3
		.amdhsa_dx10_clamp 1
		.amdhsa_ieee_mode 1
		.amdhsa_fp16_overflow 0
		.amdhsa_exception_fp_ieee_invalid_op 0
		.amdhsa_exception_fp_denorm_src 0
		.amdhsa_exception_fp_ieee_div_zero 0
		.amdhsa_exception_fp_ieee_overflow 0
		.amdhsa_exception_fp_ieee_underflow 0
		.amdhsa_exception_fp_ieee_inexact 0
		.amdhsa_exception_int_div_zero 0
	.end_amdhsa_kernel
	.section	.text._ZN9rocsparseL20bsrxmvn_17_32_kernelILj25Efli18rocsparse_bfloat16S1_fEEvT2_20rocsparse_direction_NS_24const_host_device_scalarIT0_EES2_PKS2_PKT1_SB_S8_PKT3_PKT4_S6_PT5_21rocsparse_index_base_b,"axG",@progbits,_ZN9rocsparseL20bsrxmvn_17_32_kernelILj25Efli18rocsparse_bfloat16S1_fEEvT2_20rocsparse_direction_NS_24const_host_device_scalarIT0_EES2_PKS2_PKT1_SB_S8_PKT3_PKT4_S6_PT5_21rocsparse_index_base_b,comdat
.Lfunc_end360:
	.size	_ZN9rocsparseL20bsrxmvn_17_32_kernelILj25Efli18rocsparse_bfloat16S1_fEEvT2_20rocsparse_direction_NS_24const_host_device_scalarIT0_EES2_PKS2_PKT1_SB_S8_PKT3_PKT4_S6_PT5_21rocsparse_index_base_b, .Lfunc_end360-_ZN9rocsparseL20bsrxmvn_17_32_kernelILj25Efli18rocsparse_bfloat16S1_fEEvT2_20rocsparse_direction_NS_24const_host_device_scalarIT0_EES2_PKS2_PKT1_SB_S8_PKT3_PKT4_S6_PT5_21rocsparse_index_base_b
                                        ; -- End function
	.set _ZN9rocsparseL20bsrxmvn_17_32_kernelILj25Efli18rocsparse_bfloat16S1_fEEvT2_20rocsparse_direction_NS_24const_host_device_scalarIT0_EES2_PKS2_PKT1_SB_S8_PKT3_PKT4_S6_PT5_21rocsparse_index_base_b.num_vgpr, 15
	.set _ZN9rocsparseL20bsrxmvn_17_32_kernelILj25Efli18rocsparse_bfloat16S1_fEEvT2_20rocsparse_direction_NS_24const_host_device_scalarIT0_EES2_PKS2_PKT1_SB_S8_PKT3_PKT4_S6_PT5_21rocsparse_index_base_b.num_agpr, 0
	.set _ZN9rocsparseL20bsrxmvn_17_32_kernelILj25Efli18rocsparse_bfloat16S1_fEEvT2_20rocsparse_direction_NS_24const_host_device_scalarIT0_EES2_PKS2_PKT1_SB_S8_PKT3_PKT4_S6_PT5_21rocsparse_index_base_b.numbered_sgpr, 26
	.set _ZN9rocsparseL20bsrxmvn_17_32_kernelILj25Efli18rocsparse_bfloat16S1_fEEvT2_20rocsparse_direction_NS_24const_host_device_scalarIT0_EES2_PKS2_PKT1_SB_S8_PKT3_PKT4_S6_PT5_21rocsparse_index_base_b.num_named_barrier, 0
	.set _ZN9rocsparseL20bsrxmvn_17_32_kernelILj25Efli18rocsparse_bfloat16S1_fEEvT2_20rocsparse_direction_NS_24const_host_device_scalarIT0_EES2_PKS2_PKT1_SB_S8_PKT3_PKT4_S6_PT5_21rocsparse_index_base_b.private_seg_size, 0
	.set _ZN9rocsparseL20bsrxmvn_17_32_kernelILj25Efli18rocsparse_bfloat16S1_fEEvT2_20rocsparse_direction_NS_24const_host_device_scalarIT0_EES2_PKS2_PKT1_SB_S8_PKT3_PKT4_S6_PT5_21rocsparse_index_base_b.uses_vcc, 1
	.set _ZN9rocsparseL20bsrxmvn_17_32_kernelILj25Efli18rocsparse_bfloat16S1_fEEvT2_20rocsparse_direction_NS_24const_host_device_scalarIT0_EES2_PKS2_PKT1_SB_S8_PKT3_PKT4_S6_PT5_21rocsparse_index_base_b.uses_flat_scratch, 0
	.set _ZN9rocsparseL20bsrxmvn_17_32_kernelILj25Efli18rocsparse_bfloat16S1_fEEvT2_20rocsparse_direction_NS_24const_host_device_scalarIT0_EES2_PKS2_PKT1_SB_S8_PKT3_PKT4_S6_PT5_21rocsparse_index_base_b.has_dyn_sized_stack, 0
	.set _ZN9rocsparseL20bsrxmvn_17_32_kernelILj25Efli18rocsparse_bfloat16S1_fEEvT2_20rocsparse_direction_NS_24const_host_device_scalarIT0_EES2_PKS2_PKT1_SB_S8_PKT3_PKT4_S6_PT5_21rocsparse_index_base_b.has_recursion, 0
	.set _ZN9rocsparseL20bsrxmvn_17_32_kernelILj25Efli18rocsparse_bfloat16S1_fEEvT2_20rocsparse_direction_NS_24const_host_device_scalarIT0_EES2_PKS2_PKT1_SB_S8_PKT3_PKT4_S6_PT5_21rocsparse_index_base_b.has_indirect_call, 0
	.section	.AMDGPU.csdata,"",@progbits
; Kernel info:
; codeLenInByte = 1328
; TotalNumSgprs: 30
; NumVgprs: 15
; ScratchSize: 0
; MemoryBound: 0
; FloatMode: 240
; IeeeMode: 1
; LDSByteSize: 2500 bytes/workgroup (compile time only)
; SGPRBlocks: 3
; VGPRBlocks: 3
; NumSGPRsForWavesPerEU: 30
; NumVGPRsForWavesPerEU: 15
; Occupancy: 10
; WaveLimiterHint : 1
; COMPUTE_PGM_RSRC2:SCRATCH_EN: 0
; COMPUTE_PGM_RSRC2:USER_SGPR: 6
; COMPUTE_PGM_RSRC2:TRAP_HANDLER: 0
; COMPUTE_PGM_RSRC2:TGID_X_EN: 1
; COMPUTE_PGM_RSRC2:TGID_Y_EN: 0
; COMPUTE_PGM_RSRC2:TGID_Z_EN: 0
; COMPUTE_PGM_RSRC2:TIDIG_COMP_CNT: 0
	.section	.text._ZN9rocsparseL20bsrxmvn_17_32_kernelILj26Efli18rocsparse_bfloat16S1_fEEvT2_20rocsparse_direction_NS_24const_host_device_scalarIT0_EES2_PKS2_PKT1_SB_S8_PKT3_PKT4_S6_PT5_21rocsparse_index_base_b,"axG",@progbits,_ZN9rocsparseL20bsrxmvn_17_32_kernelILj26Efli18rocsparse_bfloat16S1_fEEvT2_20rocsparse_direction_NS_24const_host_device_scalarIT0_EES2_PKS2_PKT1_SB_S8_PKT3_PKT4_S6_PT5_21rocsparse_index_base_b,comdat
	.globl	_ZN9rocsparseL20bsrxmvn_17_32_kernelILj26Efli18rocsparse_bfloat16S1_fEEvT2_20rocsparse_direction_NS_24const_host_device_scalarIT0_EES2_PKS2_PKT1_SB_S8_PKT3_PKT4_S6_PT5_21rocsparse_index_base_b ; -- Begin function _ZN9rocsparseL20bsrxmvn_17_32_kernelILj26Efli18rocsparse_bfloat16S1_fEEvT2_20rocsparse_direction_NS_24const_host_device_scalarIT0_EES2_PKS2_PKT1_SB_S8_PKT3_PKT4_S6_PT5_21rocsparse_index_base_b
	.p2align	8
	.type	_ZN9rocsparseL20bsrxmvn_17_32_kernelILj26Efli18rocsparse_bfloat16S1_fEEvT2_20rocsparse_direction_NS_24const_host_device_scalarIT0_EES2_PKS2_PKT1_SB_S8_PKT3_PKT4_S6_PT5_21rocsparse_index_base_b,@function
_ZN9rocsparseL20bsrxmvn_17_32_kernelILj26Efli18rocsparse_bfloat16S1_fEEvT2_20rocsparse_direction_NS_24const_host_device_scalarIT0_EES2_PKS2_PKT1_SB_S8_PKT3_PKT4_S6_PT5_21rocsparse_index_base_b: ; @_ZN9rocsparseL20bsrxmvn_17_32_kernelILj26Efli18rocsparse_bfloat16S1_fEEvT2_20rocsparse_direction_NS_24const_host_device_scalarIT0_EES2_PKS2_PKT1_SB_S8_PKT3_PKT4_S6_PT5_21rocsparse_index_base_b
; %bb.0:
	s_load_dwordx2 s[18:19], s[4:5], 0x58
	s_load_dwordx2 s[14:15], s[4:5], 0x8
	;; [unrolled: 1-line block ×3, first 2 shown]
	s_waitcnt lgkmcnt(0)
	s_bitcmp1_b32 s19, 0
	s_cselect_b64 s[2:3], -1, 0
	s_xor_b64 s[0:1], s[2:3], -1
	s_and_b64 vcc, exec, s[2:3]
	s_cbranch_vccnz .LBB361_2
; %bb.1:
	s_load_dword s14, s[14:15], 0x0
.LBB361_2:
	s_andn2_b64 vcc, exec, s[0:1]
	s_cbranch_vccnz .LBB361_4
; %bb.3:
	s_load_dword s12, s[12:13], 0x0
.LBB361_4:
	s_waitcnt lgkmcnt(0)
	v_cmp_neq_f32_e64 s[0:1], s14, 0
	v_cmp_neq_f32_e64 s[2:3], s12, 1.0
	s_or_b64 s[0:1], s[0:1], s[2:3]
	s_andn2_b64 vcc, exec, s[0:1]
	s_cbranch_vccnz .LBB361_40
; %bb.5:
	s_load_dwordx4 s[0:3], s[4:5], 0x18
	s_load_dwordx2 s[8:9], s[4:5], 0x28
	s_waitcnt lgkmcnt(0)
	s_cmp_eq_u64 s[0:1], 0
	s_cbranch_scc1 .LBB361_7
; %bb.6:
	s_ashr_i32 s7, s6, 31
	s_lshl_b64 s[6:7], s[6:7], 2
	s_add_u32 s0, s0, s6
	s_addc_u32 s1, s1, s7
	s_load_dword s0, s[0:1], 0x0
	s_waitcnt lgkmcnt(0)
	s_sub_i32 s6, s0, s18
.LBB361_7:
	s_load_dword s7, s[4:5], 0x4
	s_load_dwordx2 s[16:17], s[4:5], 0x50
	v_mul_u32_u24_e32 v1, 0x9d9, v0
	v_mov_b32_e32 v2, 26
	v_mul_lo_u16_sdwa v2, v1, v2 dst_sel:DWORD dst_unused:UNUSED_PAD src0_sel:WORD_1 src1_sel:DWORD
	s_waitcnt lgkmcnt(0)
	s_cmp_eq_u32 s7, 1
	s_cselect_b64 s[0:1], -1, 0
	s_cmp_lg_u32 s7, 1
	s_cselect_b64 s[20:21], -1, 0
	s_ashr_i32 s7, s6, 31
	s_lshl_b64 s[10:11], s[6:7], 3
	s_add_u32 s2, s2, s10
	s_addc_u32 s3, s3, s11
	s_add_u32 s7, s2, 8
	s_addc_u32 s13, s3, 0
	;; [unrolled: 2-line block ×3, first 2 shown]
	s_cmp_eq_u64 s[8:9], 0
	s_cselect_b32 s9, s13, s11
	s_cselect_b32 s8, s7, s10
	s_load_dwordx2 s[22:23], s[8:9], 0x0
	s_load_dwordx2 s[24:25], s[2:3], 0x0
	v_sub_u16_e32 v9, v0, v2
	v_mov_b32_e32 v8, 0
	s_waitcnt lgkmcnt(0)
	v_mov_b32_e32 v2, s22
	v_mov_b32_e32 v3, s23
	v_cmp_ge_i64_e32 vcc, s[24:25], v[2:3]
	s_cbranch_vccnz .LBB361_12
; %bb.8:
	s_load_dwordx4 s[8:11], s[4:5], 0x30
	s_load_dwordx2 s[2:3], s[4:5], 0x40
	s_sub_u32 s4, s22, s18
	s_mov_b32 s7, 0xffff
	s_subb_u32 s5, s23, 0
	s_movk_i32 s13, 0x2a4
	v_and_b32_sdwa v1, s7, v1 dst_sel:DWORD dst_unused:UNUSED_PAD src0_sel:DWORD src1_sel:WORD_1
	v_subrev_u32_e32 v2, 26, v1
	v_cmp_gt_u32_e32 vcc, s13, v0
	s_sub_u32 s22, s24, s18
	v_cndmask_b32_e32 v1, v2, v1, vcc
	s_subb_u32 s23, s25, 0
	v_cndmask_b32_e64 v1, v9, v1, s[0:1]
	s_mul_i32 s0, s23, 0x548
	s_mul_hi_u32 s1, s22, 0x548
	s_add_i32 s1, s1, s0
	s_mul_i32 s0, s22, 0x548
	s_waitcnt lgkmcnt(0)
	s_add_u32 s0, s10, s0
	s_addc_u32 s1, s11, s1
	v_lshlrev_b32_e32 v2, 1, v0
	v_mov_b32_e32 v3, s1
	v_add_co_u32_e32 v2, vcc, s0, v2
	v_addc_co_u32_e32 v3, vcc, 0, v3, vcc
	s_movk_i32 s0, 0x2a3
	v_cmp_lt_u32_e32 vcc, s0, v0
	v_cndmask_b32_e64 v10, 0, 1, vcc
	v_mov_b32_e32 v4, s25
	v_add_co_u32_e32 v5, vcc, s24, v10
	v_addc_co_u32_e32 v6, vcc, 0, v4, vcc
	v_subrev_co_u32_e32 v4, vcc, s18, v5
	v_subbrev_co_u32_e32 v5, vcc, 0, v6, vcc
	v_lshlrev_b64 v[4:5], 2, v[4:5]
	v_mov_b32_e32 v6, s9
	v_add_co_u32_e32 v4, vcc, s8, v4
	v_addc_co_u32_e32 v5, vcc, v6, v5, vcc
	v_mov_b32_e32 v7, s5
	v_mov_b32_e32 v8, 0
	;; [unrolled: 1-line block ×3, first 2 shown]
	s_branch .LBB361_10
.LBB361_9:                              ;   in Loop: Header=BB361_10 Depth=1
	s_or_b64 exec, exec, s[0:1]
	s_add_u32 s22, s22, 1
	s_addc_u32 s23, s23, 0
	v_cmp_lt_i64_e32 vcc, s[22:23], v[6:7]
	v_add_co_u32_e64 v4, s[0:1], 4, v4
	v_addc_co_u32_e64 v5, s[0:1], 0, v5, s[0:1]
	s_cbranch_vccz .LBB361_12
.LBB361_10:                             ; =>This Inner Loop Header: Depth=1
	v_mov_b32_e32 v12, s23
	v_add_co_u32_e32 v11, vcc, s22, v10
	v_addc_co_u32_e32 v12, vcc, 0, v12, vcc
	v_cmp_gt_i64_e32 vcc, s[4:5], v[11:12]
	s_and_saveexec_b64 s[0:1], vcc
	s_cbranch_execz .LBB361_9
; %bb.11:                               ;   in Loop: Header=BB361_10 Depth=1
	global_load_dword v11, v[4:5], off
	v_mov_b32_e32 v14, s3
	global_load_ushort v13, v[2:3], off
	s_waitcnt vmcnt(1)
	v_subrev_u32_e32 v11, s18, v11
	v_mad_u64_u32 v[11:12], s[8:9], v11, 26, v[1:2]
	v_ashrrev_i32_e32 v12, 31, v11
	v_lshlrev_b64 v[11:12], 1, v[11:12]
	v_add_co_u32_e32 v11, vcc, s2, v11
	v_addc_co_u32_e32 v12, vcc, v14, v12, vcc
	global_load_ushort v11, v[11:12], off
	v_add_co_u32_e32 v2, vcc, 0x548, v2
	s_waitcnt vmcnt(1)
	v_lshlrev_b32_e32 v12, 16, v13
	v_addc_co_u32_e32 v3, vcc, 0, v3, vcc
	s_waitcnt vmcnt(0)
	v_lshlrev_b32_e32 v11, 16, v11
	v_fmac_f32_e32 v8, v12, v11
	s_branch .LBB361_9
.LBB361_12:
	v_lshlrev_b32_e32 v1, 2, v0
	s_and_b64 vcc, exec, s[20:21]
	ds_write_b32 v1, v8
	s_waitcnt lgkmcnt(0)
	s_barrier
	s_cbranch_vccz .LBB361_24
; %bb.13:
	v_cmp_gt_u16_e32 vcc, 10, v9
	s_and_saveexec_b64 s[0:1], vcc
	s_cbranch_execz .LBB361_15
; %bb.14:
	ds_read2_b32 v[2:3], v1 offset1:16
	s_waitcnt lgkmcnt(0)
	v_add_f32_e32 v2, v3, v2
	ds_write_b32 v1, v2
.LBB361_15:
	s_or_b64 exec, exec, s[0:1]
	v_cmp_gt_u16_e32 vcc, 8, v9
	s_waitcnt lgkmcnt(0)
	s_barrier
	s_and_saveexec_b64 s[0:1], vcc
	s_cbranch_execz .LBB361_17
; %bb.16:
	ds_read2_b32 v[2:3], v1 offset1:8
	s_waitcnt lgkmcnt(0)
	v_add_f32_e32 v2, v3, v2
	ds_write_b32 v1, v2
.LBB361_17:
	s_or_b64 exec, exec, s[0:1]
	v_cmp_gt_u16_e32 vcc, 4, v9
	s_waitcnt lgkmcnt(0)
	s_barrier
	;; [unrolled: 12-line block ×3, first 2 shown]
	s_and_saveexec_b64 s[0:1], vcc
	s_cbranch_execz .LBB361_21
; %bb.20:
	ds_read2_b32 v[2:3], v1 offset1:2
	s_waitcnt lgkmcnt(0)
	v_add_f32_e32 v2, v3, v2
	ds_write_b32 v1, v2
.LBB361_21:
	s_or_b64 exec, exec, s[0:1]
	v_cmp_gt_u32_e32 vcc, 26, v0
	v_mov_b32_e32 v2, v8
	s_waitcnt lgkmcnt(0)
	s_barrier
	s_and_saveexec_b64 s[0:1], vcc
	s_cbranch_execz .LBB361_23
; %bb.22:
	s_movk_i32 s2, 0x64
	v_mad_u32_u24 v2, v0, s2, v1
	ds_read_b64 v[2:3], v2
	s_waitcnt lgkmcnt(0)
	v_add_f32_e32 v2, v2, v3
.LBB361_23:
	s_or_b64 exec, exec, s[0:1]
	s_branch .LBB361_36
.LBB361_24:
                                        ; implicit-def: $vgpr2
	s_cbranch_execz .LBB361_36
; %bb.25:
	s_movk_i32 s0, 0x104
	v_cmp_gt_u32_e32 vcc, s0, v0
	s_and_saveexec_b64 s[0:1], vcc
	s_cbranch_execz .LBB361_27
; %bb.26:
	ds_read_b32 v2, v1 offset:1664
	ds_read_b32 v3, v1
	s_waitcnt lgkmcnt(0)
	v_add_f32_e32 v2, v2, v3
	ds_write_b32 v1, v2
.LBB361_27:
	s_or_b64 exec, exec, s[0:1]
	s_movk_i32 s0, 0xd0
	v_cmp_gt_u32_e32 vcc, s0, v0
	s_waitcnt lgkmcnt(0)
	s_barrier
	s_and_saveexec_b64 s[0:1], vcc
	s_cbranch_execz .LBB361_29
; %bb.28:
	ds_read2_b32 v[2:3], v1 offset1:208
	s_waitcnt lgkmcnt(0)
	v_add_f32_e32 v2, v3, v2
	ds_write_b32 v1, v2
.LBB361_29:
	s_or_b64 exec, exec, s[0:1]
	s_movk_i32 s0, 0x68
	v_cmp_gt_u32_e32 vcc, s0, v0
	s_waitcnt lgkmcnt(0)
	s_barrier
	s_and_saveexec_b64 s[0:1], vcc
	s_cbranch_execz .LBB361_31
; %bb.30:
	ds_read2_b32 v[2:3], v1 offset1:104
	s_waitcnt lgkmcnt(0)
	v_add_f32_e32 v2, v3, v2
	ds_write_b32 v1, v2
.LBB361_31:
	s_or_b64 exec, exec, s[0:1]
	v_cmp_gt_u32_e32 vcc, 52, v0
	s_waitcnt lgkmcnt(0)
	s_barrier
	s_and_saveexec_b64 s[0:1], vcc
	s_cbranch_execz .LBB361_33
; %bb.32:
	ds_read2_b32 v[2:3], v1 offset1:52
	s_waitcnt lgkmcnt(0)
	v_add_f32_e32 v2, v3, v2
	ds_write_b32 v1, v2
.LBB361_33:
	s_or_b64 exec, exec, s[0:1]
	v_cmp_gt_u32_e32 vcc, 26, v0
	s_waitcnt lgkmcnt(0)
	s_and_saveexec_b64 s[0:1], vcc
	s_cbranch_execz .LBB361_35
; %bb.34:
	ds_read2_b32 v[1:2], v1 offset1:26
	s_waitcnt lgkmcnt(0)
	v_add_f32_e32 v8, v1, v2
.LBB361_35:
	s_or_b64 exec, exec, s[0:1]
	v_mov_b32_e32 v2, v8
.LBB361_36:
	v_cmp_gt_u32_e32 vcc, 26, v0
	s_and_saveexec_b64 s[0:1], vcc
	s_cbranch_execz .LBB361_40
; %bb.37:
	v_cmp_eq_f32_e64 s[0:1], s12, 0
	s_and_b64 vcc, exec, s[0:1]
	v_mul_f32_e32 v1, s14, v2
	s_cbranch_vccz .LBB361_41
; %bb.38:
	v_mad_u64_u32 v[2:3], s[0:1], s6, 26, v[0:1]
	v_mov_b32_e32 v3, 0
	v_mov_b32_e32 v4, s17
	v_lshlrev_b64 v[2:3], 2, v[2:3]
	v_add_co_u32_e32 v2, vcc, s16, v2
	v_addc_co_u32_e32 v3, vcc, v4, v3, vcc
	global_store_dword v[2:3], v1, off
	s_cbranch_execnz .LBB361_40
.LBB361_39:
	v_mad_u64_u32 v[2:3], s[0:1], s6, 26, v[0:1]
	v_mov_b32_e32 v3, 0
	v_mov_b32_e32 v0, s17
	v_lshlrev_b64 v[2:3], 2, v[2:3]
	v_add_co_u32_e32 v2, vcc, s16, v2
	v_addc_co_u32_e32 v3, vcc, v0, v3, vcc
	global_load_dword v0, v[2:3], off
	s_waitcnt vmcnt(0)
	v_fmac_f32_e32 v1, s12, v0
	global_store_dword v[2:3], v1, off
.LBB361_40:
	s_endpgm
.LBB361_41:
	s_branch .LBB361_39
	.section	.rodata,"a",@progbits
	.p2align	6, 0x0
	.amdhsa_kernel _ZN9rocsparseL20bsrxmvn_17_32_kernelILj26Efli18rocsparse_bfloat16S1_fEEvT2_20rocsparse_direction_NS_24const_host_device_scalarIT0_EES2_PKS2_PKT1_SB_S8_PKT3_PKT4_S6_PT5_21rocsparse_index_base_b
		.amdhsa_group_segment_fixed_size 2704
		.amdhsa_private_segment_fixed_size 0
		.amdhsa_kernarg_size 96
		.amdhsa_user_sgpr_count 6
		.amdhsa_user_sgpr_private_segment_buffer 1
		.amdhsa_user_sgpr_dispatch_ptr 0
		.amdhsa_user_sgpr_queue_ptr 0
		.amdhsa_user_sgpr_kernarg_segment_ptr 1
		.amdhsa_user_sgpr_dispatch_id 0
		.amdhsa_user_sgpr_flat_scratch_init 0
		.amdhsa_user_sgpr_private_segment_size 0
		.amdhsa_uses_dynamic_stack 0
		.amdhsa_system_sgpr_private_segment_wavefront_offset 0
		.amdhsa_system_sgpr_workgroup_id_x 1
		.amdhsa_system_sgpr_workgroup_id_y 0
		.amdhsa_system_sgpr_workgroup_id_z 0
		.amdhsa_system_sgpr_workgroup_info 0
		.amdhsa_system_vgpr_workitem_id 0
		.amdhsa_next_free_vgpr 25
		.amdhsa_next_free_sgpr 61
		.amdhsa_reserve_vcc 1
		.amdhsa_reserve_flat_scratch 0
		.amdhsa_float_round_mode_32 0
		.amdhsa_float_round_mode_16_64 0
		.amdhsa_float_denorm_mode_32 3
		.amdhsa_float_denorm_mode_16_64 3
		.amdhsa_dx10_clamp 1
		.amdhsa_ieee_mode 1
		.amdhsa_fp16_overflow 0
		.amdhsa_exception_fp_ieee_invalid_op 0
		.amdhsa_exception_fp_denorm_src 0
		.amdhsa_exception_fp_ieee_div_zero 0
		.amdhsa_exception_fp_ieee_overflow 0
		.amdhsa_exception_fp_ieee_underflow 0
		.amdhsa_exception_fp_ieee_inexact 0
		.amdhsa_exception_int_div_zero 0
	.end_amdhsa_kernel
	.section	.text._ZN9rocsparseL20bsrxmvn_17_32_kernelILj26Efli18rocsparse_bfloat16S1_fEEvT2_20rocsparse_direction_NS_24const_host_device_scalarIT0_EES2_PKS2_PKT1_SB_S8_PKT3_PKT4_S6_PT5_21rocsparse_index_base_b,"axG",@progbits,_ZN9rocsparseL20bsrxmvn_17_32_kernelILj26Efli18rocsparse_bfloat16S1_fEEvT2_20rocsparse_direction_NS_24const_host_device_scalarIT0_EES2_PKS2_PKT1_SB_S8_PKT3_PKT4_S6_PT5_21rocsparse_index_base_b,comdat
.Lfunc_end361:
	.size	_ZN9rocsparseL20bsrxmvn_17_32_kernelILj26Efli18rocsparse_bfloat16S1_fEEvT2_20rocsparse_direction_NS_24const_host_device_scalarIT0_EES2_PKS2_PKT1_SB_S8_PKT3_PKT4_S6_PT5_21rocsparse_index_base_b, .Lfunc_end361-_ZN9rocsparseL20bsrxmvn_17_32_kernelILj26Efli18rocsparse_bfloat16S1_fEEvT2_20rocsparse_direction_NS_24const_host_device_scalarIT0_EES2_PKS2_PKT1_SB_S8_PKT3_PKT4_S6_PT5_21rocsparse_index_base_b
                                        ; -- End function
	.set _ZN9rocsparseL20bsrxmvn_17_32_kernelILj26Efli18rocsparse_bfloat16S1_fEEvT2_20rocsparse_direction_NS_24const_host_device_scalarIT0_EES2_PKS2_PKT1_SB_S8_PKT3_PKT4_S6_PT5_21rocsparse_index_base_b.num_vgpr, 15
	.set _ZN9rocsparseL20bsrxmvn_17_32_kernelILj26Efli18rocsparse_bfloat16S1_fEEvT2_20rocsparse_direction_NS_24const_host_device_scalarIT0_EES2_PKS2_PKT1_SB_S8_PKT3_PKT4_S6_PT5_21rocsparse_index_base_b.num_agpr, 0
	.set _ZN9rocsparseL20bsrxmvn_17_32_kernelILj26Efli18rocsparse_bfloat16S1_fEEvT2_20rocsparse_direction_NS_24const_host_device_scalarIT0_EES2_PKS2_PKT1_SB_S8_PKT3_PKT4_S6_PT5_21rocsparse_index_base_b.numbered_sgpr, 26
	.set _ZN9rocsparseL20bsrxmvn_17_32_kernelILj26Efli18rocsparse_bfloat16S1_fEEvT2_20rocsparse_direction_NS_24const_host_device_scalarIT0_EES2_PKS2_PKT1_SB_S8_PKT3_PKT4_S6_PT5_21rocsparse_index_base_b.num_named_barrier, 0
	.set _ZN9rocsparseL20bsrxmvn_17_32_kernelILj26Efli18rocsparse_bfloat16S1_fEEvT2_20rocsparse_direction_NS_24const_host_device_scalarIT0_EES2_PKS2_PKT1_SB_S8_PKT3_PKT4_S6_PT5_21rocsparse_index_base_b.private_seg_size, 0
	.set _ZN9rocsparseL20bsrxmvn_17_32_kernelILj26Efli18rocsparse_bfloat16S1_fEEvT2_20rocsparse_direction_NS_24const_host_device_scalarIT0_EES2_PKS2_PKT1_SB_S8_PKT3_PKT4_S6_PT5_21rocsparse_index_base_b.uses_vcc, 1
	.set _ZN9rocsparseL20bsrxmvn_17_32_kernelILj26Efli18rocsparse_bfloat16S1_fEEvT2_20rocsparse_direction_NS_24const_host_device_scalarIT0_EES2_PKS2_PKT1_SB_S8_PKT3_PKT4_S6_PT5_21rocsparse_index_base_b.uses_flat_scratch, 0
	.set _ZN9rocsparseL20bsrxmvn_17_32_kernelILj26Efli18rocsparse_bfloat16S1_fEEvT2_20rocsparse_direction_NS_24const_host_device_scalarIT0_EES2_PKS2_PKT1_SB_S8_PKT3_PKT4_S6_PT5_21rocsparse_index_base_b.has_dyn_sized_stack, 0
	.set _ZN9rocsparseL20bsrxmvn_17_32_kernelILj26Efli18rocsparse_bfloat16S1_fEEvT2_20rocsparse_direction_NS_24const_host_device_scalarIT0_EES2_PKS2_PKT1_SB_S8_PKT3_PKT4_S6_PT5_21rocsparse_index_base_b.has_recursion, 0
	.set _ZN9rocsparseL20bsrxmvn_17_32_kernelILj26Efli18rocsparse_bfloat16S1_fEEvT2_20rocsparse_direction_NS_24const_host_device_scalarIT0_EES2_PKS2_PKT1_SB_S8_PKT3_PKT4_S6_PT5_21rocsparse_index_base_b.has_indirect_call, 0
	.section	.AMDGPU.csdata,"",@progbits
; Kernel info:
; codeLenInByte = 1328
; TotalNumSgprs: 30
; NumVgprs: 15
; ScratchSize: 0
; MemoryBound: 0
; FloatMode: 240
; IeeeMode: 1
; LDSByteSize: 2704 bytes/workgroup (compile time only)
; SGPRBlocks: 8
; VGPRBlocks: 6
; NumSGPRsForWavesPerEU: 65
; NumVGPRsForWavesPerEU: 25
; Occupancy: 9
; WaveLimiterHint : 1
; COMPUTE_PGM_RSRC2:SCRATCH_EN: 0
; COMPUTE_PGM_RSRC2:USER_SGPR: 6
; COMPUTE_PGM_RSRC2:TRAP_HANDLER: 0
; COMPUTE_PGM_RSRC2:TGID_X_EN: 1
; COMPUTE_PGM_RSRC2:TGID_Y_EN: 0
; COMPUTE_PGM_RSRC2:TGID_Z_EN: 0
; COMPUTE_PGM_RSRC2:TIDIG_COMP_CNT: 0
	.section	.text._ZN9rocsparseL20bsrxmvn_17_32_kernelILj27Efli18rocsparse_bfloat16S1_fEEvT2_20rocsparse_direction_NS_24const_host_device_scalarIT0_EES2_PKS2_PKT1_SB_S8_PKT3_PKT4_S6_PT5_21rocsparse_index_base_b,"axG",@progbits,_ZN9rocsparseL20bsrxmvn_17_32_kernelILj27Efli18rocsparse_bfloat16S1_fEEvT2_20rocsparse_direction_NS_24const_host_device_scalarIT0_EES2_PKS2_PKT1_SB_S8_PKT3_PKT4_S6_PT5_21rocsparse_index_base_b,comdat
	.globl	_ZN9rocsparseL20bsrxmvn_17_32_kernelILj27Efli18rocsparse_bfloat16S1_fEEvT2_20rocsparse_direction_NS_24const_host_device_scalarIT0_EES2_PKS2_PKT1_SB_S8_PKT3_PKT4_S6_PT5_21rocsparse_index_base_b ; -- Begin function _ZN9rocsparseL20bsrxmvn_17_32_kernelILj27Efli18rocsparse_bfloat16S1_fEEvT2_20rocsparse_direction_NS_24const_host_device_scalarIT0_EES2_PKS2_PKT1_SB_S8_PKT3_PKT4_S6_PT5_21rocsparse_index_base_b
	.p2align	8
	.type	_ZN9rocsparseL20bsrxmvn_17_32_kernelILj27Efli18rocsparse_bfloat16S1_fEEvT2_20rocsparse_direction_NS_24const_host_device_scalarIT0_EES2_PKS2_PKT1_SB_S8_PKT3_PKT4_S6_PT5_21rocsparse_index_base_b,@function
_ZN9rocsparseL20bsrxmvn_17_32_kernelILj27Efli18rocsparse_bfloat16S1_fEEvT2_20rocsparse_direction_NS_24const_host_device_scalarIT0_EES2_PKS2_PKT1_SB_S8_PKT3_PKT4_S6_PT5_21rocsparse_index_base_b: ; @_ZN9rocsparseL20bsrxmvn_17_32_kernelILj27Efli18rocsparse_bfloat16S1_fEEvT2_20rocsparse_direction_NS_24const_host_device_scalarIT0_EES2_PKS2_PKT1_SB_S8_PKT3_PKT4_S6_PT5_21rocsparse_index_base_b
; %bb.0:
	s_load_dwordx2 s[18:19], s[4:5], 0x58
	s_load_dwordx2 s[14:15], s[4:5], 0x8
	;; [unrolled: 1-line block ×3, first 2 shown]
	s_waitcnt lgkmcnt(0)
	s_bitcmp1_b32 s19, 0
	s_cselect_b64 s[2:3], -1, 0
	s_xor_b64 s[0:1], s[2:3], -1
	s_and_b64 vcc, exec, s[2:3]
	s_cbranch_vccnz .LBB362_2
; %bb.1:
	s_load_dword s14, s[14:15], 0x0
.LBB362_2:
	s_andn2_b64 vcc, exec, s[0:1]
	s_cbranch_vccnz .LBB362_4
; %bb.3:
	s_load_dword s12, s[12:13], 0x0
.LBB362_4:
	s_waitcnt lgkmcnt(0)
	v_cmp_neq_f32_e64 s[0:1], s14, 0
	v_cmp_neq_f32_e64 s[2:3], s12, 1.0
	s_or_b64 s[0:1], s[0:1], s[2:3]
	s_andn2_b64 vcc, exec, s[0:1]
	s_cbranch_vccnz .LBB362_40
; %bb.5:
	s_load_dwordx4 s[0:3], s[4:5], 0x18
	s_load_dwordx2 s[8:9], s[4:5], 0x28
	s_waitcnt lgkmcnt(0)
	s_cmp_eq_u64 s[0:1], 0
	s_cbranch_scc1 .LBB362_7
; %bb.6:
	s_ashr_i32 s7, s6, 31
	s_lshl_b64 s[6:7], s[6:7], 2
	s_add_u32 s0, s0, s6
	s_addc_u32 s1, s1, s7
	s_load_dword s0, s[0:1], 0x0
	s_waitcnt lgkmcnt(0)
	s_sub_i32 s6, s0, s18
.LBB362_7:
	s_load_dword s7, s[4:5], 0x4
	s_load_dwordx2 s[16:17], s[4:5], 0x50
	v_mul_u32_u24_e32 v1, 0x97c, v0
	v_mov_b32_e32 v2, 27
	v_mul_lo_u16_sdwa v2, v1, v2 dst_sel:DWORD dst_unused:UNUSED_PAD src0_sel:WORD_1 src1_sel:DWORD
	s_waitcnt lgkmcnt(0)
	s_cmp_eq_u32 s7, 1
	s_cselect_b64 s[0:1], -1, 0
	s_cmp_lg_u32 s7, 1
	s_cselect_b64 s[20:21], -1, 0
	s_ashr_i32 s7, s6, 31
	s_lshl_b64 s[10:11], s[6:7], 3
	s_add_u32 s2, s2, s10
	s_addc_u32 s3, s3, s11
	s_add_u32 s7, s2, 8
	s_addc_u32 s13, s3, 0
	;; [unrolled: 2-line block ×3, first 2 shown]
	s_cmp_eq_u64 s[8:9], 0
	s_cselect_b32 s9, s13, s11
	s_cselect_b32 s8, s7, s10
	s_load_dwordx2 s[22:23], s[8:9], 0x0
	s_load_dwordx2 s[24:25], s[2:3], 0x0
	v_sub_u16_e32 v9, v0, v2
	v_mov_b32_e32 v8, 0
	s_waitcnt lgkmcnt(0)
	v_mov_b32_e32 v2, s22
	v_mov_b32_e32 v3, s23
	v_cmp_ge_i64_e32 vcc, s[24:25], v[2:3]
	s_cbranch_vccnz .LBB362_12
; %bb.8:
	s_load_dwordx4 s[8:11], s[4:5], 0x30
	s_load_dwordx2 s[2:3], s[4:5], 0x40
	s_sub_u32 s4, s22, s18
	s_mov_b32 s7, 0xffff
	s_subb_u32 s5, s23, 0
	s_movk_i32 s13, 0x2d9
	v_and_b32_sdwa v1, s7, v1 dst_sel:DWORD dst_unused:UNUSED_PAD src0_sel:DWORD src1_sel:WORD_1
	v_subrev_u32_e32 v2, 27, v1
	v_cmp_gt_u32_e32 vcc, s13, v0
	s_sub_u32 s22, s24, s18
	v_cndmask_b32_e32 v1, v2, v1, vcc
	s_subb_u32 s23, s25, 0
	v_cndmask_b32_e64 v1, v9, v1, s[0:1]
	s_mul_i32 s0, s23, 0x5b2
	s_mul_hi_u32 s1, s22, 0x5b2
	s_add_i32 s1, s1, s0
	s_mul_i32 s0, s22, 0x5b2
	s_waitcnt lgkmcnt(0)
	s_add_u32 s0, s10, s0
	s_addc_u32 s1, s11, s1
	v_lshlrev_b32_e32 v2, 1, v0
	v_mov_b32_e32 v3, s1
	v_add_co_u32_e32 v2, vcc, s0, v2
	v_addc_co_u32_e32 v3, vcc, 0, v3, vcc
	s_movk_i32 s0, 0x2d8
	v_cmp_lt_u32_e32 vcc, s0, v0
	v_cndmask_b32_e64 v10, 0, 1, vcc
	v_mov_b32_e32 v4, s25
	v_add_co_u32_e32 v5, vcc, s24, v10
	v_addc_co_u32_e32 v6, vcc, 0, v4, vcc
	v_subrev_co_u32_e32 v4, vcc, s18, v5
	v_subbrev_co_u32_e32 v5, vcc, 0, v6, vcc
	v_lshlrev_b64 v[4:5], 2, v[4:5]
	v_mov_b32_e32 v6, s9
	v_add_co_u32_e32 v4, vcc, s8, v4
	v_addc_co_u32_e32 v5, vcc, v6, v5, vcc
	v_mov_b32_e32 v7, s5
	v_mov_b32_e32 v8, 0
	;; [unrolled: 1-line block ×3, first 2 shown]
	s_branch .LBB362_10
.LBB362_9:                              ;   in Loop: Header=BB362_10 Depth=1
	s_or_b64 exec, exec, s[0:1]
	s_add_u32 s22, s22, 1
	s_addc_u32 s23, s23, 0
	v_cmp_lt_i64_e32 vcc, s[22:23], v[6:7]
	v_add_co_u32_e64 v4, s[0:1], 4, v4
	v_addc_co_u32_e64 v5, s[0:1], 0, v5, s[0:1]
	s_cbranch_vccz .LBB362_12
.LBB362_10:                             ; =>This Inner Loop Header: Depth=1
	v_mov_b32_e32 v12, s23
	v_add_co_u32_e32 v11, vcc, s22, v10
	v_addc_co_u32_e32 v12, vcc, 0, v12, vcc
	v_cmp_gt_i64_e32 vcc, s[4:5], v[11:12]
	s_and_saveexec_b64 s[0:1], vcc
	s_cbranch_execz .LBB362_9
; %bb.11:                               ;   in Loop: Header=BB362_10 Depth=1
	global_load_dword v11, v[4:5], off
	v_mov_b32_e32 v14, s3
	global_load_ushort v13, v[2:3], off
	s_waitcnt vmcnt(1)
	v_subrev_u32_e32 v11, s18, v11
	v_mad_u64_u32 v[11:12], s[8:9], v11, 27, v[1:2]
	v_ashrrev_i32_e32 v12, 31, v11
	v_lshlrev_b64 v[11:12], 1, v[11:12]
	v_add_co_u32_e32 v11, vcc, s2, v11
	v_addc_co_u32_e32 v12, vcc, v14, v12, vcc
	global_load_ushort v11, v[11:12], off
	v_add_co_u32_e32 v2, vcc, 0x5b2, v2
	s_waitcnt vmcnt(1)
	v_lshlrev_b32_e32 v12, 16, v13
	v_addc_co_u32_e32 v3, vcc, 0, v3, vcc
	s_waitcnt vmcnt(0)
	v_lshlrev_b32_e32 v11, 16, v11
	v_fmac_f32_e32 v8, v12, v11
	s_branch .LBB362_9
.LBB362_12:
	v_lshlrev_b32_e32 v1, 2, v0
	s_and_b64 vcc, exec, s[20:21]
	ds_write_b32 v1, v8
	s_waitcnt lgkmcnt(0)
	s_barrier
	s_cbranch_vccz .LBB362_24
; %bb.13:
	v_cmp_gt_u16_e32 vcc, 11, v9
	s_and_saveexec_b64 s[0:1], vcc
	s_cbranch_execz .LBB362_15
; %bb.14:
	ds_read2_b32 v[2:3], v1 offset1:16
	s_waitcnt lgkmcnt(0)
	v_add_f32_e32 v2, v3, v2
	ds_write_b32 v1, v2
.LBB362_15:
	s_or_b64 exec, exec, s[0:1]
	v_cmp_gt_u16_e32 vcc, 8, v9
	s_waitcnt lgkmcnt(0)
	s_barrier
	s_and_saveexec_b64 s[0:1], vcc
	s_cbranch_execz .LBB362_17
; %bb.16:
	ds_read2_b32 v[2:3], v1 offset1:8
	s_waitcnt lgkmcnt(0)
	v_add_f32_e32 v2, v3, v2
	ds_write_b32 v1, v2
.LBB362_17:
	s_or_b64 exec, exec, s[0:1]
	v_cmp_gt_u16_e32 vcc, 4, v9
	s_waitcnt lgkmcnt(0)
	s_barrier
	;; [unrolled: 12-line block ×3, first 2 shown]
	s_and_saveexec_b64 s[0:1], vcc
	s_cbranch_execz .LBB362_21
; %bb.20:
	ds_read2_b32 v[2:3], v1 offset1:2
	s_waitcnt lgkmcnt(0)
	v_add_f32_e32 v2, v3, v2
	ds_write_b32 v1, v2
.LBB362_21:
	s_or_b64 exec, exec, s[0:1]
	v_cmp_gt_u32_e32 vcc, 27, v0
	v_mov_b32_e32 v2, v8
	s_waitcnt lgkmcnt(0)
	s_barrier
	s_and_saveexec_b64 s[0:1], vcc
	s_cbranch_execz .LBB362_23
; %bb.22:
	s_movk_i32 s2, 0x68
	v_mad_u32_u24 v2, v0, s2, v1
	ds_read2_b32 v[2:3], v2 offset1:1
	s_waitcnt lgkmcnt(0)
	v_add_f32_e32 v2, v2, v3
.LBB362_23:
	s_or_b64 exec, exec, s[0:1]
	s_branch .LBB362_36
.LBB362_24:
                                        ; implicit-def: $vgpr2
	s_cbranch_execz .LBB362_36
; %bb.25:
	s_movk_i32 s0, 0x129
	v_cmp_gt_u32_e32 vcc, s0, v0
	s_and_saveexec_b64 s[0:1], vcc
	s_cbranch_execz .LBB362_27
; %bb.26:
	ds_read_b32 v2, v1 offset:1728
	ds_read_b32 v3, v1
	s_waitcnt lgkmcnt(0)
	v_add_f32_e32 v2, v2, v3
	ds_write_b32 v1, v2
.LBB362_27:
	s_or_b64 exec, exec, s[0:1]
	s_movk_i32 s0, 0xd8
	v_cmp_gt_u32_e32 vcc, s0, v0
	s_waitcnt lgkmcnt(0)
	s_barrier
	s_and_saveexec_b64 s[0:1], vcc
	s_cbranch_execz .LBB362_29
; %bb.28:
	ds_read2_b32 v[2:3], v1 offset1:216
	s_waitcnt lgkmcnt(0)
	v_add_f32_e32 v2, v3, v2
	ds_write_b32 v1, v2
.LBB362_29:
	s_or_b64 exec, exec, s[0:1]
	s_movk_i32 s0, 0x6c
	v_cmp_gt_u32_e32 vcc, s0, v0
	s_waitcnt lgkmcnt(0)
	s_barrier
	s_and_saveexec_b64 s[0:1], vcc
	s_cbranch_execz .LBB362_31
; %bb.30:
	ds_read2_b32 v[2:3], v1 offset1:108
	s_waitcnt lgkmcnt(0)
	v_add_f32_e32 v2, v3, v2
	ds_write_b32 v1, v2
.LBB362_31:
	s_or_b64 exec, exec, s[0:1]
	v_cmp_gt_u32_e32 vcc, 54, v0
	s_waitcnt lgkmcnt(0)
	s_barrier
	s_and_saveexec_b64 s[0:1], vcc
	s_cbranch_execz .LBB362_33
; %bb.32:
	ds_read2_b32 v[2:3], v1 offset1:54
	s_waitcnt lgkmcnt(0)
	v_add_f32_e32 v2, v3, v2
	ds_write_b32 v1, v2
.LBB362_33:
	s_or_b64 exec, exec, s[0:1]
	v_cmp_gt_u32_e32 vcc, 27, v0
	s_waitcnt lgkmcnt(0)
	s_and_saveexec_b64 s[0:1], vcc
	s_cbranch_execz .LBB362_35
; %bb.34:
	ds_read2_b32 v[1:2], v1 offset1:27
	s_waitcnt lgkmcnt(0)
	v_add_f32_e32 v8, v1, v2
.LBB362_35:
	s_or_b64 exec, exec, s[0:1]
	v_mov_b32_e32 v2, v8
.LBB362_36:
	v_cmp_gt_u32_e32 vcc, 27, v0
	s_and_saveexec_b64 s[0:1], vcc
	s_cbranch_execz .LBB362_40
; %bb.37:
	v_cmp_eq_f32_e64 s[0:1], s12, 0
	s_and_b64 vcc, exec, s[0:1]
	v_mul_f32_e32 v1, s14, v2
	s_cbranch_vccz .LBB362_41
; %bb.38:
	v_mad_u64_u32 v[2:3], s[0:1], s6, 27, v[0:1]
	v_mov_b32_e32 v3, 0
	v_mov_b32_e32 v4, s17
	v_lshlrev_b64 v[2:3], 2, v[2:3]
	v_add_co_u32_e32 v2, vcc, s16, v2
	v_addc_co_u32_e32 v3, vcc, v4, v3, vcc
	global_store_dword v[2:3], v1, off
	s_cbranch_execnz .LBB362_40
.LBB362_39:
	v_mad_u64_u32 v[2:3], s[0:1], s6, 27, v[0:1]
	v_mov_b32_e32 v3, 0
	v_mov_b32_e32 v0, s17
	v_lshlrev_b64 v[2:3], 2, v[2:3]
	v_add_co_u32_e32 v2, vcc, s16, v2
	v_addc_co_u32_e32 v3, vcc, v0, v3, vcc
	global_load_dword v0, v[2:3], off
	s_waitcnt vmcnt(0)
	v_fmac_f32_e32 v1, s12, v0
	global_store_dword v[2:3], v1, off
.LBB362_40:
	s_endpgm
.LBB362_41:
	s_branch .LBB362_39
	.section	.rodata,"a",@progbits
	.p2align	6, 0x0
	.amdhsa_kernel _ZN9rocsparseL20bsrxmvn_17_32_kernelILj27Efli18rocsparse_bfloat16S1_fEEvT2_20rocsparse_direction_NS_24const_host_device_scalarIT0_EES2_PKS2_PKT1_SB_S8_PKT3_PKT4_S6_PT5_21rocsparse_index_base_b
		.amdhsa_group_segment_fixed_size 2916
		.amdhsa_private_segment_fixed_size 0
		.amdhsa_kernarg_size 96
		.amdhsa_user_sgpr_count 6
		.amdhsa_user_sgpr_private_segment_buffer 1
		.amdhsa_user_sgpr_dispatch_ptr 0
		.amdhsa_user_sgpr_queue_ptr 0
		.amdhsa_user_sgpr_kernarg_segment_ptr 1
		.amdhsa_user_sgpr_dispatch_id 0
		.amdhsa_user_sgpr_flat_scratch_init 0
		.amdhsa_user_sgpr_private_segment_size 0
		.amdhsa_uses_dynamic_stack 0
		.amdhsa_system_sgpr_private_segment_wavefront_offset 0
		.amdhsa_system_sgpr_workgroup_id_x 1
		.amdhsa_system_sgpr_workgroup_id_y 0
		.amdhsa_system_sgpr_workgroup_id_z 0
		.amdhsa_system_sgpr_workgroup_info 0
		.amdhsa_system_vgpr_workitem_id 0
		.amdhsa_next_free_vgpr 25
		.amdhsa_next_free_sgpr 61
		.amdhsa_reserve_vcc 1
		.amdhsa_reserve_flat_scratch 0
		.amdhsa_float_round_mode_32 0
		.amdhsa_float_round_mode_16_64 0
		.amdhsa_float_denorm_mode_32 3
		.amdhsa_float_denorm_mode_16_64 3
		.amdhsa_dx10_clamp 1
		.amdhsa_ieee_mode 1
		.amdhsa_fp16_overflow 0
		.amdhsa_exception_fp_ieee_invalid_op 0
		.amdhsa_exception_fp_denorm_src 0
		.amdhsa_exception_fp_ieee_div_zero 0
		.amdhsa_exception_fp_ieee_overflow 0
		.amdhsa_exception_fp_ieee_underflow 0
		.amdhsa_exception_fp_ieee_inexact 0
		.amdhsa_exception_int_div_zero 0
	.end_amdhsa_kernel
	.section	.text._ZN9rocsparseL20bsrxmvn_17_32_kernelILj27Efli18rocsparse_bfloat16S1_fEEvT2_20rocsparse_direction_NS_24const_host_device_scalarIT0_EES2_PKS2_PKT1_SB_S8_PKT3_PKT4_S6_PT5_21rocsparse_index_base_b,"axG",@progbits,_ZN9rocsparseL20bsrxmvn_17_32_kernelILj27Efli18rocsparse_bfloat16S1_fEEvT2_20rocsparse_direction_NS_24const_host_device_scalarIT0_EES2_PKS2_PKT1_SB_S8_PKT3_PKT4_S6_PT5_21rocsparse_index_base_b,comdat
.Lfunc_end362:
	.size	_ZN9rocsparseL20bsrxmvn_17_32_kernelILj27Efli18rocsparse_bfloat16S1_fEEvT2_20rocsparse_direction_NS_24const_host_device_scalarIT0_EES2_PKS2_PKT1_SB_S8_PKT3_PKT4_S6_PT5_21rocsparse_index_base_b, .Lfunc_end362-_ZN9rocsparseL20bsrxmvn_17_32_kernelILj27Efli18rocsparse_bfloat16S1_fEEvT2_20rocsparse_direction_NS_24const_host_device_scalarIT0_EES2_PKS2_PKT1_SB_S8_PKT3_PKT4_S6_PT5_21rocsparse_index_base_b
                                        ; -- End function
	.set _ZN9rocsparseL20bsrxmvn_17_32_kernelILj27Efli18rocsparse_bfloat16S1_fEEvT2_20rocsparse_direction_NS_24const_host_device_scalarIT0_EES2_PKS2_PKT1_SB_S8_PKT3_PKT4_S6_PT5_21rocsparse_index_base_b.num_vgpr, 15
	.set _ZN9rocsparseL20bsrxmvn_17_32_kernelILj27Efli18rocsparse_bfloat16S1_fEEvT2_20rocsparse_direction_NS_24const_host_device_scalarIT0_EES2_PKS2_PKT1_SB_S8_PKT3_PKT4_S6_PT5_21rocsparse_index_base_b.num_agpr, 0
	.set _ZN9rocsparseL20bsrxmvn_17_32_kernelILj27Efli18rocsparse_bfloat16S1_fEEvT2_20rocsparse_direction_NS_24const_host_device_scalarIT0_EES2_PKS2_PKT1_SB_S8_PKT3_PKT4_S6_PT5_21rocsparse_index_base_b.numbered_sgpr, 26
	.set _ZN9rocsparseL20bsrxmvn_17_32_kernelILj27Efli18rocsparse_bfloat16S1_fEEvT2_20rocsparse_direction_NS_24const_host_device_scalarIT0_EES2_PKS2_PKT1_SB_S8_PKT3_PKT4_S6_PT5_21rocsparse_index_base_b.num_named_barrier, 0
	.set _ZN9rocsparseL20bsrxmvn_17_32_kernelILj27Efli18rocsparse_bfloat16S1_fEEvT2_20rocsparse_direction_NS_24const_host_device_scalarIT0_EES2_PKS2_PKT1_SB_S8_PKT3_PKT4_S6_PT5_21rocsparse_index_base_b.private_seg_size, 0
	.set _ZN9rocsparseL20bsrxmvn_17_32_kernelILj27Efli18rocsparse_bfloat16S1_fEEvT2_20rocsparse_direction_NS_24const_host_device_scalarIT0_EES2_PKS2_PKT1_SB_S8_PKT3_PKT4_S6_PT5_21rocsparse_index_base_b.uses_vcc, 1
	.set _ZN9rocsparseL20bsrxmvn_17_32_kernelILj27Efli18rocsparse_bfloat16S1_fEEvT2_20rocsparse_direction_NS_24const_host_device_scalarIT0_EES2_PKS2_PKT1_SB_S8_PKT3_PKT4_S6_PT5_21rocsparse_index_base_b.uses_flat_scratch, 0
	.set _ZN9rocsparseL20bsrxmvn_17_32_kernelILj27Efli18rocsparse_bfloat16S1_fEEvT2_20rocsparse_direction_NS_24const_host_device_scalarIT0_EES2_PKS2_PKT1_SB_S8_PKT3_PKT4_S6_PT5_21rocsparse_index_base_b.has_dyn_sized_stack, 0
	.set _ZN9rocsparseL20bsrxmvn_17_32_kernelILj27Efli18rocsparse_bfloat16S1_fEEvT2_20rocsparse_direction_NS_24const_host_device_scalarIT0_EES2_PKS2_PKT1_SB_S8_PKT3_PKT4_S6_PT5_21rocsparse_index_base_b.has_recursion, 0
	.set _ZN9rocsparseL20bsrxmvn_17_32_kernelILj27Efli18rocsparse_bfloat16S1_fEEvT2_20rocsparse_direction_NS_24const_host_device_scalarIT0_EES2_PKS2_PKT1_SB_S8_PKT3_PKT4_S6_PT5_21rocsparse_index_base_b.has_indirect_call, 0
	.section	.AMDGPU.csdata,"",@progbits
; Kernel info:
; codeLenInByte = 1328
; TotalNumSgprs: 30
; NumVgprs: 15
; ScratchSize: 0
; MemoryBound: 0
; FloatMode: 240
; IeeeMode: 1
; LDSByteSize: 2916 bytes/workgroup (compile time only)
; SGPRBlocks: 8
; VGPRBlocks: 6
; NumSGPRsForWavesPerEU: 65
; NumVGPRsForWavesPerEU: 25
; Occupancy: 9
; WaveLimiterHint : 1
; COMPUTE_PGM_RSRC2:SCRATCH_EN: 0
; COMPUTE_PGM_RSRC2:USER_SGPR: 6
; COMPUTE_PGM_RSRC2:TRAP_HANDLER: 0
; COMPUTE_PGM_RSRC2:TGID_X_EN: 1
; COMPUTE_PGM_RSRC2:TGID_Y_EN: 0
; COMPUTE_PGM_RSRC2:TGID_Z_EN: 0
; COMPUTE_PGM_RSRC2:TIDIG_COMP_CNT: 0
	.section	.text._ZN9rocsparseL20bsrxmvn_17_32_kernelILj28Efli18rocsparse_bfloat16S1_fEEvT2_20rocsparse_direction_NS_24const_host_device_scalarIT0_EES2_PKS2_PKT1_SB_S8_PKT3_PKT4_S6_PT5_21rocsparse_index_base_b,"axG",@progbits,_ZN9rocsparseL20bsrxmvn_17_32_kernelILj28Efli18rocsparse_bfloat16S1_fEEvT2_20rocsparse_direction_NS_24const_host_device_scalarIT0_EES2_PKS2_PKT1_SB_S8_PKT3_PKT4_S6_PT5_21rocsparse_index_base_b,comdat
	.globl	_ZN9rocsparseL20bsrxmvn_17_32_kernelILj28Efli18rocsparse_bfloat16S1_fEEvT2_20rocsparse_direction_NS_24const_host_device_scalarIT0_EES2_PKS2_PKT1_SB_S8_PKT3_PKT4_S6_PT5_21rocsparse_index_base_b ; -- Begin function _ZN9rocsparseL20bsrxmvn_17_32_kernelILj28Efli18rocsparse_bfloat16S1_fEEvT2_20rocsparse_direction_NS_24const_host_device_scalarIT0_EES2_PKS2_PKT1_SB_S8_PKT3_PKT4_S6_PT5_21rocsparse_index_base_b
	.p2align	8
	.type	_ZN9rocsparseL20bsrxmvn_17_32_kernelILj28Efli18rocsparse_bfloat16S1_fEEvT2_20rocsparse_direction_NS_24const_host_device_scalarIT0_EES2_PKS2_PKT1_SB_S8_PKT3_PKT4_S6_PT5_21rocsparse_index_base_b,@function
_ZN9rocsparseL20bsrxmvn_17_32_kernelILj28Efli18rocsparse_bfloat16S1_fEEvT2_20rocsparse_direction_NS_24const_host_device_scalarIT0_EES2_PKS2_PKT1_SB_S8_PKT3_PKT4_S6_PT5_21rocsparse_index_base_b: ; @_ZN9rocsparseL20bsrxmvn_17_32_kernelILj28Efli18rocsparse_bfloat16S1_fEEvT2_20rocsparse_direction_NS_24const_host_device_scalarIT0_EES2_PKS2_PKT1_SB_S8_PKT3_PKT4_S6_PT5_21rocsparse_index_base_b
; %bb.0:
	s_load_dwordx2 s[18:19], s[4:5], 0x58
	s_load_dwordx2 s[14:15], s[4:5], 0x8
	;; [unrolled: 1-line block ×3, first 2 shown]
	s_waitcnt lgkmcnt(0)
	s_bitcmp1_b32 s19, 0
	s_cselect_b64 s[2:3], -1, 0
	s_xor_b64 s[0:1], s[2:3], -1
	s_and_b64 vcc, exec, s[2:3]
	s_cbranch_vccnz .LBB363_2
; %bb.1:
	s_load_dword s14, s[14:15], 0x0
.LBB363_2:
	s_andn2_b64 vcc, exec, s[0:1]
	s_cbranch_vccnz .LBB363_4
; %bb.3:
	s_load_dword s12, s[12:13], 0x0
.LBB363_4:
	s_waitcnt lgkmcnt(0)
	v_cmp_neq_f32_e64 s[0:1], s14, 0
	v_cmp_neq_f32_e64 s[2:3], s12, 1.0
	s_or_b64 s[0:1], s[0:1], s[2:3]
	s_andn2_b64 vcc, exec, s[0:1]
	s_cbranch_vccnz .LBB363_40
; %bb.5:
	s_load_dwordx4 s[0:3], s[4:5], 0x18
	s_load_dwordx2 s[8:9], s[4:5], 0x28
	s_waitcnt lgkmcnt(0)
	s_cmp_eq_u64 s[0:1], 0
	s_cbranch_scc1 .LBB363_7
; %bb.6:
	s_ashr_i32 s7, s6, 31
	s_lshl_b64 s[6:7], s[6:7], 2
	s_add_u32 s0, s0, s6
	s_addc_u32 s1, s1, s7
	s_load_dword s0, s[0:1], 0x0
	s_waitcnt lgkmcnt(0)
	s_sub_i32 s6, s0, s18
.LBB363_7:
	s_load_dword s7, s[4:5], 0x4
	s_load_dwordx2 s[16:17], s[4:5], 0x50
	v_mul_u32_u24_e32 v1, 0x925, v0
	v_mov_b32_e32 v2, 28
	v_mul_lo_u16_sdwa v2, v1, v2 dst_sel:DWORD dst_unused:UNUSED_PAD src0_sel:WORD_1 src1_sel:DWORD
	s_waitcnt lgkmcnt(0)
	s_cmp_eq_u32 s7, 1
	s_cselect_b64 s[0:1], -1, 0
	s_cmp_lg_u32 s7, 1
	s_cselect_b64 s[20:21], -1, 0
	s_ashr_i32 s7, s6, 31
	s_lshl_b64 s[10:11], s[6:7], 3
	s_add_u32 s2, s2, s10
	s_addc_u32 s3, s3, s11
	s_add_u32 s7, s2, 8
	s_addc_u32 s13, s3, 0
	;; [unrolled: 2-line block ×3, first 2 shown]
	s_cmp_eq_u64 s[8:9], 0
	s_cselect_b32 s9, s13, s11
	s_cselect_b32 s8, s7, s10
	s_load_dwordx2 s[22:23], s[8:9], 0x0
	s_load_dwordx2 s[24:25], s[2:3], 0x0
	v_sub_u16_e32 v9, v0, v2
	v_mov_b32_e32 v8, 0
	s_waitcnt lgkmcnt(0)
	v_mov_b32_e32 v2, s22
	v_mov_b32_e32 v3, s23
	v_cmp_ge_i64_e32 vcc, s[24:25], v[2:3]
	s_cbranch_vccnz .LBB363_12
; %bb.8:
	s_load_dwordx4 s[8:11], s[4:5], 0x30
	s_load_dwordx2 s[2:3], s[4:5], 0x40
	s_sub_u32 s4, s22, s18
	s_mov_b32 s7, 0xffff
	s_subb_u32 s5, s23, 0
	s_movk_i32 s13, 0x310
	v_and_b32_sdwa v1, s7, v1 dst_sel:DWORD dst_unused:UNUSED_PAD src0_sel:DWORD src1_sel:WORD_1
	v_subrev_u32_e32 v2, 28, v1
	v_cmp_gt_u32_e32 vcc, s13, v0
	s_sub_u32 s22, s24, s18
	v_cndmask_b32_e32 v1, v2, v1, vcc
	s_subb_u32 s23, s25, 0
	v_cndmask_b32_e64 v1, v9, v1, s[0:1]
	s_mul_i32 s0, s23, 0x620
	s_mul_hi_u32 s1, s22, 0x620
	s_add_i32 s1, s1, s0
	s_mul_i32 s0, s22, 0x620
	s_waitcnt lgkmcnt(0)
	s_add_u32 s0, s10, s0
	s_addc_u32 s1, s11, s1
	v_lshlrev_b32_e32 v2, 1, v0
	v_mov_b32_e32 v3, s1
	v_add_co_u32_e32 v2, vcc, s0, v2
	v_addc_co_u32_e32 v3, vcc, 0, v3, vcc
	s_movk_i32 s0, 0x30f
	v_cmp_lt_u32_e32 vcc, s0, v0
	v_cndmask_b32_e64 v10, 0, 1, vcc
	v_mov_b32_e32 v4, s25
	v_add_co_u32_e32 v5, vcc, s24, v10
	v_addc_co_u32_e32 v6, vcc, 0, v4, vcc
	v_subrev_co_u32_e32 v4, vcc, s18, v5
	v_subbrev_co_u32_e32 v5, vcc, 0, v6, vcc
	v_lshlrev_b64 v[4:5], 2, v[4:5]
	v_mov_b32_e32 v6, s9
	v_add_co_u32_e32 v4, vcc, s8, v4
	v_addc_co_u32_e32 v5, vcc, v6, v5, vcc
	v_mov_b32_e32 v7, s5
	v_mov_b32_e32 v8, 0
	;; [unrolled: 1-line block ×3, first 2 shown]
	s_branch .LBB363_10
.LBB363_9:                              ;   in Loop: Header=BB363_10 Depth=1
	s_or_b64 exec, exec, s[0:1]
	s_add_u32 s22, s22, 1
	s_addc_u32 s23, s23, 0
	v_cmp_lt_i64_e32 vcc, s[22:23], v[6:7]
	v_add_co_u32_e64 v4, s[0:1], 4, v4
	v_addc_co_u32_e64 v5, s[0:1], 0, v5, s[0:1]
	s_cbranch_vccz .LBB363_12
.LBB363_10:                             ; =>This Inner Loop Header: Depth=1
	v_mov_b32_e32 v12, s23
	v_add_co_u32_e32 v11, vcc, s22, v10
	v_addc_co_u32_e32 v12, vcc, 0, v12, vcc
	v_cmp_gt_i64_e32 vcc, s[4:5], v[11:12]
	s_and_saveexec_b64 s[0:1], vcc
	s_cbranch_execz .LBB363_9
; %bb.11:                               ;   in Loop: Header=BB363_10 Depth=1
	global_load_dword v11, v[4:5], off
	v_mov_b32_e32 v14, s3
	global_load_ushort v13, v[2:3], off
	s_waitcnt vmcnt(1)
	v_subrev_u32_e32 v11, s18, v11
	v_mad_u64_u32 v[11:12], s[8:9], v11, 28, v[1:2]
	v_ashrrev_i32_e32 v12, 31, v11
	v_lshlrev_b64 v[11:12], 1, v[11:12]
	v_add_co_u32_e32 v11, vcc, s2, v11
	v_addc_co_u32_e32 v12, vcc, v14, v12, vcc
	global_load_ushort v11, v[11:12], off
	v_add_co_u32_e32 v2, vcc, 0x620, v2
	s_waitcnt vmcnt(1)
	v_lshlrev_b32_e32 v12, 16, v13
	v_addc_co_u32_e32 v3, vcc, 0, v3, vcc
	s_waitcnt vmcnt(0)
	v_lshlrev_b32_e32 v11, 16, v11
	v_fmac_f32_e32 v8, v12, v11
	s_branch .LBB363_9
.LBB363_12:
	v_lshlrev_b32_e32 v1, 2, v0
	s_and_b64 vcc, exec, s[20:21]
	ds_write_b32 v1, v8
	s_waitcnt lgkmcnt(0)
	s_barrier
	s_cbranch_vccz .LBB363_24
; %bb.13:
	v_cmp_gt_u16_e32 vcc, 12, v9
	s_and_saveexec_b64 s[0:1], vcc
	s_cbranch_execz .LBB363_15
; %bb.14:
	ds_read2_b32 v[2:3], v1 offset1:16
	s_waitcnt lgkmcnt(0)
	v_add_f32_e32 v2, v3, v2
	ds_write_b32 v1, v2
.LBB363_15:
	s_or_b64 exec, exec, s[0:1]
	v_cmp_gt_u16_e32 vcc, 8, v9
	s_waitcnt lgkmcnt(0)
	s_barrier
	s_and_saveexec_b64 s[0:1], vcc
	s_cbranch_execz .LBB363_17
; %bb.16:
	ds_read2_b32 v[2:3], v1 offset1:8
	s_waitcnt lgkmcnt(0)
	v_add_f32_e32 v2, v3, v2
	ds_write_b32 v1, v2
.LBB363_17:
	s_or_b64 exec, exec, s[0:1]
	v_cmp_gt_u16_e32 vcc, 4, v9
	s_waitcnt lgkmcnt(0)
	s_barrier
	;; [unrolled: 12-line block ×3, first 2 shown]
	s_and_saveexec_b64 s[0:1], vcc
	s_cbranch_execz .LBB363_21
; %bb.20:
	ds_read2_b32 v[2:3], v1 offset1:2
	s_waitcnt lgkmcnt(0)
	v_add_f32_e32 v2, v3, v2
	ds_write_b32 v1, v2
.LBB363_21:
	s_or_b64 exec, exec, s[0:1]
	v_cmp_gt_u32_e32 vcc, 28, v0
	v_mov_b32_e32 v2, v8
	s_waitcnt lgkmcnt(0)
	s_barrier
	s_and_saveexec_b64 s[0:1], vcc
	s_cbranch_execz .LBB363_23
; %bb.22:
	s_movk_i32 s2, 0x6c
	v_mad_u32_u24 v2, v0, s2, v1
	ds_read_b64 v[2:3], v2
	s_waitcnt lgkmcnt(0)
	v_add_f32_e32 v2, v2, v3
.LBB363_23:
	s_or_b64 exec, exec, s[0:1]
	s_branch .LBB363_36
.LBB363_24:
                                        ; implicit-def: $vgpr2
	s_cbranch_execz .LBB363_36
; %bb.25:
	s_movk_i32 s0, 0x150
	v_cmp_gt_u32_e32 vcc, s0, v0
	s_and_saveexec_b64 s[0:1], vcc
	s_cbranch_execz .LBB363_27
; %bb.26:
	ds_read2st64_b32 v[2:3], v1 offset1:7
	s_waitcnt lgkmcnt(0)
	v_add_f32_e32 v2, v3, v2
	ds_write_b32 v1, v2
.LBB363_27:
	s_or_b64 exec, exec, s[0:1]
	s_movk_i32 s0, 0xe0
	v_cmp_gt_u32_e32 vcc, s0, v0
	s_waitcnt lgkmcnt(0)
	s_barrier
	s_and_saveexec_b64 s[0:1], vcc
	s_cbranch_execz .LBB363_29
; %bb.28:
	ds_read2_b32 v[2:3], v1 offset1:224
	s_waitcnt lgkmcnt(0)
	v_add_f32_e32 v2, v3, v2
	ds_write_b32 v1, v2
.LBB363_29:
	s_or_b64 exec, exec, s[0:1]
	s_movk_i32 s0, 0x70
	v_cmp_gt_u32_e32 vcc, s0, v0
	s_waitcnt lgkmcnt(0)
	s_barrier
	s_and_saveexec_b64 s[0:1], vcc
	s_cbranch_execz .LBB363_31
; %bb.30:
	ds_read2_b32 v[2:3], v1 offset1:112
	s_waitcnt lgkmcnt(0)
	v_add_f32_e32 v2, v3, v2
	ds_write_b32 v1, v2
.LBB363_31:
	s_or_b64 exec, exec, s[0:1]
	v_cmp_gt_u32_e32 vcc, 56, v0
	s_waitcnt lgkmcnt(0)
	s_barrier
	s_and_saveexec_b64 s[0:1], vcc
	s_cbranch_execz .LBB363_33
; %bb.32:
	ds_read2_b32 v[2:3], v1 offset1:56
	s_waitcnt lgkmcnt(0)
	v_add_f32_e32 v2, v3, v2
	ds_write_b32 v1, v2
.LBB363_33:
	s_or_b64 exec, exec, s[0:1]
	v_cmp_gt_u32_e32 vcc, 28, v0
	s_waitcnt lgkmcnt(0)
	s_and_saveexec_b64 s[0:1], vcc
	s_cbranch_execz .LBB363_35
; %bb.34:
	ds_read2_b32 v[1:2], v1 offset1:28
	s_waitcnt lgkmcnt(0)
	v_add_f32_e32 v8, v1, v2
.LBB363_35:
	s_or_b64 exec, exec, s[0:1]
	v_mov_b32_e32 v2, v8
.LBB363_36:
	v_cmp_gt_u32_e32 vcc, 28, v0
	s_and_saveexec_b64 s[0:1], vcc
	s_cbranch_execz .LBB363_40
; %bb.37:
	v_cmp_eq_f32_e64 s[0:1], s12, 0
	s_and_b64 vcc, exec, s[0:1]
	v_mul_f32_e32 v1, s14, v2
	s_cbranch_vccz .LBB363_41
; %bb.38:
	v_mad_u64_u32 v[2:3], s[0:1], s6, 28, v[0:1]
	v_mov_b32_e32 v3, 0
	v_mov_b32_e32 v4, s17
	v_lshlrev_b64 v[2:3], 2, v[2:3]
	v_add_co_u32_e32 v2, vcc, s16, v2
	v_addc_co_u32_e32 v3, vcc, v4, v3, vcc
	global_store_dword v[2:3], v1, off
	s_cbranch_execnz .LBB363_40
.LBB363_39:
	v_mad_u64_u32 v[2:3], s[0:1], s6, 28, v[0:1]
	v_mov_b32_e32 v3, 0
	v_mov_b32_e32 v0, s17
	v_lshlrev_b64 v[2:3], 2, v[2:3]
	v_add_co_u32_e32 v2, vcc, s16, v2
	v_addc_co_u32_e32 v3, vcc, v0, v3, vcc
	global_load_dword v0, v[2:3], off
	s_waitcnt vmcnt(0)
	v_fmac_f32_e32 v1, s12, v0
	global_store_dword v[2:3], v1, off
.LBB363_40:
	s_endpgm
.LBB363_41:
	s_branch .LBB363_39
	.section	.rodata,"a",@progbits
	.p2align	6, 0x0
	.amdhsa_kernel _ZN9rocsparseL20bsrxmvn_17_32_kernelILj28Efli18rocsparse_bfloat16S1_fEEvT2_20rocsparse_direction_NS_24const_host_device_scalarIT0_EES2_PKS2_PKT1_SB_S8_PKT3_PKT4_S6_PT5_21rocsparse_index_base_b
		.amdhsa_group_segment_fixed_size 3136
		.amdhsa_private_segment_fixed_size 0
		.amdhsa_kernarg_size 96
		.amdhsa_user_sgpr_count 6
		.amdhsa_user_sgpr_private_segment_buffer 1
		.amdhsa_user_sgpr_dispatch_ptr 0
		.amdhsa_user_sgpr_queue_ptr 0
		.amdhsa_user_sgpr_kernarg_segment_ptr 1
		.amdhsa_user_sgpr_dispatch_id 0
		.amdhsa_user_sgpr_flat_scratch_init 0
		.amdhsa_user_sgpr_private_segment_size 0
		.amdhsa_uses_dynamic_stack 0
		.amdhsa_system_sgpr_private_segment_wavefront_offset 0
		.amdhsa_system_sgpr_workgroup_id_x 1
		.amdhsa_system_sgpr_workgroup_id_y 0
		.amdhsa_system_sgpr_workgroup_id_z 0
		.amdhsa_system_sgpr_workgroup_info 0
		.amdhsa_system_vgpr_workitem_id 0
		.amdhsa_next_free_vgpr 15
		.amdhsa_next_free_sgpr 26
		.amdhsa_reserve_vcc 1
		.amdhsa_reserve_flat_scratch 0
		.amdhsa_float_round_mode_32 0
		.amdhsa_float_round_mode_16_64 0
		.amdhsa_float_denorm_mode_32 3
		.amdhsa_float_denorm_mode_16_64 3
		.amdhsa_dx10_clamp 1
		.amdhsa_ieee_mode 1
		.amdhsa_fp16_overflow 0
		.amdhsa_exception_fp_ieee_invalid_op 0
		.amdhsa_exception_fp_denorm_src 0
		.amdhsa_exception_fp_ieee_div_zero 0
		.amdhsa_exception_fp_ieee_overflow 0
		.amdhsa_exception_fp_ieee_underflow 0
		.amdhsa_exception_fp_ieee_inexact 0
		.amdhsa_exception_int_div_zero 0
	.end_amdhsa_kernel
	.section	.text._ZN9rocsparseL20bsrxmvn_17_32_kernelILj28Efli18rocsparse_bfloat16S1_fEEvT2_20rocsparse_direction_NS_24const_host_device_scalarIT0_EES2_PKS2_PKT1_SB_S8_PKT3_PKT4_S6_PT5_21rocsparse_index_base_b,"axG",@progbits,_ZN9rocsparseL20bsrxmvn_17_32_kernelILj28Efli18rocsparse_bfloat16S1_fEEvT2_20rocsparse_direction_NS_24const_host_device_scalarIT0_EES2_PKS2_PKT1_SB_S8_PKT3_PKT4_S6_PT5_21rocsparse_index_base_b,comdat
.Lfunc_end363:
	.size	_ZN9rocsparseL20bsrxmvn_17_32_kernelILj28Efli18rocsparse_bfloat16S1_fEEvT2_20rocsparse_direction_NS_24const_host_device_scalarIT0_EES2_PKS2_PKT1_SB_S8_PKT3_PKT4_S6_PT5_21rocsparse_index_base_b, .Lfunc_end363-_ZN9rocsparseL20bsrxmvn_17_32_kernelILj28Efli18rocsparse_bfloat16S1_fEEvT2_20rocsparse_direction_NS_24const_host_device_scalarIT0_EES2_PKS2_PKT1_SB_S8_PKT3_PKT4_S6_PT5_21rocsparse_index_base_b
                                        ; -- End function
	.set _ZN9rocsparseL20bsrxmvn_17_32_kernelILj28Efli18rocsparse_bfloat16S1_fEEvT2_20rocsparse_direction_NS_24const_host_device_scalarIT0_EES2_PKS2_PKT1_SB_S8_PKT3_PKT4_S6_PT5_21rocsparse_index_base_b.num_vgpr, 15
	.set _ZN9rocsparseL20bsrxmvn_17_32_kernelILj28Efli18rocsparse_bfloat16S1_fEEvT2_20rocsparse_direction_NS_24const_host_device_scalarIT0_EES2_PKS2_PKT1_SB_S8_PKT3_PKT4_S6_PT5_21rocsparse_index_base_b.num_agpr, 0
	.set _ZN9rocsparseL20bsrxmvn_17_32_kernelILj28Efli18rocsparse_bfloat16S1_fEEvT2_20rocsparse_direction_NS_24const_host_device_scalarIT0_EES2_PKS2_PKT1_SB_S8_PKT3_PKT4_S6_PT5_21rocsparse_index_base_b.numbered_sgpr, 26
	.set _ZN9rocsparseL20bsrxmvn_17_32_kernelILj28Efli18rocsparse_bfloat16S1_fEEvT2_20rocsparse_direction_NS_24const_host_device_scalarIT0_EES2_PKS2_PKT1_SB_S8_PKT3_PKT4_S6_PT5_21rocsparse_index_base_b.num_named_barrier, 0
	.set _ZN9rocsparseL20bsrxmvn_17_32_kernelILj28Efli18rocsparse_bfloat16S1_fEEvT2_20rocsparse_direction_NS_24const_host_device_scalarIT0_EES2_PKS2_PKT1_SB_S8_PKT3_PKT4_S6_PT5_21rocsparse_index_base_b.private_seg_size, 0
	.set _ZN9rocsparseL20bsrxmvn_17_32_kernelILj28Efli18rocsparse_bfloat16S1_fEEvT2_20rocsparse_direction_NS_24const_host_device_scalarIT0_EES2_PKS2_PKT1_SB_S8_PKT3_PKT4_S6_PT5_21rocsparse_index_base_b.uses_vcc, 1
	.set _ZN9rocsparseL20bsrxmvn_17_32_kernelILj28Efli18rocsparse_bfloat16S1_fEEvT2_20rocsparse_direction_NS_24const_host_device_scalarIT0_EES2_PKS2_PKT1_SB_S8_PKT3_PKT4_S6_PT5_21rocsparse_index_base_b.uses_flat_scratch, 0
	.set _ZN9rocsparseL20bsrxmvn_17_32_kernelILj28Efli18rocsparse_bfloat16S1_fEEvT2_20rocsparse_direction_NS_24const_host_device_scalarIT0_EES2_PKS2_PKT1_SB_S8_PKT3_PKT4_S6_PT5_21rocsparse_index_base_b.has_dyn_sized_stack, 0
	.set _ZN9rocsparseL20bsrxmvn_17_32_kernelILj28Efli18rocsparse_bfloat16S1_fEEvT2_20rocsparse_direction_NS_24const_host_device_scalarIT0_EES2_PKS2_PKT1_SB_S8_PKT3_PKT4_S6_PT5_21rocsparse_index_base_b.has_recursion, 0
	.set _ZN9rocsparseL20bsrxmvn_17_32_kernelILj28Efli18rocsparse_bfloat16S1_fEEvT2_20rocsparse_direction_NS_24const_host_device_scalarIT0_EES2_PKS2_PKT1_SB_S8_PKT3_PKT4_S6_PT5_21rocsparse_index_base_b.has_indirect_call, 0
	.section	.AMDGPU.csdata,"",@progbits
; Kernel info:
; codeLenInByte = 1320
; TotalNumSgprs: 30
; NumVgprs: 15
; ScratchSize: 0
; MemoryBound: 0
; FloatMode: 240
; IeeeMode: 1
; LDSByteSize: 3136 bytes/workgroup (compile time only)
; SGPRBlocks: 3
; VGPRBlocks: 3
; NumSGPRsForWavesPerEU: 30
; NumVGPRsForWavesPerEU: 15
; Occupancy: 10
; WaveLimiterHint : 1
; COMPUTE_PGM_RSRC2:SCRATCH_EN: 0
; COMPUTE_PGM_RSRC2:USER_SGPR: 6
; COMPUTE_PGM_RSRC2:TRAP_HANDLER: 0
; COMPUTE_PGM_RSRC2:TGID_X_EN: 1
; COMPUTE_PGM_RSRC2:TGID_Y_EN: 0
; COMPUTE_PGM_RSRC2:TGID_Z_EN: 0
; COMPUTE_PGM_RSRC2:TIDIG_COMP_CNT: 0
	.section	.text._ZN9rocsparseL20bsrxmvn_17_32_kernelILj29Efli18rocsparse_bfloat16S1_fEEvT2_20rocsparse_direction_NS_24const_host_device_scalarIT0_EES2_PKS2_PKT1_SB_S8_PKT3_PKT4_S6_PT5_21rocsparse_index_base_b,"axG",@progbits,_ZN9rocsparseL20bsrxmvn_17_32_kernelILj29Efli18rocsparse_bfloat16S1_fEEvT2_20rocsparse_direction_NS_24const_host_device_scalarIT0_EES2_PKS2_PKT1_SB_S8_PKT3_PKT4_S6_PT5_21rocsparse_index_base_b,comdat
	.globl	_ZN9rocsparseL20bsrxmvn_17_32_kernelILj29Efli18rocsparse_bfloat16S1_fEEvT2_20rocsparse_direction_NS_24const_host_device_scalarIT0_EES2_PKS2_PKT1_SB_S8_PKT3_PKT4_S6_PT5_21rocsparse_index_base_b ; -- Begin function _ZN9rocsparseL20bsrxmvn_17_32_kernelILj29Efli18rocsparse_bfloat16S1_fEEvT2_20rocsparse_direction_NS_24const_host_device_scalarIT0_EES2_PKS2_PKT1_SB_S8_PKT3_PKT4_S6_PT5_21rocsparse_index_base_b
	.p2align	8
	.type	_ZN9rocsparseL20bsrxmvn_17_32_kernelILj29Efli18rocsparse_bfloat16S1_fEEvT2_20rocsparse_direction_NS_24const_host_device_scalarIT0_EES2_PKS2_PKT1_SB_S8_PKT3_PKT4_S6_PT5_21rocsparse_index_base_b,@function
_ZN9rocsparseL20bsrxmvn_17_32_kernelILj29Efli18rocsparse_bfloat16S1_fEEvT2_20rocsparse_direction_NS_24const_host_device_scalarIT0_EES2_PKS2_PKT1_SB_S8_PKT3_PKT4_S6_PT5_21rocsparse_index_base_b: ; @_ZN9rocsparseL20bsrxmvn_17_32_kernelILj29Efli18rocsparse_bfloat16S1_fEEvT2_20rocsparse_direction_NS_24const_host_device_scalarIT0_EES2_PKS2_PKT1_SB_S8_PKT3_PKT4_S6_PT5_21rocsparse_index_base_b
; %bb.0:
	s_load_dwordx2 s[18:19], s[4:5], 0x58
	s_load_dwordx2 s[14:15], s[4:5], 0x8
	;; [unrolled: 1-line block ×3, first 2 shown]
	s_waitcnt lgkmcnt(0)
	s_bitcmp1_b32 s19, 0
	s_cselect_b64 s[2:3], -1, 0
	s_xor_b64 s[0:1], s[2:3], -1
	s_and_b64 vcc, exec, s[2:3]
	s_cbranch_vccnz .LBB364_2
; %bb.1:
	s_load_dword s14, s[14:15], 0x0
.LBB364_2:
	s_andn2_b64 vcc, exec, s[0:1]
	s_cbranch_vccnz .LBB364_4
; %bb.3:
	s_load_dword s12, s[12:13], 0x0
.LBB364_4:
	s_waitcnt lgkmcnt(0)
	v_cmp_neq_f32_e64 s[0:1], s14, 0
	v_cmp_neq_f32_e64 s[2:3], s12, 1.0
	s_or_b64 s[0:1], s[0:1], s[2:3]
	s_andn2_b64 vcc, exec, s[0:1]
	s_cbranch_vccnz .LBB364_40
; %bb.5:
	s_load_dwordx4 s[0:3], s[4:5], 0x18
	s_load_dwordx2 s[8:9], s[4:5], 0x28
	s_waitcnt lgkmcnt(0)
	s_cmp_eq_u64 s[0:1], 0
	s_cbranch_scc1 .LBB364_7
; %bb.6:
	s_ashr_i32 s7, s6, 31
	s_lshl_b64 s[6:7], s[6:7], 2
	s_add_u32 s0, s0, s6
	s_addc_u32 s1, s1, s7
	s_load_dword s0, s[0:1], 0x0
	s_waitcnt lgkmcnt(0)
	s_sub_i32 s6, s0, s18
.LBB364_7:
	s_load_dword s7, s[4:5], 0x4
	s_load_dwordx2 s[16:17], s[4:5], 0x50
	v_mul_u32_u24_e32 v1, 0x8d4, v0
	v_mov_b32_e32 v2, 29
	v_mul_lo_u16_sdwa v2, v1, v2 dst_sel:DWORD dst_unused:UNUSED_PAD src0_sel:WORD_1 src1_sel:DWORD
	s_waitcnt lgkmcnt(0)
	s_cmp_eq_u32 s7, 1
	s_cselect_b64 s[0:1], -1, 0
	s_cmp_lg_u32 s7, 1
	s_cselect_b64 s[20:21], -1, 0
	s_ashr_i32 s7, s6, 31
	s_lshl_b64 s[10:11], s[6:7], 3
	s_add_u32 s2, s2, s10
	s_addc_u32 s3, s3, s11
	s_add_u32 s7, s2, 8
	s_addc_u32 s13, s3, 0
	;; [unrolled: 2-line block ×3, first 2 shown]
	s_cmp_eq_u64 s[8:9], 0
	s_cselect_b32 s9, s13, s11
	s_cselect_b32 s8, s7, s10
	s_load_dwordx2 s[22:23], s[8:9], 0x0
	s_load_dwordx2 s[24:25], s[2:3], 0x0
	v_sub_u16_e32 v9, v0, v2
	v_mov_b32_e32 v8, 0
	s_waitcnt lgkmcnt(0)
	v_mov_b32_e32 v2, s22
	v_mov_b32_e32 v3, s23
	v_cmp_ge_i64_e32 vcc, s[24:25], v[2:3]
	s_cbranch_vccnz .LBB364_12
; %bb.8:
	s_load_dwordx4 s[8:11], s[4:5], 0x30
	s_load_dwordx2 s[2:3], s[4:5], 0x40
	s_sub_u32 s4, s22, s18
	s_mov_b32 s7, 0xffff
	s_subb_u32 s5, s23, 0
	s_movk_i32 s13, 0x349
	v_and_b32_sdwa v1, s7, v1 dst_sel:DWORD dst_unused:UNUSED_PAD src0_sel:DWORD src1_sel:WORD_1
	v_subrev_u32_e32 v2, 29, v1
	v_cmp_gt_u32_e32 vcc, s13, v0
	s_sub_u32 s22, s24, s18
	v_cndmask_b32_e32 v1, v2, v1, vcc
	s_subb_u32 s23, s25, 0
	v_cndmask_b32_e64 v1, v9, v1, s[0:1]
	s_mul_i32 s0, s23, 0x692
	s_mul_hi_u32 s1, s22, 0x692
	s_add_i32 s1, s1, s0
	s_mul_i32 s0, s22, 0x692
	s_waitcnt lgkmcnt(0)
	s_add_u32 s0, s10, s0
	s_addc_u32 s1, s11, s1
	v_lshlrev_b32_e32 v2, 1, v0
	v_mov_b32_e32 v3, s1
	v_add_co_u32_e32 v2, vcc, s0, v2
	v_addc_co_u32_e32 v3, vcc, 0, v3, vcc
	s_movk_i32 s0, 0x348
	v_cmp_lt_u32_e32 vcc, s0, v0
	v_cndmask_b32_e64 v10, 0, 1, vcc
	v_mov_b32_e32 v4, s25
	v_add_co_u32_e32 v5, vcc, s24, v10
	v_addc_co_u32_e32 v6, vcc, 0, v4, vcc
	v_subrev_co_u32_e32 v4, vcc, s18, v5
	v_subbrev_co_u32_e32 v5, vcc, 0, v6, vcc
	v_lshlrev_b64 v[4:5], 2, v[4:5]
	v_mov_b32_e32 v6, s9
	v_add_co_u32_e32 v4, vcc, s8, v4
	v_addc_co_u32_e32 v5, vcc, v6, v5, vcc
	v_mov_b32_e32 v7, s5
	v_mov_b32_e32 v8, 0
	;; [unrolled: 1-line block ×3, first 2 shown]
	s_branch .LBB364_10
.LBB364_9:                              ;   in Loop: Header=BB364_10 Depth=1
	s_or_b64 exec, exec, s[0:1]
	s_add_u32 s22, s22, 1
	s_addc_u32 s23, s23, 0
	v_cmp_lt_i64_e32 vcc, s[22:23], v[6:7]
	v_add_co_u32_e64 v4, s[0:1], 4, v4
	v_addc_co_u32_e64 v5, s[0:1], 0, v5, s[0:1]
	s_cbranch_vccz .LBB364_12
.LBB364_10:                             ; =>This Inner Loop Header: Depth=1
	v_mov_b32_e32 v12, s23
	v_add_co_u32_e32 v11, vcc, s22, v10
	v_addc_co_u32_e32 v12, vcc, 0, v12, vcc
	v_cmp_gt_i64_e32 vcc, s[4:5], v[11:12]
	s_and_saveexec_b64 s[0:1], vcc
	s_cbranch_execz .LBB364_9
; %bb.11:                               ;   in Loop: Header=BB364_10 Depth=1
	global_load_dword v11, v[4:5], off
	v_mov_b32_e32 v14, s3
	global_load_ushort v13, v[2:3], off
	s_waitcnt vmcnt(1)
	v_subrev_u32_e32 v11, s18, v11
	v_mad_u64_u32 v[11:12], s[8:9], v11, 29, v[1:2]
	v_ashrrev_i32_e32 v12, 31, v11
	v_lshlrev_b64 v[11:12], 1, v[11:12]
	v_add_co_u32_e32 v11, vcc, s2, v11
	v_addc_co_u32_e32 v12, vcc, v14, v12, vcc
	global_load_ushort v11, v[11:12], off
	v_add_co_u32_e32 v2, vcc, 0x692, v2
	s_waitcnt vmcnt(1)
	v_lshlrev_b32_e32 v12, 16, v13
	v_addc_co_u32_e32 v3, vcc, 0, v3, vcc
	s_waitcnt vmcnt(0)
	v_lshlrev_b32_e32 v11, 16, v11
	v_fmac_f32_e32 v8, v12, v11
	s_branch .LBB364_9
.LBB364_12:
	v_lshlrev_b32_e32 v1, 2, v0
	s_and_b64 vcc, exec, s[20:21]
	ds_write_b32 v1, v8
	s_waitcnt lgkmcnt(0)
	s_barrier
	s_cbranch_vccz .LBB364_24
; %bb.13:
	v_cmp_gt_u16_e32 vcc, 13, v9
	s_and_saveexec_b64 s[0:1], vcc
	s_cbranch_execz .LBB364_15
; %bb.14:
	ds_read2_b32 v[2:3], v1 offset1:16
	s_waitcnt lgkmcnt(0)
	v_add_f32_e32 v2, v3, v2
	ds_write_b32 v1, v2
.LBB364_15:
	s_or_b64 exec, exec, s[0:1]
	v_cmp_gt_u16_e32 vcc, 8, v9
	s_waitcnt lgkmcnt(0)
	s_barrier
	s_and_saveexec_b64 s[0:1], vcc
	s_cbranch_execz .LBB364_17
; %bb.16:
	ds_read2_b32 v[2:3], v1 offset1:8
	s_waitcnt lgkmcnt(0)
	v_add_f32_e32 v2, v3, v2
	ds_write_b32 v1, v2
.LBB364_17:
	s_or_b64 exec, exec, s[0:1]
	v_cmp_gt_u16_e32 vcc, 4, v9
	s_waitcnt lgkmcnt(0)
	s_barrier
	;; [unrolled: 12-line block ×3, first 2 shown]
	s_and_saveexec_b64 s[0:1], vcc
	s_cbranch_execz .LBB364_21
; %bb.20:
	ds_read2_b32 v[2:3], v1 offset1:2
	s_waitcnt lgkmcnt(0)
	v_add_f32_e32 v2, v3, v2
	ds_write_b32 v1, v2
.LBB364_21:
	s_or_b64 exec, exec, s[0:1]
	v_cmp_gt_u32_e32 vcc, 29, v0
	v_mov_b32_e32 v2, v8
	s_waitcnt lgkmcnt(0)
	s_barrier
	s_and_saveexec_b64 s[0:1], vcc
	s_cbranch_execz .LBB364_23
; %bb.22:
	s_movk_i32 s2, 0x70
	v_mad_u32_u24 v2, v0, s2, v1
	ds_read2_b32 v[2:3], v2 offset1:1
	s_waitcnt lgkmcnt(0)
	v_add_f32_e32 v2, v2, v3
.LBB364_23:
	s_or_b64 exec, exec, s[0:1]
	s_branch .LBB364_36
.LBB364_24:
                                        ; implicit-def: $vgpr2
	s_cbranch_execz .LBB364_36
; %bb.25:
	s_movk_i32 s0, 0x179
	v_cmp_gt_u32_e32 vcc, s0, v0
	s_and_saveexec_b64 s[0:1], vcc
	s_cbranch_execz .LBB364_27
; %bb.26:
	ds_read_b32 v2, v1 offset:1856
	ds_read_b32 v3, v1
	s_waitcnt lgkmcnt(0)
	v_add_f32_e32 v2, v2, v3
	ds_write_b32 v1, v2
.LBB364_27:
	s_or_b64 exec, exec, s[0:1]
	s_movk_i32 s0, 0xe8
	v_cmp_gt_u32_e32 vcc, s0, v0
	s_waitcnt lgkmcnt(0)
	s_barrier
	s_and_saveexec_b64 s[0:1], vcc
	s_cbranch_execz .LBB364_29
; %bb.28:
	ds_read2_b32 v[2:3], v1 offset1:232
	s_waitcnt lgkmcnt(0)
	v_add_f32_e32 v2, v3, v2
	ds_write_b32 v1, v2
.LBB364_29:
	s_or_b64 exec, exec, s[0:1]
	s_movk_i32 s0, 0x74
	v_cmp_gt_u32_e32 vcc, s0, v0
	s_waitcnt lgkmcnt(0)
	s_barrier
	s_and_saveexec_b64 s[0:1], vcc
	s_cbranch_execz .LBB364_31
; %bb.30:
	ds_read2_b32 v[2:3], v1 offset1:116
	s_waitcnt lgkmcnt(0)
	v_add_f32_e32 v2, v3, v2
	ds_write_b32 v1, v2
.LBB364_31:
	s_or_b64 exec, exec, s[0:1]
	v_cmp_gt_u32_e32 vcc, 58, v0
	s_waitcnt lgkmcnt(0)
	s_barrier
	s_and_saveexec_b64 s[0:1], vcc
	s_cbranch_execz .LBB364_33
; %bb.32:
	ds_read2_b32 v[2:3], v1 offset1:58
	s_waitcnt lgkmcnt(0)
	v_add_f32_e32 v2, v3, v2
	ds_write_b32 v1, v2
.LBB364_33:
	s_or_b64 exec, exec, s[0:1]
	v_cmp_gt_u32_e32 vcc, 29, v0
	s_waitcnt lgkmcnt(0)
	s_and_saveexec_b64 s[0:1], vcc
	s_cbranch_execz .LBB364_35
; %bb.34:
	ds_read2_b32 v[1:2], v1 offset1:29
	s_waitcnt lgkmcnt(0)
	v_add_f32_e32 v8, v1, v2
.LBB364_35:
	s_or_b64 exec, exec, s[0:1]
	v_mov_b32_e32 v2, v8
.LBB364_36:
	v_cmp_gt_u32_e32 vcc, 29, v0
	s_and_saveexec_b64 s[0:1], vcc
	s_cbranch_execz .LBB364_40
; %bb.37:
	v_cmp_eq_f32_e64 s[0:1], s12, 0
	s_and_b64 vcc, exec, s[0:1]
	v_mul_f32_e32 v1, s14, v2
	s_cbranch_vccz .LBB364_41
; %bb.38:
	v_mad_u64_u32 v[2:3], s[0:1], s6, 29, v[0:1]
	v_mov_b32_e32 v3, 0
	v_mov_b32_e32 v4, s17
	v_lshlrev_b64 v[2:3], 2, v[2:3]
	v_add_co_u32_e32 v2, vcc, s16, v2
	v_addc_co_u32_e32 v3, vcc, v4, v3, vcc
	global_store_dword v[2:3], v1, off
	s_cbranch_execnz .LBB364_40
.LBB364_39:
	v_mad_u64_u32 v[2:3], s[0:1], s6, 29, v[0:1]
	v_mov_b32_e32 v3, 0
	v_mov_b32_e32 v0, s17
	v_lshlrev_b64 v[2:3], 2, v[2:3]
	v_add_co_u32_e32 v2, vcc, s16, v2
	v_addc_co_u32_e32 v3, vcc, v0, v3, vcc
	global_load_dword v0, v[2:3], off
	s_waitcnt vmcnt(0)
	v_fmac_f32_e32 v1, s12, v0
	global_store_dword v[2:3], v1, off
.LBB364_40:
	s_endpgm
.LBB364_41:
	s_branch .LBB364_39
	.section	.rodata,"a",@progbits
	.p2align	6, 0x0
	.amdhsa_kernel _ZN9rocsparseL20bsrxmvn_17_32_kernelILj29Efli18rocsparse_bfloat16S1_fEEvT2_20rocsparse_direction_NS_24const_host_device_scalarIT0_EES2_PKS2_PKT1_SB_S8_PKT3_PKT4_S6_PT5_21rocsparse_index_base_b
		.amdhsa_group_segment_fixed_size 3364
		.amdhsa_private_segment_fixed_size 0
		.amdhsa_kernarg_size 96
		.amdhsa_user_sgpr_count 6
		.amdhsa_user_sgpr_private_segment_buffer 1
		.amdhsa_user_sgpr_dispatch_ptr 0
		.amdhsa_user_sgpr_queue_ptr 0
		.amdhsa_user_sgpr_kernarg_segment_ptr 1
		.amdhsa_user_sgpr_dispatch_id 0
		.amdhsa_user_sgpr_flat_scratch_init 0
		.amdhsa_user_sgpr_private_segment_size 0
		.amdhsa_uses_dynamic_stack 0
		.amdhsa_system_sgpr_private_segment_wavefront_offset 0
		.amdhsa_system_sgpr_workgroup_id_x 1
		.amdhsa_system_sgpr_workgroup_id_y 0
		.amdhsa_system_sgpr_workgroup_id_z 0
		.amdhsa_system_sgpr_workgroup_info 0
		.amdhsa_system_vgpr_workitem_id 0
		.amdhsa_next_free_vgpr 33
		.amdhsa_next_free_sgpr 77
		.amdhsa_reserve_vcc 1
		.amdhsa_reserve_flat_scratch 0
		.amdhsa_float_round_mode_32 0
		.amdhsa_float_round_mode_16_64 0
		.amdhsa_float_denorm_mode_32 3
		.amdhsa_float_denorm_mode_16_64 3
		.amdhsa_dx10_clamp 1
		.amdhsa_ieee_mode 1
		.amdhsa_fp16_overflow 0
		.amdhsa_exception_fp_ieee_invalid_op 0
		.amdhsa_exception_fp_denorm_src 0
		.amdhsa_exception_fp_ieee_div_zero 0
		.amdhsa_exception_fp_ieee_overflow 0
		.amdhsa_exception_fp_ieee_underflow 0
		.amdhsa_exception_fp_ieee_inexact 0
		.amdhsa_exception_int_div_zero 0
	.end_amdhsa_kernel
	.section	.text._ZN9rocsparseL20bsrxmvn_17_32_kernelILj29Efli18rocsparse_bfloat16S1_fEEvT2_20rocsparse_direction_NS_24const_host_device_scalarIT0_EES2_PKS2_PKT1_SB_S8_PKT3_PKT4_S6_PT5_21rocsparse_index_base_b,"axG",@progbits,_ZN9rocsparseL20bsrxmvn_17_32_kernelILj29Efli18rocsparse_bfloat16S1_fEEvT2_20rocsparse_direction_NS_24const_host_device_scalarIT0_EES2_PKS2_PKT1_SB_S8_PKT3_PKT4_S6_PT5_21rocsparse_index_base_b,comdat
.Lfunc_end364:
	.size	_ZN9rocsparseL20bsrxmvn_17_32_kernelILj29Efli18rocsparse_bfloat16S1_fEEvT2_20rocsparse_direction_NS_24const_host_device_scalarIT0_EES2_PKS2_PKT1_SB_S8_PKT3_PKT4_S6_PT5_21rocsparse_index_base_b, .Lfunc_end364-_ZN9rocsparseL20bsrxmvn_17_32_kernelILj29Efli18rocsparse_bfloat16S1_fEEvT2_20rocsparse_direction_NS_24const_host_device_scalarIT0_EES2_PKS2_PKT1_SB_S8_PKT3_PKT4_S6_PT5_21rocsparse_index_base_b
                                        ; -- End function
	.set _ZN9rocsparseL20bsrxmvn_17_32_kernelILj29Efli18rocsparse_bfloat16S1_fEEvT2_20rocsparse_direction_NS_24const_host_device_scalarIT0_EES2_PKS2_PKT1_SB_S8_PKT3_PKT4_S6_PT5_21rocsparse_index_base_b.num_vgpr, 15
	.set _ZN9rocsparseL20bsrxmvn_17_32_kernelILj29Efli18rocsparse_bfloat16S1_fEEvT2_20rocsparse_direction_NS_24const_host_device_scalarIT0_EES2_PKS2_PKT1_SB_S8_PKT3_PKT4_S6_PT5_21rocsparse_index_base_b.num_agpr, 0
	.set _ZN9rocsparseL20bsrxmvn_17_32_kernelILj29Efli18rocsparse_bfloat16S1_fEEvT2_20rocsparse_direction_NS_24const_host_device_scalarIT0_EES2_PKS2_PKT1_SB_S8_PKT3_PKT4_S6_PT5_21rocsparse_index_base_b.numbered_sgpr, 26
	.set _ZN9rocsparseL20bsrxmvn_17_32_kernelILj29Efli18rocsparse_bfloat16S1_fEEvT2_20rocsparse_direction_NS_24const_host_device_scalarIT0_EES2_PKS2_PKT1_SB_S8_PKT3_PKT4_S6_PT5_21rocsparse_index_base_b.num_named_barrier, 0
	.set _ZN9rocsparseL20bsrxmvn_17_32_kernelILj29Efli18rocsparse_bfloat16S1_fEEvT2_20rocsparse_direction_NS_24const_host_device_scalarIT0_EES2_PKS2_PKT1_SB_S8_PKT3_PKT4_S6_PT5_21rocsparse_index_base_b.private_seg_size, 0
	.set _ZN9rocsparseL20bsrxmvn_17_32_kernelILj29Efli18rocsparse_bfloat16S1_fEEvT2_20rocsparse_direction_NS_24const_host_device_scalarIT0_EES2_PKS2_PKT1_SB_S8_PKT3_PKT4_S6_PT5_21rocsparse_index_base_b.uses_vcc, 1
	.set _ZN9rocsparseL20bsrxmvn_17_32_kernelILj29Efli18rocsparse_bfloat16S1_fEEvT2_20rocsparse_direction_NS_24const_host_device_scalarIT0_EES2_PKS2_PKT1_SB_S8_PKT3_PKT4_S6_PT5_21rocsparse_index_base_b.uses_flat_scratch, 0
	.set _ZN9rocsparseL20bsrxmvn_17_32_kernelILj29Efli18rocsparse_bfloat16S1_fEEvT2_20rocsparse_direction_NS_24const_host_device_scalarIT0_EES2_PKS2_PKT1_SB_S8_PKT3_PKT4_S6_PT5_21rocsparse_index_base_b.has_dyn_sized_stack, 0
	.set _ZN9rocsparseL20bsrxmvn_17_32_kernelILj29Efli18rocsparse_bfloat16S1_fEEvT2_20rocsparse_direction_NS_24const_host_device_scalarIT0_EES2_PKS2_PKT1_SB_S8_PKT3_PKT4_S6_PT5_21rocsparse_index_base_b.has_recursion, 0
	.set _ZN9rocsparseL20bsrxmvn_17_32_kernelILj29Efli18rocsparse_bfloat16S1_fEEvT2_20rocsparse_direction_NS_24const_host_device_scalarIT0_EES2_PKS2_PKT1_SB_S8_PKT3_PKT4_S6_PT5_21rocsparse_index_base_b.has_indirect_call, 0
	.section	.AMDGPU.csdata,"",@progbits
; Kernel info:
; codeLenInByte = 1328
; TotalNumSgprs: 30
; NumVgprs: 15
; ScratchSize: 0
; MemoryBound: 0
; FloatMode: 240
; IeeeMode: 1
; LDSByteSize: 3364 bytes/workgroup (compile time only)
; SGPRBlocks: 10
; VGPRBlocks: 8
; NumSGPRsForWavesPerEU: 81
; NumVGPRsForWavesPerEU: 33
; Occupancy: 7
; WaveLimiterHint : 1
; COMPUTE_PGM_RSRC2:SCRATCH_EN: 0
; COMPUTE_PGM_RSRC2:USER_SGPR: 6
; COMPUTE_PGM_RSRC2:TRAP_HANDLER: 0
; COMPUTE_PGM_RSRC2:TGID_X_EN: 1
; COMPUTE_PGM_RSRC2:TGID_Y_EN: 0
; COMPUTE_PGM_RSRC2:TGID_Z_EN: 0
; COMPUTE_PGM_RSRC2:TIDIG_COMP_CNT: 0
	.section	.text._ZN9rocsparseL20bsrxmvn_17_32_kernelILj30Efli18rocsparse_bfloat16S1_fEEvT2_20rocsparse_direction_NS_24const_host_device_scalarIT0_EES2_PKS2_PKT1_SB_S8_PKT3_PKT4_S6_PT5_21rocsparse_index_base_b,"axG",@progbits,_ZN9rocsparseL20bsrxmvn_17_32_kernelILj30Efli18rocsparse_bfloat16S1_fEEvT2_20rocsparse_direction_NS_24const_host_device_scalarIT0_EES2_PKS2_PKT1_SB_S8_PKT3_PKT4_S6_PT5_21rocsparse_index_base_b,comdat
	.globl	_ZN9rocsparseL20bsrxmvn_17_32_kernelILj30Efli18rocsparse_bfloat16S1_fEEvT2_20rocsparse_direction_NS_24const_host_device_scalarIT0_EES2_PKS2_PKT1_SB_S8_PKT3_PKT4_S6_PT5_21rocsparse_index_base_b ; -- Begin function _ZN9rocsparseL20bsrxmvn_17_32_kernelILj30Efli18rocsparse_bfloat16S1_fEEvT2_20rocsparse_direction_NS_24const_host_device_scalarIT0_EES2_PKS2_PKT1_SB_S8_PKT3_PKT4_S6_PT5_21rocsparse_index_base_b
	.p2align	8
	.type	_ZN9rocsparseL20bsrxmvn_17_32_kernelILj30Efli18rocsparse_bfloat16S1_fEEvT2_20rocsparse_direction_NS_24const_host_device_scalarIT0_EES2_PKS2_PKT1_SB_S8_PKT3_PKT4_S6_PT5_21rocsparse_index_base_b,@function
_ZN9rocsparseL20bsrxmvn_17_32_kernelILj30Efli18rocsparse_bfloat16S1_fEEvT2_20rocsparse_direction_NS_24const_host_device_scalarIT0_EES2_PKS2_PKT1_SB_S8_PKT3_PKT4_S6_PT5_21rocsparse_index_base_b: ; @_ZN9rocsparseL20bsrxmvn_17_32_kernelILj30Efli18rocsparse_bfloat16S1_fEEvT2_20rocsparse_direction_NS_24const_host_device_scalarIT0_EES2_PKS2_PKT1_SB_S8_PKT3_PKT4_S6_PT5_21rocsparse_index_base_b
; %bb.0:
	s_load_dwordx2 s[18:19], s[4:5], 0x58
	s_load_dwordx2 s[14:15], s[4:5], 0x8
	;; [unrolled: 1-line block ×3, first 2 shown]
	s_waitcnt lgkmcnt(0)
	s_bitcmp1_b32 s19, 0
	s_cselect_b64 s[2:3], -1, 0
	s_xor_b64 s[0:1], s[2:3], -1
	s_and_b64 vcc, exec, s[2:3]
	s_cbranch_vccnz .LBB365_2
; %bb.1:
	s_load_dword s14, s[14:15], 0x0
.LBB365_2:
	s_andn2_b64 vcc, exec, s[0:1]
	s_cbranch_vccnz .LBB365_4
; %bb.3:
	s_load_dword s12, s[12:13], 0x0
.LBB365_4:
	s_waitcnt lgkmcnt(0)
	v_cmp_neq_f32_e64 s[0:1], s14, 0
	v_cmp_neq_f32_e64 s[2:3], s12, 1.0
	s_or_b64 s[0:1], s[0:1], s[2:3]
	s_andn2_b64 vcc, exec, s[0:1]
	s_cbranch_vccnz .LBB365_40
; %bb.5:
	s_load_dwordx4 s[0:3], s[4:5], 0x18
	s_load_dwordx2 s[8:9], s[4:5], 0x28
	s_waitcnt lgkmcnt(0)
	s_cmp_eq_u64 s[0:1], 0
	s_cbranch_scc1 .LBB365_7
; %bb.6:
	s_ashr_i32 s7, s6, 31
	s_lshl_b64 s[6:7], s[6:7], 2
	s_add_u32 s0, s0, s6
	s_addc_u32 s1, s1, s7
	s_load_dword s0, s[0:1], 0x0
	s_waitcnt lgkmcnt(0)
	s_sub_i32 s6, s0, s18
.LBB365_7:
	s_load_dword s7, s[4:5], 0x4
	s_load_dwordx2 s[16:17], s[4:5], 0x50
	v_mul_u32_u24_e32 v1, 0x889, v0
	v_mov_b32_e32 v2, 30
	v_mul_lo_u16_sdwa v2, v1, v2 dst_sel:DWORD dst_unused:UNUSED_PAD src0_sel:WORD_1 src1_sel:DWORD
	s_waitcnt lgkmcnt(0)
	s_cmp_eq_u32 s7, 1
	s_cselect_b64 s[0:1], -1, 0
	s_cmp_lg_u32 s7, 1
	s_cselect_b64 s[20:21], -1, 0
	s_ashr_i32 s7, s6, 31
	s_lshl_b64 s[10:11], s[6:7], 3
	s_add_u32 s2, s2, s10
	s_addc_u32 s3, s3, s11
	s_add_u32 s7, s2, 8
	s_addc_u32 s13, s3, 0
	s_add_u32 s10, s8, s10
	s_addc_u32 s11, s9, s11
	s_cmp_eq_u64 s[8:9], 0
	s_cselect_b32 s9, s13, s11
	s_cselect_b32 s8, s7, s10
	s_load_dwordx2 s[22:23], s[8:9], 0x0
	s_load_dwordx2 s[24:25], s[2:3], 0x0
	v_sub_u16_e32 v9, v0, v2
	v_mov_b32_e32 v8, 0
	s_waitcnt lgkmcnt(0)
	v_mov_b32_e32 v2, s22
	v_mov_b32_e32 v3, s23
	v_cmp_ge_i64_e32 vcc, s[24:25], v[2:3]
	s_cbranch_vccnz .LBB365_12
; %bb.8:
	s_load_dwordx4 s[8:11], s[4:5], 0x30
	s_load_dwordx2 s[2:3], s[4:5], 0x40
	s_sub_u32 s4, s22, s18
	s_mov_b32 s7, 0xffff
	s_subb_u32 s5, s23, 0
	s_movk_i32 s13, 0x384
	v_and_b32_sdwa v1, s7, v1 dst_sel:DWORD dst_unused:UNUSED_PAD src0_sel:DWORD src1_sel:WORD_1
	v_subrev_u32_e32 v2, 30, v1
	v_cmp_gt_u32_e32 vcc, s13, v0
	s_sub_u32 s22, s24, s18
	v_cndmask_b32_e32 v1, v2, v1, vcc
	s_subb_u32 s23, s25, 0
	v_cndmask_b32_e64 v1, v9, v1, s[0:1]
	s_mul_i32 s0, s23, 0x708
	s_mul_hi_u32 s1, s22, 0x708
	s_add_i32 s1, s1, s0
	s_mul_i32 s0, s22, 0x708
	s_waitcnt lgkmcnt(0)
	s_add_u32 s0, s10, s0
	s_addc_u32 s1, s11, s1
	v_lshlrev_b32_e32 v2, 1, v0
	v_mov_b32_e32 v3, s1
	v_add_co_u32_e32 v2, vcc, s0, v2
	v_addc_co_u32_e32 v3, vcc, 0, v3, vcc
	s_movk_i32 s0, 0x383
	v_cmp_lt_u32_e32 vcc, s0, v0
	v_cndmask_b32_e64 v10, 0, 1, vcc
	v_mov_b32_e32 v4, s25
	v_add_co_u32_e32 v5, vcc, s24, v10
	v_addc_co_u32_e32 v6, vcc, 0, v4, vcc
	v_subrev_co_u32_e32 v4, vcc, s18, v5
	v_subbrev_co_u32_e32 v5, vcc, 0, v6, vcc
	v_lshlrev_b64 v[4:5], 2, v[4:5]
	v_mov_b32_e32 v6, s9
	v_add_co_u32_e32 v4, vcc, s8, v4
	v_addc_co_u32_e32 v5, vcc, v6, v5, vcc
	v_mov_b32_e32 v7, s5
	v_mov_b32_e32 v8, 0
	;; [unrolled: 1-line block ×3, first 2 shown]
	s_branch .LBB365_10
.LBB365_9:                              ;   in Loop: Header=BB365_10 Depth=1
	s_or_b64 exec, exec, s[0:1]
	s_add_u32 s22, s22, 1
	s_addc_u32 s23, s23, 0
	v_cmp_lt_i64_e32 vcc, s[22:23], v[6:7]
	v_add_co_u32_e64 v4, s[0:1], 4, v4
	v_addc_co_u32_e64 v5, s[0:1], 0, v5, s[0:1]
	s_cbranch_vccz .LBB365_12
.LBB365_10:                             ; =>This Inner Loop Header: Depth=1
	v_mov_b32_e32 v12, s23
	v_add_co_u32_e32 v11, vcc, s22, v10
	v_addc_co_u32_e32 v12, vcc, 0, v12, vcc
	v_cmp_gt_i64_e32 vcc, s[4:5], v[11:12]
	s_and_saveexec_b64 s[0:1], vcc
	s_cbranch_execz .LBB365_9
; %bb.11:                               ;   in Loop: Header=BB365_10 Depth=1
	global_load_dword v11, v[4:5], off
	v_mov_b32_e32 v14, s3
	global_load_ushort v13, v[2:3], off
	s_waitcnt vmcnt(1)
	v_subrev_u32_e32 v11, s18, v11
	v_mad_u64_u32 v[11:12], s[8:9], v11, 30, v[1:2]
	v_ashrrev_i32_e32 v12, 31, v11
	v_lshlrev_b64 v[11:12], 1, v[11:12]
	v_add_co_u32_e32 v11, vcc, s2, v11
	v_addc_co_u32_e32 v12, vcc, v14, v12, vcc
	global_load_ushort v11, v[11:12], off
	v_add_co_u32_e32 v2, vcc, 0x708, v2
	s_waitcnt vmcnt(1)
	v_lshlrev_b32_e32 v12, 16, v13
	v_addc_co_u32_e32 v3, vcc, 0, v3, vcc
	s_waitcnt vmcnt(0)
	v_lshlrev_b32_e32 v11, 16, v11
	v_fmac_f32_e32 v8, v12, v11
	s_branch .LBB365_9
.LBB365_12:
	v_lshlrev_b32_e32 v1, 2, v0
	s_and_b64 vcc, exec, s[20:21]
	ds_write_b32 v1, v8
	s_waitcnt lgkmcnt(0)
	s_barrier
	s_cbranch_vccz .LBB365_24
; %bb.13:
	v_cmp_gt_u16_e32 vcc, 14, v9
	s_and_saveexec_b64 s[0:1], vcc
	s_cbranch_execz .LBB365_15
; %bb.14:
	ds_read2_b32 v[2:3], v1 offset1:16
	s_waitcnt lgkmcnt(0)
	v_add_f32_e32 v2, v3, v2
	ds_write_b32 v1, v2
.LBB365_15:
	s_or_b64 exec, exec, s[0:1]
	v_cmp_gt_u16_e32 vcc, 8, v9
	s_waitcnt lgkmcnt(0)
	s_barrier
	s_and_saveexec_b64 s[0:1], vcc
	s_cbranch_execz .LBB365_17
; %bb.16:
	ds_read2_b32 v[2:3], v1 offset1:8
	s_waitcnt lgkmcnt(0)
	v_add_f32_e32 v2, v3, v2
	ds_write_b32 v1, v2
.LBB365_17:
	s_or_b64 exec, exec, s[0:1]
	v_cmp_gt_u16_e32 vcc, 4, v9
	s_waitcnt lgkmcnt(0)
	s_barrier
	;; [unrolled: 12-line block ×3, first 2 shown]
	s_and_saveexec_b64 s[0:1], vcc
	s_cbranch_execz .LBB365_21
; %bb.20:
	ds_read2_b32 v[2:3], v1 offset1:2
	s_waitcnt lgkmcnt(0)
	v_add_f32_e32 v2, v3, v2
	ds_write_b32 v1, v2
.LBB365_21:
	s_or_b64 exec, exec, s[0:1]
	v_cmp_gt_u32_e32 vcc, 30, v0
	v_mov_b32_e32 v2, v8
	s_waitcnt lgkmcnt(0)
	s_barrier
	s_and_saveexec_b64 s[0:1], vcc
	s_cbranch_execz .LBB365_23
; %bb.22:
	s_movk_i32 s2, 0x74
	v_mad_u32_u24 v2, v0, s2, v1
	ds_read_b64 v[2:3], v2
	s_waitcnt lgkmcnt(0)
	v_add_f32_e32 v2, v2, v3
.LBB365_23:
	s_or_b64 exec, exec, s[0:1]
	s_branch .LBB365_36
.LBB365_24:
                                        ; implicit-def: $vgpr2
	s_cbranch_execz .LBB365_36
; %bb.25:
	s_movk_i32 s0, 0x1a4
	v_cmp_gt_u32_e32 vcc, s0, v0
	s_and_saveexec_b64 s[0:1], vcc
	s_cbranch_execz .LBB365_27
; %bb.26:
	ds_read_b32 v2, v1 offset:1920
	ds_read_b32 v3, v1
	s_waitcnt lgkmcnt(0)
	v_add_f32_e32 v2, v2, v3
	ds_write_b32 v1, v2
.LBB365_27:
	s_or_b64 exec, exec, s[0:1]
	s_movk_i32 s0, 0xf0
	v_cmp_gt_u32_e32 vcc, s0, v0
	s_waitcnt lgkmcnt(0)
	s_barrier
	s_and_saveexec_b64 s[0:1], vcc
	s_cbranch_execz .LBB365_29
; %bb.28:
	ds_read2_b32 v[2:3], v1 offset1:240
	s_waitcnt lgkmcnt(0)
	v_add_f32_e32 v2, v3, v2
	ds_write_b32 v1, v2
.LBB365_29:
	s_or_b64 exec, exec, s[0:1]
	s_movk_i32 s0, 0x78
	v_cmp_gt_u32_e32 vcc, s0, v0
	s_waitcnt lgkmcnt(0)
	s_barrier
	s_and_saveexec_b64 s[0:1], vcc
	s_cbranch_execz .LBB365_31
; %bb.30:
	ds_read2_b32 v[2:3], v1 offset1:120
	s_waitcnt lgkmcnt(0)
	v_add_f32_e32 v2, v3, v2
	ds_write_b32 v1, v2
.LBB365_31:
	s_or_b64 exec, exec, s[0:1]
	v_cmp_gt_u32_e32 vcc, 60, v0
	s_waitcnt lgkmcnt(0)
	s_barrier
	s_and_saveexec_b64 s[0:1], vcc
	s_cbranch_execz .LBB365_33
; %bb.32:
	ds_read2_b32 v[2:3], v1 offset1:60
	s_waitcnt lgkmcnt(0)
	v_add_f32_e32 v2, v3, v2
	ds_write_b32 v1, v2
.LBB365_33:
	s_or_b64 exec, exec, s[0:1]
	v_cmp_gt_u32_e32 vcc, 30, v0
	s_waitcnt lgkmcnt(0)
	s_and_saveexec_b64 s[0:1], vcc
	s_cbranch_execz .LBB365_35
; %bb.34:
	ds_read2_b32 v[1:2], v1 offset1:30
	s_waitcnt lgkmcnt(0)
	v_add_f32_e32 v8, v1, v2
.LBB365_35:
	s_or_b64 exec, exec, s[0:1]
	v_mov_b32_e32 v2, v8
.LBB365_36:
	v_cmp_gt_u32_e32 vcc, 30, v0
	s_and_saveexec_b64 s[0:1], vcc
	s_cbranch_execz .LBB365_40
; %bb.37:
	v_cmp_eq_f32_e64 s[0:1], s12, 0
	s_and_b64 vcc, exec, s[0:1]
	v_mul_f32_e32 v1, s14, v2
	s_cbranch_vccz .LBB365_41
; %bb.38:
	v_mad_u64_u32 v[2:3], s[0:1], s6, 30, v[0:1]
	v_mov_b32_e32 v3, 0
	v_mov_b32_e32 v4, s17
	v_lshlrev_b64 v[2:3], 2, v[2:3]
	v_add_co_u32_e32 v2, vcc, s16, v2
	v_addc_co_u32_e32 v3, vcc, v4, v3, vcc
	global_store_dword v[2:3], v1, off
	s_cbranch_execnz .LBB365_40
.LBB365_39:
	v_mad_u64_u32 v[2:3], s[0:1], s6, 30, v[0:1]
	v_mov_b32_e32 v3, 0
	v_mov_b32_e32 v0, s17
	v_lshlrev_b64 v[2:3], 2, v[2:3]
	v_add_co_u32_e32 v2, vcc, s16, v2
	v_addc_co_u32_e32 v3, vcc, v0, v3, vcc
	global_load_dword v0, v[2:3], off
	s_waitcnt vmcnt(0)
	v_fmac_f32_e32 v1, s12, v0
	global_store_dword v[2:3], v1, off
.LBB365_40:
	s_endpgm
.LBB365_41:
	s_branch .LBB365_39
	.section	.rodata,"a",@progbits
	.p2align	6, 0x0
	.amdhsa_kernel _ZN9rocsparseL20bsrxmvn_17_32_kernelILj30Efli18rocsparse_bfloat16S1_fEEvT2_20rocsparse_direction_NS_24const_host_device_scalarIT0_EES2_PKS2_PKT1_SB_S8_PKT3_PKT4_S6_PT5_21rocsparse_index_base_b
		.amdhsa_group_segment_fixed_size 3600
		.amdhsa_private_segment_fixed_size 0
		.amdhsa_kernarg_size 96
		.amdhsa_user_sgpr_count 6
		.amdhsa_user_sgpr_private_segment_buffer 1
		.amdhsa_user_sgpr_dispatch_ptr 0
		.amdhsa_user_sgpr_queue_ptr 0
		.amdhsa_user_sgpr_kernarg_segment_ptr 1
		.amdhsa_user_sgpr_dispatch_id 0
		.amdhsa_user_sgpr_flat_scratch_init 0
		.amdhsa_user_sgpr_private_segment_size 0
		.amdhsa_uses_dynamic_stack 0
		.amdhsa_system_sgpr_private_segment_wavefront_offset 0
		.amdhsa_system_sgpr_workgroup_id_x 1
		.amdhsa_system_sgpr_workgroup_id_y 0
		.amdhsa_system_sgpr_workgroup_id_z 0
		.amdhsa_system_sgpr_workgroup_info 0
		.amdhsa_system_vgpr_workitem_id 0
		.amdhsa_next_free_vgpr 29
		.amdhsa_next_free_sgpr 61
		.amdhsa_reserve_vcc 1
		.amdhsa_reserve_flat_scratch 0
		.amdhsa_float_round_mode_32 0
		.amdhsa_float_round_mode_16_64 0
		.amdhsa_float_denorm_mode_32 3
		.amdhsa_float_denorm_mode_16_64 3
		.amdhsa_dx10_clamp 1
		.amdhsa_ieee_mode 1
		.amdhsa_fp16_overflow 0
		.amdhsa_exception_fp_ieee_invalid_op 0
		.amdhsa_exception_fp_denorm_src 0
		.amdhsa_exception_fp_ieee_div_zero 0
		.amdhsa_exception_fp_ieee_overflow 0
		.amdhsa_exception_fp_ieee_underflow 0
		.amdhsa_exception_fp_ieee_inexact 0
		.amdhsa_exception_int_div_zero 0
	.end_amdhsa_kernel
	.section	.text._ZN9rocsparseL20bsrxmvn_17_32_kernelILj30Efli18rocsparse_bfloat16S1_fEEvT2_20rocsparse_direction_NS_24const_host_device_scalarIT0_EES2_PKS2_PKT1_SB_S8_PKT3_PKT4_S6_PT5_21rocsparse_index_base_b,"axG",@progbits,_ZN9rocsparseL20bsrxmvn_17_32_kernelILj30Efli18rocsparse_bfloat16S1_fEEvT2_20rocsparse_direction_NS_24const_host_device_scalarIT0_EES2_PKS2_PKT1_SB_S8_PKT3_PKT4_S6_PT5_21rocsparse_index_base_b,comdat
.Lfunc_end365:
	.size	_ZN9rocsparseL20bsrxmvn_17_32_kernelILj30Efli18rocsparse_bfloat16S1_fEEvT2_20rocsparse_direction_NS_24const_host_device_scalarIT0_EES2_PKS2_PKT1_SB_S8_PKT3_PKT4_S6_PT5_21rocsparse_index_base_b, .Lfunc_end365-_ZN9rocsparseL20bsrxmvn_17_32_kernelILj30Efli18rocsparse_bfloat16S1_fEEvT2_20rocsparse_direction_NS_24const_host_device_scalarIT0_EES2_PKS2_PKT1_SB_S8_PKT3_PKT4_S6_PT5_21rocsparse_index_base_b
                                        ; -- End function
	.set _ZN9rocsparseL20bsrxmvn_17_32_kernelILj30Efli18rocsparse_bfloat16S1_fEEvT2_20rocsparse_direction_NS_24const_host_device_scalarIT0_EES2_PKS2_PKT1_SB_S8_PKT3_PKT4_S6_PT5_21rocsparse_index_base_b.num_vgpr, 15
	.set _ZN9rocsparseL20bsrxmvn_17_32_kernelILj30Efli18rocsparse_bfloat16S1_fEEvT2_20rocsparse_direction_NS_24const_host_device_scalarIT0_EES2_PKS2_PKT1_SB_S8_PKT3_PKT4_S6_PT5_21rocsparse_index_base_b.num_agpr, 0
	.set _ZN9rocsparseL20bsrxmvn_17_32_kernelILj30Efli18rocsparse_bfloat16S1_fEEvT2_20rocsparse_direction_NS_24const_host_device_scalarIT0_EES2_PKS2_PKT1_SB_S8_PKT3_PKT4_S6_PT5_21rocsparse_index_base_b.numbered_sgpr, 26
	.set _ZN9rocsparseL20bsrxmvn_17_32_kernelILj30Efli18rocsparse_bfloat16S1_fEEvT2_20rocsparse_direction_NS_24const_host_device_scalarIT0_EES2_PKS2_PKT1_SB_S8_PKT3_PKT4_S6_PT5_21rocsparse_index_base_b.num_named_barrier, 0
	.set _ZN9rocsparseL20bsrxmvn_17_32_kernelILj30Efli18rocsparse_bfloat16S1_fEEvT2_20rocsparse_direction_NS_24const_host_device_scalarIT0_EES2_PKS2_PKT1_SB_S8_PKT3_PKT4_S6_PT5_21rocsparse_index_base_b.private_seg_size, 0
	.set _ZN9rocsparseL20bsrxmvn_17_32_kernelILj30Efli18rocsparse_bfloat16S1_fEEvT2_20rocsparse_direction_NS_24const_host_device_scalarIT0_EES2_PKS2_PKT1_SB_S8_PKT3_PKT4_S6_PT5_21rocsparse_index_base_b.uses_vcc, 1
	.set _ZN9rocsparseL20bsrxmvn_17_32_kernelILj30Efli18rocsparse_bfloat16S1_fEEvT2_20rocsparse_direction_NS_24const_host_device_scalarIT0_EES2_PKS2_PKT1_SB_S8_PKT3_PKT4_S6_PT5_21rocsparse_index_base_b.uses_flat_scratch, 0
	.set _ZN9rocsparseL20bsrxmvn_17_32_kernelILj30Efli18rocsparse_bfloat16S1_fEEvT2_20rocsparse_direction_NS_24const_host_device_scalarIT0_EES2_PKS2_PKT1_SB_S8_PKT3_PKT4_S6_PT5_21rocsparse_index_base_b.has_dyn_sized_stack, 0
	.set _ZN9rocsparseL20bsrxmvn_17_32_kernelILj30Efli18rocsparse_bfloat16S1_fEEvT2_20rocsparse_direction_NS_24const_host_device_scalarIT0_EES2_PKS2_PKT1_SB_S8_PKT3_PKT4_S6_PT5_21rocsparse_index_base_b.has_recursion, 0
	.set _ZN9rocsparseL20bsrxmvn_17_32_kernelILj30Efli18rocsparse_bfloat16S1_fEEvT2_20rocsparse_direction_NS_24const_host_device_scalarIT0_EES2_PKS2_PKT1_SB_S8_PKT3_PKT4_S6_PT5_21rocsparse_index_base_b.has_indirect_call, 0
	.section	.AMDGPU.csdata,"",@progbits
; Kernel info:
; codeLenInByte = 1328
; TotalNumSgprs: 30
; NumVgprs: 15
; ScratchSize: 0
; MemoryBound: 0
; FloatMode: 240
; IeeeMode: 1
; LDSByteSize: 3600 bytes/workgroup (compile time only)
; SGPRBlocks: 8
; VGPRBlocks: 7
; NumSGPRsForWavesPerEU: 65
; NumVGPRsForWavesPerEU: 29
; Occupancy: 8
; WaveLimiterHint : 1
; COMPUTE_PGM_RSRC2:SCRATCH_EN: 0
; COMPUTE_PGM_RSRC2:USER_SGPR: 6
; COMPUTE_PGM_RSRC2:TRAP_HANDLER: 0
; COMPUTE_PGM_RSRC2:TGID_X_EN: 1
; COMPUTE_PGM_RSRC2:TGID_Y_EN: 0
; COMPUTE_PGM_RSRC2:TGID_Z_EN: 0
; COMPUTE_PGM_RSRC2:TIDIG_COMP_CNT: 0
	.section	.text._ZN9rocsparseL20bsrxmvn_17_32_kernelILj31Efli18rocsparse_bfloat16S1_fEEvT2_20rocsparse_direction_NS_24const_host_device_scalarIT0_EES2_PKS2_PKT1_SB_S8_PKT3_PKT4_S6_PT5_21rocsparse_index_base_b,"axG",@progbits,_ZN9rocsparseL20bsrxmvn_17_32_kernelILj31Efli18rocsparse_bfloat16S1_fEEvT2_20rocsparse_direction_NS_24const_host_device_scalarIT0_EES2_PKS2_PKT1_SB_S8_PKT3_PKT4_S6_PT5_21rocsparse_index_base_b,comdat
	.globl	_ZN9rocsparseL20bsrxmvn_17_32_kernelILj31Efli18rocsparse_bfloat16S1_fEEvT2_20rocsparse_direction_NS_24const_host_device_scalarIT0_EES2_PKS2_PKT1_SB_S8_PKT3_PKT4_S6_PT5_21rocsparse_index_base_b ; -- Begin function _ZN9rocsparseL20bsrxmvn_17_32_kernelILj31Efli18rocsparse_bfloat16S1_fEEvT2_20rocsparse_direction_NS_24const_host_device_scalarIT0_EES2_PKS2_PKT1_SB_S8_PKT3_PKT4_S6_PT5_21rocsparse_index_base_b
	.p2align	8
	.type	_ZN9rocsparseL20bsrxmvn_17_32_kernelILj31Efli18rocsparse_bfloat16S1_fEEvT2_20rocsparse_direction_NS_24const_host_device_scalarIT0_EES2_PKS2_PKT1_SB_S8_PKT3_PKT4_S6_PT5_21rocsparse_index_base_b,@function
_ZN9rocsparseL20bsrxmvn_17_32_kernelILj31Efli18rocsparse_bfloat16S1_fEEvT2_20rocsparse_direction_NS_24const_host_device_scalarIT0_EES2_PKS2_PKT1_SB_S8_PKT3_PKT4_S6_PT5_21rocsparse_index_base_b: ; @_ZN9rocsparseL20bsrxmvn_17_32_kernelILj31Efli18rocsparse_bfloat16S1_fEEvT2_20rocsparse_direction_NS_24const_host_device_scalarIT0_EES2_PKS2_PKT1_SB_S8_PKT3_PKT4_S6_PT5_21rocsparse_index_base_b
; %bb.0:
	s_load_dwordx2 s[18:19], s[4:5], 0x58
	s_load_dwordx2 s[14:15], s[4:5], 0x8
	;; [unrolled: 1-line block ×3, first 2 shown]
	s_waitcnt lgkmcnt(0)
	s_bitcmp1_b32 s19, 0
	s_cselect_b64 s[2:3], -1, 0
	s_xor_b64 s[0:1], s[2:3], -1
	s_and_b64 vcc, exec, s[2:3]
	s_cbranch_vccnz .LBB366_2
; %bb.1:
	s_load_dword s14, s[14:15], 0x0
.LBB366_2:
	s_andn2_b64 vcc, exec, s[0:1]
	s_cbranch_vccnz .LBB366_4
; %bb.3:
	s_load_dword s12, s[12:13], 0x0
.LBB366_4:
	s_waitcnt lgkmcnt(0)
	v_cmp_neq_f32_e64 s[0:1], s14, 0
	v_cmp_neq_f32_e64 s[2:3], s12, 1.0
	s_or_b64 s[0:1], s[0:1], s[2:3]
	s_andn2_b64 vcc, exec, s[0:1]
	s_cbranch_vccnz .LBB366_40
; %bb.5:
	s_load_dwordx4 s[0:3], s[4:5], 0x18
	s_load_dwordx2 s[8:9], s[4:5], 0x28
	s_waitcnt lgkmcnt(0)
	s_cmp_eq_u64 s[0:1], 0
	s_cbranch_scc1 .LBB366_7
; %bb.6:
	s_ashr_i32 s7, s6, 31
	s_lshl_b64 s[6:7], s[6:7], 2
	s_add_u32 s0, s0, s6
	s_addc_u32 s1, s1, s7
	s_load_dword s0, s[0:1], 0x0
	s_waitcnt lgkmcnt(0)
	s_sub_i32 s6, s0, s18
.LBB366_7:
	s_load_dword s7, s[4:5], 0x4
	s_load_dwordx2 s[16:17], s[4:5], 0x50
	v_mul_u32_u24_e32 v1, 0x843, v0
	v_mov_b32_e32 v2, 31
	v_mul_lo_u16_sdwa v2, v1, v2 dst_sel:DWORD dst_unused:UNUSED_PAD src0_sel:WORD_1 src1_sel:DWORD
	s_waitcnt lgkmcnt(0)
	s_cmp_eq_u32 s7, 1
	s_cselect_b64 s[0:1], -1, 0
	s_cmp_lg_u32 s7, 1
	s_cselect_b64 s[20:21], -1, 0
	s_ashr_i32 s7, s6, 31
	s_lshl_b64 s[10:11], s[6:7], 3
	s_add_u32 s2, s2, s10
	s_addc_u32 s3, s3, s11
	s_add_u32 s7, s2, 8
	s_addc_u32 s13, s3, 0
	;; [unrolled: 2-line block ×3, first 2 shown]
	s_cmp_eq_u64 s[8:9], 0
	s_cselect_b32 s9, s13, s11
	s_cselect_b32 s8, s7, s10
	s_load_dwordx2 s[22:23], s[8:9], 0x0
	s_load_dwordx2 s[24:25], s[2:3], 0x0
	v_sub_u16_e32 v9, v0, v2
	v_mov_b32_e32 v8, 0
	s_waitcnt lgkmcnt(0)
	v_mov_b32_e32 v2, s22
	v_mov_b32_e32 v3, s23
	v_cmp_ge_i64_e32 vcc, s[24:25], v[2:3]
	s_cbranch_vccnz .LBB366_12
; %bb.8:
	s_load_dwordx4 s[8:11], s[4:5], 0x30
	s_load_dwordx2 s[2:3], s[4:5], 0x40
	s_sub_u32 s4, s22, s18
	s_mov_b32 s7, 0xffff
	s_subb_u32 s5, s23, 0
	s_movk_i32 s13, 0x3c1
	v_and_b32_sdwa v1, s7, v1 dst_sel:DWORD dst_unused:UNUSED_PAD src0_sel:DWORD src1_sel:WORD_1
	v_subrev_u32_e32 v2, 31, v1
	v_cmp_gt_u32_e32 vcc, s13, v0
	s_sub_u32 s22, s24, s18
	v_cndmask_b32_e32 v1, v2, v1, vcc
	s_subb_u32 s23, s25, 0
	v_cndmask_b32_e64 v1, v9, v1, s[0:1]
	s_mul_i32 s0, s23, 0x782
	s_mul_hi_u32 s1, s22, 0x782
	s_add_i32 s1, s1, s0
	s_mul_i32 s0, s22, 0x782
	s_waitcnt lgkmcnt(0)
	s_add_u32 s0, s10, s0
	s_addc_u32 s1, s11, s1
	v_lshlrev_b32_e32 v2, 1, v0
	v_mov_b32_e32 v3, s1
	v_add_co_u32_e32 v2, vcc, s0, v2
	v_addc_co_u32_e32 v3, vcc, 0, v3, vcc
	s_movk_i32 s0, 0x3c0
	v_cmp_lt_u32_e32 vcc, s0, v0
	v_cndmask_b32_e64 v10, 0, 1, vcc
	v_mov_b32_e32 v4, s25
	v_add_co_u32_e32 v5, vcc, s24, v10
	v_addc_co_u32_e32 v6, vcc, 0, v4, vcc
	v_subrev_co_u32_e32 v4, vcc, s18, v5
	v_subbrev_co_u32_e32 v5, vcc, 0, v6, vcc
	v_lshlrev_b64 v[4:5], 2, v[4:5]
	v_mov_b32_e32 v6, s9
	v_add_co_u32_e32 v4, vcc, s8, v4
	v_addc_co_u32_e32 v5, vcc, v6, v5, vcc
	v_mov_b32_e32 v7, s5
	v_mov_b32_e32 v8, 0
	;; [unrolled: 1-line block ×3, first 2 shown]
	s_branch .LBB366_10
.LBB366_9:                              ;   in Loop: Header=BB366_10 Depth=1
	s_or_b64 exec, exec, s[0:1]
	s_add_u32 s22, s22, 1
	s_addc_u32 s23, s23, 0
	v_cmp_lt_i64_e32 vcc, s[22:23], v[6:7]
	v_add_co_u32_e64 v4, s[0:1], 4, v4
	v_addc_co_u32_e64 v5, s[0:1], 0, v5, s[0:1]
	s_cbranch_vccz .LBB366_12
.LBB366_10:                             ; =>This Inner Loop Header: Depth=1
	v_mov_b32_e32 v12, s23
	v_add_co_u32_e32 v11, vcc, s22, v10
	v_addc_co_u32_e32 v12, vcc, 0, v12, vcc
	v_cmp_gt_i64_e32 vcc, s[4:5], v[11:12]
	s_and_saveexec_b64 s[0:1], vcc
	s_cbranch_execz .LBB366_9
; %bb.11:                               ;   in Loop: Header=BB366_10 Depth=1
	global_load_dword v11, v[4:5], off
	v_mov_b32_e32 v14, s3
	global_load_ushort v13, v[2:3], off
	s_waitcnt vmcnt(1)
	v_subrev_u32_e32 v11, s18, v11
	v_mad_u64_u32 v[11:12], s[8:9], v11, 31, v[1:2]
	v_ashrrev_i32_e32 v12, 31, v11
	v_lshlrev_b64 v[11:12], 1, v[11:12]
	v_add_co_u32_e32 v11, vcc, s2, v11
	v_addc_co_u32_e32 v12, vcc, v14, v12, vcc
	global_load_ushort v11, v[11:12], off
	v_add_co_u32_e32 v2, vcc, 0x782, v2
	s_waitcnt vmcnt(1)
	v_lshlrev_b32_e32 v12, 16, v13
	v_addc_co_u32_e32 v3, vcc, 0, v3, vcc
	s_waitcnt vmcnt(0)
	v_lshlrev_b32_e32 v11, 16, v11
	v_fmac_f32_e32 v8, v12, v11
	s_branch .LBB366_9
.LBB366_12:
	v_lshlrev_b32_e32 v1, 2, v0
	s_and_b64 vcc, exec, s[20:21]
	ds_write_b32 v1, v8
	s_waitcnt lgkmcnt(0)
	s_barrier
	s_cbranch_vccz .LBB366_24
; %bb.13:
	v_cmp_gt_u16_e32 vcc, 15, v9
	s_and_saveexec_b64 s[0:1], vcc
	s_cbranch_execz .LBB366_15
; %bb.14:
	ds_read2_b32 v[2:3], v1 offset1:16
	s_waitcnt lgkmcnt(0)
	v_add_f32_e32 v2, v3, v2
	ds_write_b32 v1, v2
.LBB366_15:
	s_or_b64 exec, exec, s[0:1]
	v_cmp_gt_u16_e32 vcc, 8, v9
	s_waitcnt lgkmcnt(0)
	s_barrier
	s_and_saveexec_b64 s[0:1], vcc
	s_cbranch_execz .LBB366_17
; %bb.16:
	ds_read2_b32 v[2:3], v1 offset1:8
	s_waitcnt lgkmcnt(0)
	v_add_f32_e32 v2, v3, v2
	ds_write_b32 v1, v2
.LBB366_17:
	s_or_b64 exec, exec, s[0:1]
	v_cmp_gt_u16_e32 vcc, 4, v9
	s_waitcnt lgkmcnt(0)
	s_barrier
	;; [unrolled: 12-line block ×3, first 2 shown]
	s_and_saveexec_b64 s[0:1], vcc
	s_cbranch_execz .LBB366_21
; %bb.20:
	ds_read2_b32 v[2:3], v1 offset1:2
	s_waitcnt lgkmcnt(0)
	v_add_f32_e32 v2, v3, v2
	ds_write_b32 v1, v2
.LBB366_21:
	s_or_b64 exec, exec, s[0:1]
	v_cmp_gt_u32_e32 vcc, 31, v0
	v_mov_b32_e32 v2, v8
	s_waitcnt lgkmcnt(0)
	s_barrier
	s_and_saveexec_b64 s[0:1], vcc
	s_cbranch_execz .LBB366_23
; %bb.22:
	s_movk_i32 s2, 0x78
	v_mad_u32_u24 v2, v0, s2, v1
	ds_read2_b32 v[2:3], v2 offset1:1
	s_waitcnt lgkmcnt(0)
	v_add_f32_e32 v2, v2, v3
.LBB366_23:
	s_or_b64 exec, exec, s[0:1]
	s_branch .LBB366_36
.LBB366_24:
                                        ; implicit-def: $vgpr2
	s_cbranch_execz .LBB366_36
; %bb.25:
	s_movk_i32 s0, 0x1d1
	v_cmp_gt_u32_e32 vcc, s0, v0
	s_and_saveexec_b64 s[0:1], vcc
	s_cbranch_execz .LBB366_27
; %bb.26:
	ds_read_b32 v2, v1 offset:1984
	ds_read_b32 v3, v1
	s_waitcnt lgkmcnt(0)
	v_add_f32_e32 v2, v2, v3
	ds_write_b32 v1, v2
.LBB366_27:
	s_or_b64 exec, exec, s[0:1]
	s_movk_i32 s0, 0xf8
	v_cmp_gt_u32_e32 vcc, s0, v0
	s_waitcnt lgkmcnt(0)
	s_barrier
	s_and_saveexec_b64 s[0:1], vcc
	s_cbranch_execz .LBB366_29
; %bb.28:
	ds_read2_b32 v[2:3], v1 offset1:248
	s_waitcnt lgkmcnt(0)
	v_add_f32_e32 v2, v3, v2
	ds_write_b32 v1, v2
.LBB366_29:
	s_or_b64 exec, exec, s[0:1]
	s_movk_i32 s0, 0x7c
	v_cmp_gt_u32_e32 vcc, s0, v0
	s_waitcnt lgkmcnt(0)
	s_barrier
	s_and_saveexec_b64 s[0:1], vcc
	s_cbranch_execz .LBB366_31
; %bb.30:
	ds_read2_b32 v[2:3], v1 offset1:124
	s_waitcnt lgkmcnt(0)
	v_add_f32_e32 v2, v3, v2
	ds_write_b32 v1, v2
.LBB366_31:
	s_or_b64 exec, exec, s[0:1]
	v_cmp_gt_u32_e32 vcc, 62, v0
	s_waitcnt lgkmcnt(0)
	s_barrier
	s_and_saveexec_b64 s[0:1], vcc
	s_cbranch_execz .LBB366_33
; %bb.32:
	ds_read2_b32 v[2:3], v1 offset1:62
	s_waitcnt lgkmcnt(0)
	v_add_f32_e32 v2, v3, v2
	ds_write_b32 v1, v2
.LBB366_33:
	s_or_b64 exec, exec, s[0:1]
	v_cmp_gt_u32_e32 vcc, 31, v0
	s_waitcnt lgkmcnt(0)
	s_and_saveexec_b64 s[0:1], vcc
	s_cbranch_execz .LBB366_35
; %bb.34:
	ds_read2_b32 v[1:2], v1 offset1:31
	s_waitcnt lgkmcnt(0)
	v_add_f32_e32 v8, v1, v2
.LBB366_35:
	s_or_b64 exec, exec, s[0:1]
	v_mov_b32_e32 v2, v8
.LBB366_36:
	v_cmp_gt_u32_e32 vcc, 31, v0
	s_and_saveexec_b64 s[0:1], vcc
	s_cbranch_execz .LBB366_40
; %bb.37:
	v_cmp_eq_f32_e64 s[0:1], s12, 0
	s_and_b64 vcc, exec, s[0:1]
	v_mul_f32_e32 v1, s14, v2
	s_cbranch_vccz .LBB366_41
; %bb.38:
	v_mad_u64_u32 v[2:3], s[0:1], s6, 31, v[0:1]
	v_mov_b32_e32 v3, 0
	v_mov_b32_e32 v4, s17
	v_lshlrev_b64 v[2:3], 2, v[2:3]
	v_add_co_u32_e32 v2, vcc, s16, v2
	v_addc_co_u32_e32 v3, vcc, v4, v3, vcc
	global_store_dword v[2:3], v1, off
	s_cbranch_execnz .LBB366_40
.LBB366_39:
	v_mad_u64_u32 v[2:3], s[0:1], s6, 31, v[0:1]
	v_mov_b32_e32 v3, 0
	v_mov_b32_e32 v0, s17
	v_lshlrev_b64 v[2:3], 2, v[2:3]
	v_add_co_u32_e32 v2, vcc, s16, v2
	v_addc_co_u32_e32 v3, vcc, v0, v3, vcc
	global_load_dword v0, v[2:3], off
	s_waitcnt vmcnt(0)
	v_fmac_f32_e32 v1, s12, v0
	global_store_dword v[2:3], v1, off
.LBB366_40:
	s_endpgm
.LBB366_41:
	s_branch .LBB366_39
	.section	.rodata,"a",@progbits
	.p2align	6, 0x0
	.amdhsa_kernel _ZN9rocsparseL20bsrxmvn_17_32_kernelILj31Efli18rocsparse_bfloat16S1_fEEvT2_20rocsparse_direction_NS_24const_host_device_scalarIT0_EES2_PKS2_PKT1_SB_S8_PKT3_PKT4_S6_PT5_21rocsparse_index_base_b
		.amdhsa_group_segment_fixed_size 3844
		.amdhsa_private_segment_fixed_size 0
		.amdhsa_kernarg_size 96
		.amdhsa_user_sgpr_count 6
		.amdhsa_user_sgpr_private_segment_buffer 1
		.amdhsa_user_sgpr_dispatch_ptr 0
		.amdhsa_user_sgpr_queue_ptr 0
		.amdhsa_user_sgpr_kernarg_segment_ptr 1
		.amdhsa_user_sgpr_dispatch_id 0
		.amdhsa_user_sgpr_flat_scratch_init 0
		.amdhsa_user_sgpr_private_segment_size 0
		.amdhsa_uses_dynamic_stack 0
		.amdhsa_system_sgpr_private_segment_wavefront_offset 0
		.amdhsa_system_sgpr_workgroup_id_x 1
		.amdhsa_system_sgpr_workgroup_id_y 0
		.amdhsa_system_sgpr_workgroup_id_z 0
		.amdhsa_system_sgpr_workgroup_info 0
		.amdhsa_system_vgpr_workitem_id 0
		.amdhsa_next_free_vgpr 29
		.amdhsa_next_free_sgpr 61
		.amdhsa_reserve_vcc 1
		.amdhsa_reserve_flat_scratch 0
		.amdhsa_float_round_mode_32 0
		.amdhsa_float_round_mode_16_64 0
		.amdhsa_float_denorm_mode_32 3
		.amdhsa_float_denorm_mode_16_64 3
		.amdhsa_dx10_clamp 1
		.amdhsa_ieee_mode 1
		.amdhsa_fp16_overflow 0
		.amdhsa_exception_fp_ieee_invalid_op 0
		.amdhsa_exception_fp_denorm_src 0
		.amdhsa_exception_fp_ieee_div_zero 0
		.amdhsa_exception_fp_ieee_overflow 0
		.amdhsa_exception_fp_ieee_underflow 0
		.amdhsa_exception_fp_ieee_inexact 0
		.amdhsa_exception_int_div_zero 0
	.end_amdhsa_kernel
	.section	.text._ZN9rocsparseL20bsrxmvn_17_32_kernelILj31Efli18rocsparse_bfloat16S1_fEEvT2_20rocsparse_direction_NS_24const_host_device_scalarIT0_EES2_PKS2_PKT1_SB_S8_PKT3_PKT4_S6_PT5_21rocsparse_index_base_b,"axG",@progbits,_ZN9rocsparseL20bsrxmvn_17_32_kernelILj31Efli18rocsparse_bfloat16S1_fEEvT2_20rocsparse_direction_NS_24const_host_device_scalarIT0_EES2_PKS2_PKT1_SB_S8_PKT3_PKT4_S6_PT5_21rocsparse_index_base_b,comdat
.Lfunc_end366:
	.size	_ZN9rocsparseL20bsrxmvn_17_32_kernelILj31Efli18rocsparse_bfloat16S1_fEEvT2_20rocsparse_direction_NS_24const_host_device_scalarIT0_EES2_PKS2_PKT1_SB_S8_PKT3_PKT4_S6_PT5_21rocsparse_index_base_b, .Lfunc_end366-_ZN9rocsparseL20bsrxmvn_17_32_kernelILj31Efli18rocsparse_bfloat16S1_fEEvT2_20rocsparse_direction_NS_24const_host_device_scalarIT0_EES2_PKS2_PKT1_SB_S8_PKT3_PKT4_S6_PT5_21rocsparse_index_base_b
                                        ; -- End function
	.set _ZN9rocsparseL20bsrxmvn_17_32_kernelILj31Efli18rocsparse_bfloat16S1_fEEvT2_20rocsparse_direction_NS_24const_host_device_scalarIT0_EES2_PKS2_PKT1_SB_S8_PKT3_PKT4_S6_PT5_21rocsparse_index_base_b.num_vgpr, 15
	.set _ZN9rocsparseL20bsrxmvn_17_32_kernelILj31Efli18rocsparse_bfloat16S1_fEEvT2_20rocsparse_direction_NS_24const_host_device_scalarIT0_EES2_PKS2_PKT1_SB_S8_PKT3_PKT4_S6_PT5_21rocsparse_index_base_b.num_agpr, 0
	.set _ZN9rocsparseL20bsrxmvn_17_32_kernelILj31Efli18rocsparse_bfloat16S1_fEEvT2_20rocsparse_direction_NS_24const_host_device_scalarIT0_EES2_PKS2_PKT1_SB_S8_PKT3_PKT4_S6_PT5_21rocsparse_index_base_b.numbered_sgpr, 26
	.set _ZN9rocsparseL20bsrxmvn_17_32_kernelILj31Efli18rocsparse_bfloat16S1_fEEvT2_20rocsparse_direction_NS_24const_host_device_scalarIT0_EES2_PKS2_PKT1_SB_S8_PKT3_PKT4_S6_PT5_21rocsparse_index_base_b.num_named_barrier, 0
	.set _ZN9rocsparseL20bsrxmvn_17_32_kernelILj31Efli18rocsparse_bfloat16S1_fEEvT2_20rocsparse_direction_NS_24const_host_device_scalarIT0_EES2_PKS2_PKT1_SB_S8_PKT3_PKT4_S6_PT5_21rocsparse_index_base_b.private_seg_size, 0
	.set _ZN9rocsparseL20bsrxmvn_17_32_kernelILj31Efli18rocsparse_bfloat16S1_fEEvT2_20rocsparse_direction_NS_24const_host_device_scalarIT0_EES2_PKS2_PKT1_SB_S8_PKT3_PKT4_S6_PT5_21rocsparse_index_base_b.uses_vcc, 1
	.set _ZN9rocsparseL20bsrxmvn_17_32_kernelILj31Efli18rocsparse_bfloat16S1_fEEvT2_20rocsparse_direction_NS_24const_host_device_scalarIT0_EES2_PKS2_PKT1_SB_S8_PKT3_PKT4_S6_PT5_21rocsparse_index_base_b.uses_flat_scratch, 0
	.set _ZN9rocsparseL20bsrxmvn_17_32_kernelILj31Efli18rocsparse_bfloat16S1_fEEvT2_20rocsparse_direction_NS_24const_host_device_scalarIT0_EES2_PKS2_PKT1_SB_S8_PKT3_PKT4_S6_PT5_21rocsparse_index_base_b.has_dyn_sized_stack, 0
	.set _ZN9rocsparseL20bsrxmvn_17_32_kernelILj31Efli18rocsparse_bfloat16S1_fEEvT2_20rocsparse_direction_NS_24const_host_device_scalarIT0_EES2_PKS2_PKT1_SB_S8_PKT3_PKT4_S6_PT5_21rocsparse_index_base_b.has_recursion, 0
	.set _ZN9rocsparseL20bsrxmvn_17_32_kernelILj31Efli18rocsparse_bfloat16S1_fEEvT2_20rocsparse_direction_NS_24const_host_device_scalarIT0_EES2_PKS2_PKT1_SB_S8_PKT3_PKT4_S6_PT5_21rocsparse_index_base_b.has_indirect_call, 0
	.section	.AMDGPU.csdata,"",@progbits
; Kernel info:
; codeLenInByte = 1328
; TotalNumSgprs: 30
; NumVgprs: 15
; ScratchSize: 0
; MemoryBound: 0
; FloatMode: 240
; IeeeMode: 1
; LDSByteSize: 3844 bytes/workgroup (compile time only)
; SGPRBlocks: 8
; VGPRBlocks: 7
; NumSGPRsForWavesPerEU: 65
; NumVGPRsForWavesPerEU: 29
; Occupancy: 8
; WaveLimiterHint : 1
; COMPUTE_PGM_RSRC2:SCRATCH_EN: 0
; COMPUTE_PGM_RSRC2:USER_SGPR: 6
; COMPUTE_PGM_RSRC2:TRAP_HANDLER: 0
; COMPUTE_PGM_RSRC2:TGID_X_EN: 1
; COMPUTE_PGM_RSRC2:TGID_Y_EN: 0
; COMPUTE_PGM_RSRC2:TGID_Z_EN: 0
; COMPUTE_PGM_RSRC2:TIDIG_COMP_CNT: 0
	.section	.text._ZN9rocsparseL20bsrxmvn_17_32_kernelILj32Efli18rocsparse_bfloat16S1_fEEvT2_20rocsparse_direction_NS_24const_host_device_scalarIT0_EES2_PKS2_PKT1_SB_S8_PKT3_PKT4_S6_PT5_21rocsparse_index_base_b,"axG",@progbits,_ZN9rocsparseL20bsrxmvn_17_32_kernelILj32Efli18rocsparse_bfloat16S1_fEEvT2_20rocsparse_direction_NS_24const_host_device_scalarIT0_EES2_PKS2_PKT1_SB_S8_PKT3_PKT4_S6_PT5_21rocsparse_index_base_b,comdat
	.globl	_ZN9rocsparseL20bsrxmvn_17_32_kernelILj32Efli18rocsparse_bfloat16S1_fEEvT2_20rocsparse_direction_NS_24const_host_device_scalarIT0_EES2_PKS2_PKT1_SB_S8_PKT3_PKT4_S6_PT5_21rocsparse_index_base_b ; -- Begin function _ZN9rocsparseL20bsrxmvn_17_32_kernelILj32Efli18rocsparse_bfloat16S1_fEEvT2_20rocsparse_direction_NS_24const_host_device_scalarIT0_EES2_PKS2_PKT1_SB_S8_PKT3_PKT4_S6_PT5_21rocsparse_index_base_b
	.p2align	8
	.type	_ZN9rocsparseL20bsrxmvn_17_32_kernelILj32Efli18rocsparse_bfloat16S1_fEEvT2_20rocsparse_direction_NS_24const_host_device_scalarIT0_EES2_PKS2_PKT1_SB_S8_PKT3_PKT4_S6_PT5_21rocsparse_index_base_b,@function
_ZN9rocsparseL20bsrxmvn_17_32_kernelILj32Efli18rocsparse_bfloat16S1_fEEvT2_20rocsparse_direction_NS_24const_host_device_scalarIT0_EES2_PKS2_PKT1_SB_S8_PKT3_PKT4_S6_PT5_21rocsparse_index_base_b: ; @_ZN9rocsparseL20bsrxmvn_17_32_kernelILj32Efli18rocsparse_bfloat16S1_fEEvT2_20rocsparse_direction_NS_24const_host_device_scalarIT0_EES2_PKS2_PKT1_SB_S8_PKT3_PKT4_S6_PT5_21rocsparse_index_base_b
; %bb.0:
	s_load_dwordx2 s[12:13], s[4:5], 0x58
	s_load_dwordx2 s[10:11], s[4:5], 0x8
	;; [unrolled: 1-line block ×3, first 2 shown]
	s_waitcnt lgkmcnt(0)
	s_bitcmp1_b32 s13, 0
	s_cselect_b64 s[2:3], -1, 0
	s_xor_b64 s[0:1], s[2:3], -1
	s_and_b64 vcc, exec, s[2:3]
	s_cbranch_vccnz .LBB367_2
; %bb.1:
	s_load_dword s10, s[10:11], 0x0
.LBB367_2:
	s_andn2_b64 vcc, exec, s[0:1]
	s_cbranch_vccnz .LBB367_4
; %bb.3:
	s_load_dword s8, s[8:9], 0x0
.LBB367_4:
	s_waitcnt lgkmcnt(0)
	v_cmp_neq_f32_e64 s[0:1], s10, 0
	v_cmp_neq_f32_e64 s[2:3], s8, 1.0
	s_or_b64 s[0:1], s[0:1], s[2:3]
	s_andn2_b64 vcc, exec, s[0:1]
	s_cbranch_vccnz .LBB367_38
; %bb.5:
	s_load_dwordx4 s[0:3], s[4:5], 0x18
	s_load_dwordx2 s[16:17], s[4:5], 0x28
	s_waitcnt lgkmcnt(0)
	s_cmp_eq_u64 s[0:1], 0
	s_cbranch_scc1 .LBB367_7
; %bb.6:
	s_ashr_i32 s7, s6, 31
	s_lshl_b64 s[6:7], s[6:7], 2
	s_add_u32 s0, s0, s6
	s_addc_u32 s1, s1, s7
	s_load_dword s0, s[0:1], 0x0
	s_waitcnt lgkmcnt(0)
	s_sub_i32 s6, s0, s12
.LBB367_7:
	s_load_dword s7, s[4:5], 0x4
	v_and_b32_e32 v6, 31, v0
	v_mov_b32_e32 v5, 0
	s_waitcnt lgkmcnt(0)
	s_cmp_eq_u32 s7, 1
	s_cselect_b64 s[0:1], -1, 0
	s_cmp_lg_u32 s7, 1
	s_cselect_b64 s[14:15], -1, 0
	s_ashr_i32 s7, s6, 31
	s_lshl_b64 s[18:19], s[6:7], 3
	s_add_u32 s22, s2, s18
	s_addc_u32 s23, s3, s19
	s_add_u32 s2, s22, 8
	s_addc_u32 s3, s23, 0
	;; [unrolled: 2-line block ×3, first 2 shown]
	s_cmp_eq_u64 s[16:17], 0
	s_cselect_b32 s17, s3, s9
	s_cselect_b32 s16, s2, s7
	s_load_dwordx2 s[20:21], s[16:17], 0x0
	s_load_dwordx2 s[18:19], s[22:23], 0x0
	s_load_dwordx2 s[2:3], s[4:5], 0x50
	s_waitcnt lgkmcnt(0)
	v_mov_b32_e32 v1, s20
	v_mov_b32_e32 v2, s21
	v_cmp_ge_i64_e32 vcc, s[18:19], v[1:2]
	s_cbranch_vccnz .LBB367_10
; %bb.8:
	s_sub_u32 s20, s20, s12
	s_load_dwordx4 s[24:27], s[4:5], 0x30
	s_load_dwordx2 s[16:17], s[4:5], 0x40
	s_subb_u32 s21, s21, 0
	v_lshrrev_b32_e32 v1, 5, v0
	v_cndmask_b32_e64 v7, v6, v1, s[0:1]
	s_sub_u32 s0, s18, s12
	s_subb_u32 s1, s19, 0
	s_lshl_b64 s[4:5], s[0:1], 11
	s_waitcnt lgkmcnt(0)
	s_add_u32 s4, s26, s4
	s_mov_b32 s13, 0
	s_addc_u32 s5, s27, s5
	v_lshlrev_b32_e32 v1, 1, v0
	v_mov_b32_e32 v2, s5
	v_add_co_u32_e32 v1, vcc, s4, v1
	s_lshl_b64 s[4:5], s[18:19], 2
	s_lshl_b64 s[18:19], s[12:13], 2
	s_sub_u32 s4, s4, s18
	s_subb_u32 s5, s5, s19
	s_add_u32 s4, s24, s4
	v_mov_b32_e32 v3, s20
	v_mov_b32_e32 v5, 0
	v_addc_co_u32_e32 v2, vcc, 0, v2, vcc
	s_addc_u32 s5, s25, s5
	v_mov_b32_e32 v8, s17
	v_mov_b32_e32 v4, s21
.LBB367_9:                              ; =>This Inner Loop Header: Depth=1
	s_load_dword s7, s[4:5], 0x0
	global_load_ushort v11, v[1:2], off
	s_waitcnt lgkmcnt(0)
	s_sub_i32 s7, s7, s12
	v_lshl_or_b32 v9, s7, 5, v7
	v_ashrrev_i32_e32 v10, 31, v9
	v_lshlrev_b64 v[9:10], 1, v[9:10]
	s_add_u32 s0, s0, 1
	v_add_co_u32_e32 v9, vcc, s16, v9
	v_addc_co_u32_e32 v10, vcc, v8, v10, vcc
	global_load_ushort v9, v[9:10], off
	v_add_co_u32_e32 v1, vcc, 0x800, v1
	v_addc_co_u32_e32 v2, vcc, 0, v2, vcc
	s_addc_u32 s1, s1, 0
	v_cmp_lt_i64_e32 vcc, s[0:1], v[3:4]
	s_add_u32 s4, s4, 4
	s_addc_u32 s5, s5, 0
	s_and_b64 vcc, exec, vcc
	s_waitcnt vmcnt(1)
	v_lshlrev_b32_e32 v10, 16, v11
	s_waitcnt vmcnt(0)
	v_lshlrev_b32_e32 v9, 16, v9
	v_fmac_f32_e32 v5, v10, v9
	s_cbranch_vccnz .LBB367_9
.LBB367_10:
	v_lshlrev_b32_e32 v1, 2, v0
	s_and_b64 vcc, exec, s[14:15]
	ds_write_b32 v1, v5
	s_waitcnt lgkmcnt(0)
	s_barrier
	s_cbranch_vccz .LBB367_22
; %bb.11:
	v_cmp_gt_u32_e32 vcc, 16, v6
	s_and_saveexec_b64 s[0:1], vcc
	s_cbranch_execz .LBB367_13
; %bb.12:
	ds_read2_b32 v[2:3], v1 offset1:16
	s_waitcnt lgkmcnt(0)
	v_add_f32_e32 v2, v3, v2
	ds_write_b32 v1, v2
.LBB367_13:
	s_or_b64 exec, exec, s[0:1]
	v_cmp_gt_u32_e32 vcc, 8, v6
	s_waitcnt lgkmcnt(0)
	s_barrier
	s_and_saveexec_b64 s[0:1], vcc
	s_cbranch_execz .LBB367_15
; %bb.14:
	ds_read2_b32 v[2:3], v1 offset1:8
	s_waitcnt lgkmcnt(0)
	v_add_f32_e32 v2, v3, v2
	ds_write_b32 v1, v2
.LBB367_15:
	s_or_b64 exec, exec, s[0:1]
	v_cmp_gt_u32_e32 vcc, 4, v6
	s_waitcnt lgkmcnt(0)
	s_barrier
	;; [unrolled: 12-line block ×3, first 2 shown]
	s_and_saveexec_b64 s[0:1], vcc
	s_cbranch_execz .LBB367_19
; %bb.18:
	ds_read2_b32 v[2:3], v1 offset1:2
	s_waitcnt lgkmcnt(0)
	v_add_f32_e32 v2, v3, v2
	ds_write_b32 v1, v2
.LBB367_19:
	s_or_b64 exec, exec, s[0:1]
	v_cmp_gt_u32_e32 vcc, 32, v0
	v_mov_b32_e32 v2, v5
	s_waitcnt lgkmcnt(0)
	s_barrier
	s_and_saveexec_b64 s[0:1], vcc
	s_cbranch_execz .LBB367_21
; %bb.20:
	s_movk_i32 s4, 0x7c
	v_mad_u32_u24 v2, v0, s4, v1
	ds_read_b64 v[2:3], v2
	s_waitcnt lgkmcnt(0)
	v_add_f32_e32 v2, v2, v3
.LBB367_21:
	s_or_b64 exec, exec, s[0:1]
	s_branch .LBB367_34
.LBB367_22:
                                        ; implicit-def: $vgpr2
	s_cbranch_execz .LBB367_34
; %bb.23:
	s_movk_i32 s0, 0x200
	v_cmp_gt_u32_e32 vcc, s0, v0
	s_and_saveexec_b64 s[0:1], vcc
	s_cbranch_execz .LBB367_25
; %bb.24:
	ds_read2st64_b32 v[2:3], v1 offset1:8
	s_waitcnt lgkmcnt(0)
	v_add_f32_e32 v2, v3, v2
	ds_write_b32 v1, v2
.LBB367_25:
	s_or_b64 exec, exec, s[0:1]
	s_movk_i32 s0, 0x100
	v_cmp_gt_u32_e32 vcc, s0, v0
	s_waitcnt lgkmcnt(0)
	s_barrier
	s_and_saveexec_b64 s[0:1], vcc
	s_cbranch_execz .LBB367_27
; %bb.26:
	ds_read2st64_b32 v[2:3], v1 offset1:4
	s_waitcnt lgkmcnt(0)
	v_add_f32_e32 v2, v3, v2
	ds_write_b32 v1, v2
.LBB367_27:
	s_or_b64 exec, exec, s[0:1]
	s_movk_i32 s0, 0x80
	v_cmp_gt_u32_e32 vcc, s0, v0
	s_waitcnt lgkmcnt(0)
	s_barrier
	s_and_saveexec_b64 s[0:1], vcc
	s_cbranch_execz .LBB367_29
; %bb.28:
	ds_read2st64_b32 v[2:3], v1 offset1:2
	s_waitcnt lgkmcnt(0)
	v_add_f32_e32 v2, v3, v2
	ds_write_b32 v1, v2
.LBB367_29:
	s_or_b64 exec, exec, s[0:1]
	v_cmp_gt_u32_e32 vcc, 64, v0
	s_waitcnt lgkmcnt(0)
	s_barrier
	s_and_saveexec_b64 s[0:1], vcc
	s_cbranch_execz .LBB367_31
; %bb.30:
	ds_read2st64_b32 v[2:3], v1 offset1:1
	s_waitcnt lgkmcnt(0)
	v_add_f32_e32 v2, v3, v2
	ds_write_b32 v1, v2
.LBB367_31:
	s_or_b64 exec, exec, s[0:1]
	v_cmp_gt_u32_e32 vcc, 32, v0
	s_waitcnt lgkmcnt(0)
	s_and_saveexec_b64 s[0:1], vcc
	s_cbranch_execz .LBB367_33
; %bb.32:
	ds_read2_b32 v[1:2], v1 offset1:32
	s_waitcnt lgkmcnt(0)
	v_add_f32_e32 v5, v1, v2
.LBB367_33:
	s_or_b64 exec, exec, s[0:1]
	v_mov_b32_e32 v2, v5
.LBB367_34:
	v_cmp_gt_u32_e32 vcc, 32, v0
	s_and_saveexec_b64 s[0:1], vcc
	s_cbranch_execz .LBB367_38
; %bb.35:
	v_cmp_eq_f32_e64 s[0:1], s8, 0
	s_and_b64 vcc, exec, s[0:1]
	v_mul_f32_e32 v2, s10, v2
	v_lshl_or_b32 v0, s6, 5, v0
	s_cbranch_vccz .LBB367_39
; %bb.36:
	v_mov_b32_e32 v1, 0
	v_lshlrev_b64 v[3:4], 2, v[0:1]
	v_mov_b32_e32 v1, s3
	v_add_co_u32_e32 v3, vcc, s2, v3
	v_addc_co_u32_e32 v4, vcc, v1, v4, vcc
	global_store_dword v[3:4], v2, off
	s_cbranch_execnz .LBB367_38
.LBB367_37:
	v_mov_b32_e32 v1, 0
	v_lshlrev_b64 v[0:1], 2, v[0:1]
	v_mov_b32_e32 v3, s3
	v_add_co_u32_e32 v0, vcc, s2, v0
	v_addc_co_u32_e32 v1, vcc, v3, v1, vcc
	global_load_dword v3, v[0:1], off
	s_waitcnt vmcnt(0)
	v_fmac_f32_e32 v2, s8, v3
	global_store_dword v[0:1], v2, off
.LBB367_38:
	s_endpgm
.LBB367_39:
	s_branch .LBB367_37
	.section	.rodata,"a",@progbits
	.p2align	6, 0x0
	.amdhsa_kernel _ZN9rocsparseL20bsrxmvn_17_32_kernelILj32Efli18rocsparse_bfloat16S1_fEEvT2_20rocsparse_direction_NS_24const_host_device_scalarIT0_EES2_PKS2_PKT1_SB_S8_PKT3_PKT4_S6_PT5_21rocsparse_index_base_b
		.amdhsa_group_segment_fixed_size 4096
		.amdhsa_private_segment_fixed_size 0
		.amdhsa_kernarg_size 96
		.amdhsa_user_sgpr_count 6
		.amdhsa_user_sgpr_private_segment_buffer 1
		.amdhsa_user_sgpr_dispatch_ptr 0
		.amdhsa_user_sgpr_queue_ptr 0
		.amdhsa_user_sgpr_kernarg_segment_ptr 1
		.amdhsa_user_sgpr_dispatch_id 0
		.amdhsa_user_sgpr_flat_scratch_init 0
		.amdhsa_user_sgpr_private_segment_size 0
		.amdhsa_uses_dynamic_stack 0
		.amdhsa_system_sgpr_private_segment_wavefront_offset 0
		.amdhsa_system_sgpr_workgroup_id_x 1
		.amdhsa_system_sgpr_workgroup_id_y 0
		.amdhsa_system_sgpr_workgroup_id_z 0
		.amdhsa_system_sgpr_workgroup_info 0
		.amdhsa_system_vgpr_workitem_id 0
		.amdhsa_next_free_vgpr 29
		.amdhsa_next_free_sgpr 61
		.amdhsa_reserve_vcc 1
		.amdhsa_reserve_flat_scratch 0
		.amdhsa_float_round_mode_32 0
		.amdhsa_float_round_mode_16_64 0
		.amdhsa_float_denorm_mode_32 3
		.amdhsa_float_denorm_mode_16_64 3
		.amdhsa_dx10_clamp 1
		.amdhsa_ieee_mode 1
		.amdhsa_fp16_overflow 0
		.amdhsa_exception_fp_ieee_invalid_op 0
		.amdhsa_exception_fp_denorm_src 0
		.amdhsa_exception_fp_ieee_div_zero 0
		.amdhsa_exception_fp_ieee_overflow 0
		.amdhsa_exception_fp_ieee_underflow 0
		.amdhsa_exception_fp_ieee_inexact 0
		.amdhsa_exception_int_div_zero 0
	.end_amdhsa_kernel
	.section	.text._ZN9rocsparseL20bsrxmvn_17_32_kernelILj32Efli18rocsparse_bfloat16S1_fEEvT2_20rocsparse_direction_NS_24const_host_device_scalarIT0_EES2_PKS2_PKT1_SB_S8_PKT3_PKT4_S6_PT5_21rocsparse_index_base_b,"axG",@progbits,_ZN9rocsparseL20bsrxmvn_17_32_kernelILj32Efli18rocsparse_bfloat16S1_fEEvT2_20rocsparse_direction_NS_24const_host_device_scalarIT0_EES2_PKS2_PKT1_SB_S8_PKT3_PKT4_S6_PT5_21rocsparse_index_base_b,comdat
.Lfunc_end367:
	.size	_ZN9rocsparseL20bsrxmvn_17_32_kernelILj32Efli18rocsparse_bfloat16S1_fEEvT2_20rocsparse_direction_NS_24const_host_device_scalarIT0_EES2_PKS2_PKT1_SB_S8_PKT3_PKT4_S6_PT5_21rocsparse_index_base_b, .Lfunc_end367-_ZN9rocsparseL20bsrxmvn_17_32_kernelILj32Efli18rocsparse_bfloat16S1_fEEvT2_20rocsparse_direction_NS_24const_host_device_scalarIT0_EES2_PKS2_PKT1_SB_S8_PKT3_PKT4_S6_PT5_21rocsparse_index_base_b
                                        ; -- End function
	.set _ZN9rocsparseL20bsrxmvn_17_32_kernelILj32Efli18rocsparse_bfloat16S1_fEEvT2_20rocsparse_direction_NS_24const_host_device_scalarIT0_EES2_PKS2_PKT1_SB_S8_PKT3_PKT4_S6_PT5_21rocsparse_index_base_b.num_vgpr, 12
	.set _ZN9rocsparseL20bsrxmvn_17_32_kernelILj32Efli18rocsparse_bfloat16S1_fEEvT2_20rocsparse_direction_NS_24const_host_device_scalarIT0_EES2_PKS2_PKT1_SB_S8_PKT3_PKT4_S6_PT5_21rocsparse_index_base_b.num_agpr, 0
	.set _ZN9rocsparseL20bsrxmvn_17_32_kernelILj32Efli18rocsparse_bfloat16S1_fEEvT2_20rocsparse_direction_NS_24const_host_device_scalarIT0_EES2_PKS2_PKT1_SB_S8_PKT3_PKT4_S6_PT5_21rocsparse_index_base_b.numbered_sgpr, 28
	.set _ZN9rocsparseL20bsrxmvn_17_32_kernelILj32Efli18rocsparse_bfloat16S1_fEEvT2_20rocsparse_direction_NS_24const_host_device_scalarIT0_EES2_PKS2_PKT1_SB_S8_PKT3_PKT4_S6_PT5_21rocsparse_index_base_b.num_named_barrier, 0
	.set _ZN9rocsparseL20bsrxmvn_17_32_kernelILj32Efli18rocsparse_bfloat16S1_fEEvT2_20rocsparse_direction_NS_24const_host_device_scalarIT0_EES2_PKS2_PKT1_SB_S8_PKT3_PKT4_S6_PT5_21rocsparse_index_base_b.private_seg_size, 0
	.set _ZN9rocsparseL20bsrxmvn_17_32_kernelILj32Efli18rocsparse_bfloat16S1_fEEvT2_20rocsparse_direction_NS_24const_host_device_scalarIT0_EES2_PKS2_PKT1_SB_S8_PKT3_PKT4_S6_PT5_21rocsparse_index_base_b.uses_vcc, 1
	.set _ZN9rocsparseL20bsrxmvn_17_32_kernelILj32Efli18rocsparse_bfloat16S1_fEEvT2_20rocsparse_direction_NS_24const_host_device_scalarIT0_EES2_PKS2_PKT1_SB_S8_PKT3_PKT4_S6_PT5_21rocsparse_index_base_b.uses_flat_scratch, 0
	.set _ZN9rocsparseL20bsrxmvn_17_32_kernelILj32Efli18rocsparse_bfloat16S1_fEEvT2_20rocsparse_direction_NS_24const_host_device_scalarIT0_EES2_PKS2_PKT1_SB_S8_PKT3_PKT4_S6_PT5_21rocsparse_index_base_b.has_dyn_sized_stack, 0
	.set _ZN9rocsparseL20bsrxmvn_17_32_kernelILj32Efli18rocsparse_bfloat16S1_fEEvT2_20rocsparse_direction_NS_24const_host_device_scalarIT0_EES2_PKS2_PKT1_SB_S8_PKT3_PKT4_S6_PT5_21rocsparse_index_base_b.has_recursion, 0
	.set _ZN9rocsparseL20bsrxmvn_17_32_kernelILj32Efli18rocsparse_bfloat16S1_fEEvT2_20rocsparse_direction_NS_24const_host_device_scalarIT0_EES2_PKS2_PKT1_SB_S8_PKT3_PKT4_S6_PT5_21rocsparse_index_base_b.has_indirect_call, 0
	.section	.AMDGPU.csdata,"",@progbits
; Kernel info:
; codeLenInByte = 1172
; TotalNumSgprs: 32
; NumVgprs: 12
; ScratchSize: 0
; MemoryBound: 0
; FloatMode: 240
; IeeeMode: 1
; LDSByteSize: 4096 bytes/workgroup (compile time only)
; SGPRBlocks: 8
; VGPRBlocks: 7
; NumSGPRsForWavesPerEU: 65
; NumVGPRsForWavesPerEU: 29
; Occupancy: 8
; WaveLimiterHint : 1
; COMPUTE_PGM_RSRC2:SCRATCH_EN: 0
; COMPUTE_PGM_RSRC2:USER_SGPR: 6
; COMPUTE_PGM_RSRC2:TRAP_HANDLER: 0
; COMPUTE_PGM_RSRC2:TGID_X_EN: 1
; COMPUTE_PGM_RSRC2:TGID_Y_EN: 0
; COMPUTE_PGM_RSRC2:TGID_Z_EN: 0
; COMPUTE_PGM_RSRC2:TIDIG_COMP_CNT: 0
	.section	.text._ZN9rocsparseL20bsrxmvn_17_32_kernelILj17Efll18rocsparse_bfloat16S1_fEEvT2_20rocsparse_direction_NS_24const_host_device_scalarIT0_EES2_PKS2_PKT1_SB_S8_PKT3_PKT4_S6_PT5_21rocsparse_index_base_b,"axG",@progbits,_ZN9rocsparseL20bsrxmvn_17_32_kernelILj17Efll18rocsparse_bfloat16S1_fEEvT2_20rocsparse_direction_NS_24const_host_device_scalarIT0_EES2_PKS2_PKT1_SB_S8_PKT3_PKT4_S6_PT5_21rocsparse_index_base_b,comdat
	.globl	_ZN9rocsparseL20bsrxmvn_17_32_kernelILj17Efll18rocsparse_bfloat16S1_fEEvT2_20rocsparse_direction_NS_24const_host_device_scalarIT0_EES2_PKS2_PKT1_SB_S8_PKT3_PKT4_S6_PT5_21rocsparse_index_base_b ; -- Begin function _ZN9rocsparseL20bsrxmvn_17_32_kernelILj17Efll18rocsparse_bfloat16S1_fEEvT2_20rocsparse_direction_NS_24const_host_device_scalarIT0_EES2_PKS2_PKT1_SB_S8_PKT3_PKT4_S6_PT5_21rocsparse_index_base_b
	.p2align	8
	.type	_ZN9rocsparseL20bsrxmvn_17_32_kernelILj17Efll18rocsparse_bfloat16S1_fEEvT2_20rocsparse_direction_NS_24const_host_device_scalarIT0_EES2_PKS2_PKT1_SB_S8_PKT3_PKT4_S6_PT5_21rocsparse_index_base_b,@function
_ZN9rocsparseL20bsrxmvn_17_32_kernelILj17Efll18rocsparse_bfloat16S1_fEEvT2_20rocsparse_direction_NS_24const_host_device_scalarIT0_EES2_PKS2_PKT1_SB_S8_PKT3_PKT4_S6_PT5_21rocsparse_index_base_b: ; @_ZN9rocsparseL20bsrxmvn_17_32_kernelILj17Efll18rocsparse_bfloat16S1_fEEvT2_20rocsparse_direction_NS_24const_host_device_scalarIT0_EES2_PKS2_PKT1_SB_S8_PKT3_PKT4_S6_PT5_21rocsparse_index_base_b
; %bb.0:
	s_load_dwordx2 s[18:19], s[4:5], 0x60
	s_load_dwordx2 s[14:15], s[4:5], 0x10
	;; [unrolled: 1-line block ×3, first 2 shown]
	s_waitcnt lgkmcnt(0)
	s_bitcmp1_b32 s19, 0
	s_cselect_b64 s[2:3], -1, 0
	s_xor_b64 s[0:1], s[2:3], -1
	s_and_b64 vcc, exec, s[2:3]
	s_cbranch_vccnz .LBB368_2
; %bb.1:
	s_load_dword s14, s[14:15], 0x0
.LBB368_2:
	s_andn2_b64 vcc, exec, s[0:1]
	s_cbranch_vccnz .LBB368_4
; %bb.3:
	s_load_dword s12, s[12:13], 0x0
.LBB368_4:
	s_waitcnt lgkmcnt(0)
	v_cmp_neq_f32_e64 s[0:1], s14, 0
	v_cmp_neq_f32_e64 s[2:3], s12, 1.0
	s_or_b64 s[0:1], s[0:1], s[2:3]
	s_andn2_b64 vcc, exec, s[0:1]
	s_mov_b32 s7, 0
	s_cbranch_vccnz .LBB368_40
; %bb.5:
	s_load_dwordx4 s[0:3], s[4:5], 0x20
	s_load_dwordx2 s[8:9], s[4:5], 0x30
	s_waitcnt lgkmcnt(0)
	s_cmp_eq_u64 s[0:1], 0
	s_cbranch_scc1 .LBB368_7
; %bb.6:
	s_lshl_b64 s[6:7], s[6:7], 3
	s_add_u32 s0, s0, s6
	s_addc_u32 s1, s1, s7
	s_load_dwordx2 s[0:1], s[0:1], 0x0
	s_waitcnt lgkmcnt(0)
	s_sub_u32 s6, s0, s18
	s_subb_u32 s7, s1, 0
.LBB368_7:
	s_load_dword s10, s[4:5], 0x8
	s_load_dwordx2 s[16:17], s[4:5], 0x58
	v_mul_u32_u24_e32 v1, 0xf10, v0
	v_mov_b32_e32 v2, 17
	v_mul_lo_u16_sdwa v2, v1, v2 dst_sel:DWORD dst_unused:UNUSED_PAD src0_sel:WORD_1 src1_sel:DWORD
	s_waitcnt lgkmcnt(0)
	s_cmp_eq_u32 s10, 1
	s_cselect_b64 s[0:1], -1, 0
	s_cmp_lg_u32 s10, 1
	s_cselect_b64 s[20:21], -1, 0
	s_lshl_b64 s[10:11], s[6:7], 3
	s_add_u32 s24, s2, s10
	s_addc_u32 s25, s3, s11
	s_add_u32 s2, s24, 8
	s_addc_u32 s3, s25, 0
	;; [unrolled: 2-line block ×3, first 2 shown]
	s_cmp_eq_u64 s[8:9], 0
	s_cselect_b32 s9, s3, s11
	s_cselect_b32 s8, s2, s10
	s_load_dwordx2 s[2:3], s[8:9], 0x0
	s_load_dwordx2 s[22:23], s[24:25], 0x0
	v_sub_u16_e32 v8, v0, v2
	v_mov_b32_e32 v7, 0
	s_waitcnt lgkmcnt(0)
	v_mov_b32_e32 v2, s2
	v_mov_b32_e32 v3, s3
	v_cmp_ge_i64_e32 vcc, s[22:23], v[2:3]
	s_cbranch_vccnz .LBB368_12
; %bb.8:
	v_mov_b32_e32 v2, 31
	v_mul_lo_u16_sdwa v2, v1, v2 dst_sel:DWORD dst_unused:UNUSED_PAD src0_sel:WORD_1 src1_sel:DWORD
	v_lshrrev_b16_e32 v2, 9, v2
	s_load_dwordx4 s[8:11], s[4:5], 0x38
	s_load_dwordx2 s[24:25], s[4:5], 0x48
	v_mul_lo_u16_e32 v2, 17, v2
	s_sub_u32 s2, s2, s18
	v_sub_u16_sdwa v1, v1, v2 dst_sel:DWORD dst_unused:UNUSED_PAD src0_sel:WORD_1 src1_sel:DWORD
	s_subb_u32 s3, s3, 0
	v_and_b32_e32 v1, 0xff, v1
	s_sub_u32 s4, s22, s18
	v_cndmask_b32_e64 v1, v8, v1, s[0:1]
	s_subb_u32 s5, s23, 0
	v_lshlrev_b32_e32 v1, 1, v1
	s_mul_i32 s0, s5, 0x242
	s_mul_hi_u32 s1, s4, 0x242
	s_waitcnt lgkmcnt(0)
	v_mov_b32_e32 v2, s25
	v_add_co_u32_e32 v1, vcc, s24, v1
	s_add_i32 s1, s1, s0
	s_mul_i32 s0, s4, 0x242
	v_addc_co_u32_e32 v2, vcc, 0, v2, vcc
	s_add_u32 s0, s10, s0
	v_lshlrev_b32_e32 v3, 1, v0
	s_addc_u32 s1, s11, s1
	v_add_co_u32_e32 v3, vcc, s0, v3
	s_movk_i32 s0, 0xe3
	v_mov_b32_e32 v4, s1
	v_mul_u32_u24_sdwa v5, v0, s0 dst_sel:DWORD dst_unused:UNUSED_PAD src0_sel:WORD_0 src1_sel:DWORD
	v_addc_co_u32_e32 v4, vcc, 0, v4, vcc
	v_lshrrev_b32_e32 v9, 16, v5
	v_mov_b32_e32 v5, s23
	v_add_co_u32_e32 v6, vcc, s22, v9
	v_addc_co_u32_e32 v10, vcc, 0, v5, vcc
	v_subrev_co_u32_e32 v5, vcc, s18, v6
	v_subbrev_co_u32_e32 v6, vcc, 0, v10, vcc
	v_lshlrev_b64 v[5:6], 3, v[5:6]
	v_mov_b32_e32 v10, s9
	v_add_co_u32_e32 v5, vcc, s8, v5
	v_mov_b32_e32 v7, 0
	v_addc_co_u32_e32 v6, vcc, v10, v6, vcc
	s_branch .LBB368_10
.LBB368_9:                              ;   in Loop: Header=BB368_10 Depth=1
	s_or_b64 exec, exec, s[0:1]
	s_add_u32 s4, s4, 1
	v_mov_b32_e32 v11, s3
	s_addc_u32 s5, s5, 0
	v_mov_b32_e32 v10, s2
	v_cmp_lt_i64_e32 vcc, s[4:5], v[10:11]
	v_add_co_u32_e64 v5, s[0:1], 8, v5
	v_addc_co_u32_e64 v6, s[0:1], 0, v6, s[0:1]
	s_cbranch_vccz .LBB368_12
.LBB368_10:                             ; =>This Inner Loop Header: Depth=1
	v_mov_b32_e32 v11, s5
	v_add_co_u32_e32 v10, vcc, s4, v9
	v_addc_co_u32_e32 v11, vcc, 0, v11, vcc
	v_cmp_gt_i64_e32 vcc, s[2:3], v[10:11]
	s_and_saveexec_b64 s[0:1], vcc
	s_cbranch_execz .LBB368_9
; %bb.11:                               ;   in Loop: Header=BB368_10 Depth=1
	global_load_dwordx2 v[10:11], v[5:6], off
	s_waitcnt vmcnt(0)
	v_subrev_co_u32_e32 v10, vcc, s18, v10
	v_subbrev_co_u32_e32 v12, vcc, 0, v11, vcc
	v_mad_u64_u32 v[10:11], s[8:9], v10, 34, v[1:2]
	v_mad_u64_u32 v[11:12], s[8:9], v12, 34, v[11:12]
	global_load_ushort v12, v[3:4], off
	s_nop 0
	global_load_ushort v10, v[10:11], off
	v_add_co_u32_e32 v3, vcc, 0x242, v3
	v_addc_co_u32_e32 v4, vcc, 0, v4, vcc
	s_waitcnt vmcnt(1)
	v_lshlrev_b32_e32 v11, 16, v12
	s_waitcnt vmcnt(0)
	v_lshlrev_b32_e32 v10, 16, v10
	v_fmac_f32_e32 v7, v11, v10
	s_branch .LBB368_9
.LBB368_12:
	v_lshlrev_b32_e32 v1, 2, v0
	s_and_b64 vcc, exec, s[20:21]
	ds_write_b32 v1, v7
	s_waitcnt lgkmcnt(0)
	s_barrier
	s_cbranch_vccz .LBB368_24
; %bb.13:
	v_cmp_eq_u16_e32 vcc, 0, v8
	s_and_saveexec_b64 s[0:1], vcc
	s_cbranch_execz .LBB368_15
; %bb.14:
	ds_read2_b32 v[2:3], v1 offset1:16
	s_waitcnt lgkmcnt(0)
	v_add_f32_e32 v2, v3, v2
	ds_write_b32 v1, v2
.LBB368_15:
	s_or_b64 exec, exec, s[0:1]
	v_cmp_gt_u16_e32 vcc, 8, v8
	s_waitcnt lgkmcnt(0)
	s_barrier
	s_and_saveexec_b64 s[0:1], vcc
	s_cbranch_execz .LBB368_17
; %bb.16:
	ds_read2_b32 v[2:3], v1 offset1:8
	s_waitcnt lgkmcnt(0)
	v_add_f32_e32 v2, v3, v2
	ds_write_b32 v1, v2
.LBB368_17:
	s_or_b64 exec, exec, s[0:1]
	v_cmp_gt_u16_e32 vcc, 4, v8
	s_waitcnt lgkmcnt(0)
	s_barrier
	;; [unrolled: 12-line block ×3, first 2 shown]
	s_and_saveexec_b64 s[0:1], vcc
	s_cbranch_execz .LBB368_21
; %bb.20:
	ds_read2_b32 v[2:3], v1 offset1:2
	s_waitcnt lgkmcnt(0)
	v_add_f32_e32 v2, v3, v2
	ds_write_b32 v1, v2
.LBB368_21:
	s_or_b64 exec, exec, s[0:1]
	v_cmp_gt_u32_e32 vcc, 17, v0
	v_mov_b32_e32 v2, v7
	s_waitcnt lgkmcnt(0)
	s_barrier
	s_and_saveexec_b64 s[0:1], vcc
	s_cbranch_execz .LBB368_23
; %bb.22:
	v_lshl_add_u32 v2, v0, 6, v1
	ds_read2_b32 v[2:3], v2 offset1:1
	s_waitcnt lgkmcnt(0)
	v_add_f32_e32 v2, v2, v3
.LBB368_23:
	s_or_b64 exec, exec, s[0:1]
	v_cmp_gt_u32_e64 s[0:1], 17, v0
	s_branch .LBB368_36
.LBB368_24:
                                        ; implicit-def: $vgpr2
	v_cmp_gt_u32_e64 s[0:1], 17, v0
	s_cbranch_execz .LBB368_36
; %bb.25:
	s_and_saveexec_b64 s[2:3], s[0:1]
	s_cbranch_execz .LBB368_27
; %bb.26:
	ds_read_b32 v2, v1 offset:1088
	ds_read_b32 v3, v1
	s_waitcnt lgkmcnt(0)
	v_add_f32_e32 v2, v2, v3
	ds_write_b32 v1, v2
.LBB368_27:
	s_or_b64 exec, exec, s[2:3]
	s_movk_i32 s2, 0x88
	v_cmp_gt_u32_e32 vcc, s2, v0
	s_waitcnt lgkmcnt(0)
	s_barrier
	s_and_saveexec_b64 s[2:3], vcc
	s_cbranch_execz .LBB368_29
; %bb.28:
	ds_read2_b32 v[2:3], v1 offset1:136
	s_waitcnt lgkmcnt(0)
	v_add_f32_e32 v2, v3, v2
	ds_write_b32 v1, v2
.LBB368_29:
	s_or_b64 exec, exec, s[2:3]
	s_movk_i32 s2, 0x44
	v_cmp_gt_u32_e32 vcc, s2, v0
	s_waitcnt lgkmcnt(0)
	s_barrier
	s_and_saveexec_b64 s[2:3], vcc
	s_cbranch_execz .LBB368_31
; %bb.30:
	ds_read2_b32 v[2:3], v1 offset1:68
	s_waitcnt lgkmcnt(0)
	v_add_f32_e32 v2, v3, v2
	ds_write_b32 v1, v2
.LBB368_31:
	s_or_b64 exec, exec, s[2:3]
	v_cmp_gt_u32_e32 vcc, 34, v0
	s_waitcnt lgkmcnt(0)
	s_barrier
	s_and_saveexec_b64 s[2:3], vcc
	s_cbranch_execz .LBB368_33
; %bb.32:
	ds_read2_b32 v[2:3], v1 offset1:34
	s_waitcnt lgkmcnt(0)
	v_add_f32_e32 v2, v3, v2
	ds_write_b32 v1, v2
.LBB368_33:
	s_or_b64 exec, exec, s[2:3]
	s_waitcnt lgkmcnt(0)
	s_and_saveexec_b64 s[2:3], s[0:1]
	s_cbranch_execz .LBB368_35
; %bb.34:
	ds_read2_b32 v[2:3], v1 offset1:17
	s_waitcnt lgkmcnt(0)
	v_add_f32_e32 v7, v2, v3
.LBB368_35:
	s_or_b64 exec, exec, s[2:3]
	v_mov_b32_e32 v2, v7
.LBB368_36:
	v_cmp_gt_u32_e32 vcc, 17, v0
	s_and_saveexec_b64 s[0:1], vcc
	s_cbranch_execz .LBB368_40
; %bb.37:
	v_cmp_eq_f32_e64 s[0:1], s12, 0
	s_and_b64 vcc, exec, s[0:1]
	v_mul_f32_e32 v0, s14, v2
	s_mul_i32 s2, s7, 0x44
	s_mul_hi_u32 s3, s6, 0x44
	s_mul_i32 s4, s6, 0x44
	s_cbranch_vccz .LBB368_41
; %bb.38:
	s_add_i32 s1, s3, s2
	s_add_u32 s0, s16, s4
	s_addc_u32 s1, s17, s1
	global_store_dword v1, v0, s[0:1]
	s_cbranch_execnz .LBB368_40
.LBB368_39:
	s_add_i32 s3, s3, s2
	s_add_u32 s0, s16, s4
	s_addc_u32 s1, s17, s3
	global_load_dword v2, v1, s[0:1]
	s_waitcnt vmcnt(0)
	v_fmac_f32_e32 v0, s12, v2
	global_store_dword v1, v0, s[0:1]
.LBB368_40:
	s_endpgm
.LBB368_41:
	s_branch .LBB368_39
	.section	.rodata,"a",@progbits
	.p2align	6, 0x0
	.amdhsa_kernel _ZN9rocsparseL20bsrxmvn_17_32_kernelILj17Efll18rocsparse_bfloat16S1_fEEvT2_20rocsparse_direction_NS_24const_host_device_scalarIT0_EES2_PKS2_PKT1_SB_S8_PKT3_PKT4_S6_PT5_21rocsparse_index_base_b
		.amdhsa_group_segment_fixed_size 1156
		.amdhsa_private_segment_fixed_size 0
		.amdhsa_kernarg_size 104
		.amdhsa_user_sgpr_count 6
		.amdhsa_user_sgpr_private_segment_buffer 1
		.amdhsa_user_sgpr_dispatch_ptr 0
		.amdhsa_user_sgpr_queue_ptr 0
		.amdhsa_user_sgpr_kernarg_segment_ptr 1
		.amdhsa_user_sgpr_dispatch_id 0
		.amdhsa_user_sgpr_flat_scratch_init 0
		.amdhsa_user_sgpr_private_segment_size 0
		.amdhsa_uses_dynamic_stack 0
		.amdhsa_system_sgpr_private_segment_wavefront_offset 0
		.amdhsa_system_sgpr_workgroup_id_x 1
		.amdhsa_system_sgpr_workgroup_id_y 0
		.amdhsa_system_sgpr_workgroup_id_z 0
		.amdhsa_system_sgpr_workgroup_info 0
		.amdhsa_system_vgpr_workitem_id 0
		.amdhsa_next_free_vgpr 13
		.amdhsa_next_free_sgpr 26
		.amdhsa_reserve_vcc 1
		.amdhsa_reserve_flat_scratch 0
		.amdhsa_float_round_mode_32 0
		.amdhsa_float_round_mode_16_64 0
		.amdhsa_float_denorm_mode_32 3
		.amdhsa_float_denorm_mode_16_64 3
		.amdhsa_dx10_clamp 1
		.amdhsa_ieee_mode 1
		.amdhsa_fp16_overflow 0
		.amdhsa_exception_fp_ieee_invalid_op 0
		.amdhsa_exception_fp_denorm_src 0
		.amdhsa_exception_fp_ieee_div_zero 0
		.amdhsa_exception_fp_ieee_overflow 0
		.amdhsa_exception_fp_ieee_underflow 0
		.amdhsa_exception_fp_ieee_inexact 0
		.amdhsa_exception_int_div_zero 0
	.end_amdhsa_kernel
	.section	.text._ZN9rocsparseL20bsrxmvn_17_32_kernelILj17Efll18rocsparse_bfloat16S1_fEEvT2_20rocsparse_direction_NS_24const_host_device_scalarIT0_EES2_PKS2_PKT1_SB_S8_PKT3_PKT4_S6_PT5_21rocsparse_index_base_b,"axG",@progbits,_ZN9rocsparseL20bsrxmvn_17_32_kernelILj17Efll18rocsparse_bfloat16S1_fEEvT2_20rocsparse_direction_NS_24const_host_device_scalarIT0_EES2_PKS2_PKT1_SB_S8_PKT3_PKT4_S6_PT5_21rocsparse_index_base_b,comdat
.Lfunc_end368:
	.size	_ZN9rocsparseL20bsrxmvn_17_32_kernelILj17Efll18rocsparse_bfloat16S1_fEEvT2_20rocsparse_direction_NS_24const_host_device_scalarIT0_EES2_PKS2_PKT1_SB_S8_PKT3_PKT4_S6_PT5_21rocsparse_index_base_b, .Lfunc_end368-_ZN9rocsparseL20bsrxmvn_17_32_kernelILj17Efll18rocsparse_bfloat16S1_fEEvT2_20rocsparse_direction_NS_24const_host_device_scalarIT0_EES2_PKS2_PKT1_SB_S8_PKT3_PKT4_S6_PT5_21rocsparse_index_base_b
                                        ; -- End function
	.set _ZN9rocsparseL20bsrxmvn_17_32_kernelILj17Efll18rocsparse_bfloat16S1_fEEvT2_20rocsparse_direction_NS_24const_host_device_scalarIT0_EES2_PKS2_PKT1_SB_S8_PKT3_PKT4_S6_PT5_21rocsparse_index_base_b.num_vgpr, 13
	.set _ZN9rocsparseL20bsrxmvn_17_32_kernelILj17Efll18rocsparse_bfloat16S1_fEEvT2_20rocsparse_direction_NS_24const_host_device_scalarIT0_EES2_PKS2_PKT1_SB_S8_PKT3_PKT4_S6_PT5_21rocsparse_index_base_b.num_agpr, 0
	.set _ZN9rocsparseL20bsrxmvn_17_32_kernelILj17Efll18rocsparse_bfloat16S1_fEEvT2_20rocsparse_direction_NS_24const_host_device_scalarIT0_EES2_PKS2_PKT1_SB_S8_PKT3_PKT4_S6_PT5_21rocsparse_index_base_b.numbered_sgpr, 26
	.set _ZN9rocsparseL20bsrxmvn_17_32_kernelILj17Efll18rocsparse_bfloat16S1_fEEvT2_20rocsparse_direction_NS_24const_host_device_scalarIT0_EES2_PKS2_PKT1_SB_S8_PKT3_PKT4_S6_PT5_21rocsparse_index_base_b.num_named_barrier, 0
	.set _ZN9rocsparseL20bsrxmvn_17_32_kernelILj17Efll18rocsparse_bfloat16S1_fEEvT2_20rocsparse_direction_NS_24const_host_device_scalarIT0_EES2_PKS2_PKT1_SB_S8_PKT3_PKT4_S6_PT5_21rocsparse_index_base_b.private_seg_size, 0
	.set _ZN9rocsparseL20bsrxmvn_17_32_kernelILj17Efll18rocsparse_bfloat16S1_fEEvT2_20rocsparse_direction_NS_24const_host_device_scalarIT0_EES2_PKS2_PKT1_SB_S8_PKT3_PKT4_S6_PT5_21rocsparse_index_base_b.uses_vcc, 1
	.set _ZN9rocsparseL20bsrxmvn_17_32_kernelILj17Efll18rocsparse_bfloat16S1_fEEvT2_20rocsparse_direction_NS_24const_host_device_scalarIT0_EES2_PKS2_PKT1_SB_S8_PKT3_PKT4_S6_PT5_21rocsparse_index_base_b.uses_flat_scratch, 0
	.set _ZN9rocsparseL20bsrxmvn_17_32_kernelILj17Efll18rocsparse_bfloat16S1_fEEvT2_20rocsparse_direction_NS_24const_host_device_scalarIT0_EES2_PKS2_PKT1_SB_S8_PKT3_PKT4_S6_PT5_21rocsparse_index_base_b.has_dyn_sized_stack, 0
	.set _ZN9rocsparseL20bsrxmvn_17_32_kernelILj17Efll18rocsparse_bfloat16S1_fEEvT2_20rocsparse_direction_NS_24const_host_device_scalarIT0_EES2_PKS2_PKT1_SB_S8_PKT3_PKT4_S6_PT5_21rocsparse_index_base_b.has_recursion, 0
	.set _ZN9rocsparseL20bsrxmvn_17_32_kernelILj17Efll18rocsparse_bfloat16S1_fEEvT2_20rocsparse_direction_NS_24const_host_device_scalarIT0_EES2_PKS2_PKT1_SB_S8_PKT3_PKT4_S6_PT5_21rocsparse_index_base_b.has_indirect_call, 0
	.section	.AMDGPU.csdata,"",@progbits
; Kernel info:
; codeLenInByte = 1324
; TotalNumSgprs: 30
; NumVgprs: 13
; ScratchSize: 0
; MemoryBound: 0
; FloatMode: 240
; IeeeMode: 1
; LDSByteSize: 1156 bytes/workgroup (compile time only)
; SGPRBlocks: 3
; VGPRBlocks: 3
; NumSGPRsForWavesPerEU: 30
; NumVGPRsForWavesPerEU: 13
; Occupancy: 10
; WaveLimiterHint : 1
; COMPUTE_PGM_RSRC2:SCRATCH_EN: 0
; COMPUTE_PGM_RSRC2:USER_SGPR: 6
; COMPUTE_PGM_RSRC2:TRAP_HANDLER: 0
; COMPUTE_PGM_RSRC2:TGID_X_EN: 1
; COMPUTE_PGM_RSRC2:TGID_Y_EN: 0
; COMPUTE_PGM_RSRC2:TGID_Z_EN: 0
; COMPUTE_PGM_RSRC2:TIDIG_COMP_CNT: 0
	.section	.text._ZN9rocsparseL20bsrxmvn_17_32_kernelILj18Efll18rocsparse_bfloat16S1_fEEvT2_20rocsparse_direction_NS_24const_host_device_scalarIT0_EES2_PKS2_PKT1_SB_S8_PKT3_PKT4_S6_PT5_21rocsparse_index_base_b,"axG",@progbits,_ZN9rocsparseL20bsrxmvn_17_32_kernelILj18Efll18rocsparse_bfloat16S1_fEEvT2_20rocsparse_direction_NS_24const_host_device_scalarIT0_EES2_PKS2_PKT1_SB_S8_PKT3_PKT4_S6_PT5_21rocsparse_index_base_b,comdat
	.globl	_ZN9rocsparseL20bsrxmvn_17_32_kernelILj18Efll18rocsparse_bfloat16S1_fEEvT2_20rocsparse_direction_NS_24const_host_device_scalarIT0_EES2_PKS2_PKT1_SB_S8_PKT3_PKT4_S6_PT5_21rocsparse_index_base_b ; -- Begin function _ZN9rocsparseL20bsrxmvn_17_32_kernelILj18Efll18rocsparse_bfloat16S1_fEEvT2_20rocsparse_direction_NS_24const_host_device_scalarIT0_EES2_PKS2_PKT1_SB_S8_PKT3_PKT4_S6_PT5_21rocsparse_index_base_b
	.p2align	8
	.type	_ZN9rocsparseL20bsrxmvn_17_32_kernelILj18Efll18rocsparse_bfloat16S1_fEEvT2_20rocsparse_direction_NS_24const_host_device_scalarIT0_EES2_PKS2_PKT1_SB_S8_PKT3_PKT4_S6_PT5_21rocsparse_index_base_b,@function
_ZN9rocsparseL20bsrxmvn_17_32_kernelILj18Efll18rocsparse_bfloat16S1_fEEvT2_20rocsparse_direction_NS_24const_host_device_scalarIT0_EES2_PKS2_PKT1_SB_S8_PKT3_PKT4_S6_PT5_21rocsparse_index_base_b: ; @_ZN9rocsparseL20bsrxmvn_17_32_kernelILj18Efll18rocsparse_bfloat16S1_fEEvT2_20rocsparse_direction_NS_24const_host_device_scalarIT0_EES2_PKS2_PKT1_SB_S8_PKT3_PKT4_S6_PT5_21rocsparse_index_base_b
; %bb.0:
	s_load_dwordx2 s[18:19], s[4:5], 0x60
	s_load_dwordx2 s[14:15], s[4:5], 0x10
	;; [unrolled: 1-line block ×3, first 2 shown]
	s_waitcnt lgkmcnt(0)
	s_bitcmp1_b32 s19, 0
	s_cselect_b64 s[2:3], -1, 0
	s_xor_b64 s[0:1], s[2:3], -1
	s_and_b64 vcc, exec, s[2:3]
	s_cbranch_vccnz .LBB369_2
; %bb.1:
	s_load_dword s14, s[14:15], 0x0
.LBB369_2:
	s_andn2_b64 vcc, exec, s[0:1]
	s_cbranch_vccnz .LBB369_4
; %bb.3:
	s_load_dword s12, s[12:13], 0x0
.LBB369_4:
	s_waitcnt lgkmcnt(0)
	v_cmp_neq_f32_e64 s[0:1], s14, 0
	v_cmp_neq_f32_e64 s[2:3], s12, 1.0
	s_or_b64 s[0:1], s[0:1], s[2:3]
	s_andn2_b64 vcc, exec, s[0:1]
	s_mov_b32 s7, 0
	s_cbranch_vccnz .LBB369_40
; %bb.5:
	s_load_dwordx4 s[0:3], s[4:5], 0x20
	s_load_dwordx2 s[8:9], s[4:5], 0x30
	s_waitcnt lgkmcnt(0)
	s_cmp_eq_u64 s[0:1], 0
	s_cbranch_scc1 .LBB369_7
; %bb.6:
	s_lshl_b64 s[6:7], s[6:7], 3
	s_add_u32 s0, s0, s6
	s_addc_u32 s1, s1, s7
	s_load_dwordx2 s[0:1], s[0:1], 0x0
	s_waitcnt lgkmcnt(0)
	s_sub_u32 s6, s0, s18
	s_subb_u32 s7, s1, 0
.LBB369_7:
	s_load_dword s10, s[4:5], 0x8
	s_load_dwordx2 s[16:17], s[4:5], 0x58
	v_mul_u32_u24_e32 v1, 0xe39, v0
	v_mov_b32_e32 v2, 18
	v_mul_lo_u16_sdwa v3, v1, v2 dst_sel:DWORD dst_unused:UNUSED_PAD src0_sel:WORD_1 src1_sel:DWORD
	s_waitcnt lgkmcnt(0)
	s_cmp_eq_u32 s10, 1
	s_cselect_b64 s[0:1], -1, 0
	s_cmp_lg_u32 s10, 1
	s_cselect_b64 s[20:21], -1, 0
	s_lshl_b64 s[10:11], s[6:7], 3
	s_add_u32 s24, s2, s10
	s_addc_u32 s25, s3, s11
	s_add_u32 s2, s24, 8
	s_addc_u32 s3, s25, 0
	;; [unrolled: 2-line block ×3, first 2 shown]
	s_cmp_eq_u64 s[8:9], 0
	s_cselect_b32 s9, s3, s11
	s_cselect_b32 s8, s2, s10
	s_load_dwordx2 s[2:3], s[8:9], 0x0
	s_load_dwordx2 s[22:23], s[24:25], 0x0
	v_sub_u16_e32 v8, v0, v3
	v_mov_b32_e32 v7, 0
	s_waitcnt lgkmcnt(0)
	v_mov_b32_e32 v4, s3
	v_mov_b32_e32 v3, s2
	v_cmp_ge_i64_e32 vcc, s[22:23], v[3:4]
	s_cbranch_vccnz .LBB369_12
; %bb.8:
	v_mov_b32_e32 v3, 15
	v_mul_lo_u16_sdwa v3, v1, v3 dst_sel:DWORD dst_unused:UNUSED_PAD src0_sel:WORD_1 src1_sel:DWORD
	s_load_dwordx4 s[8:11], s[4:5], 0x38
	s_load_dwordx2 s[24:25], s[4:5], 0x48
	v_mul_lo_u16_sdwa v2, v3, v2 dst_sel:DWORD dst_unused:UNUSED_PAD src0_sel:BYTE_1 src1_sel:DWORD
	s_sub_u32 s2, s2, s18
	v_sub_u16_sdwa v1, v1, v2 dst_sel:DWORD dst_unused:UNUSED_PAD src0_sel:WORD_1 src1_sel:DWORD
	s_subb_u32 s3, s3, 0
	v_and_b32_e32 v1, 0xff, v1
	s_sub_u32 s4, s22, s18
	v_cndmask_b32_e64 v1, v8, v1, s[0:1]
	s_subb_u32 s5, s23, 0
	v_lshlrev_b32_e32 v1, 1, v1
	s_mul_i32 s0, s5, 0x288
	s_mul_hi_u32 s1, s4, 0x288
	s_waitcnt lgkmcnt(0)
	v_mov_b32_e32 v2, s25
	v_add_co_u32_e32 v1, vcc, s24, v1
	s_add_i32 s1, s1, s0
	s_mul_i32 s0, s4, 0x288
	v_addc_co_u32_e32 v2, vcc, 0, v2, vcc
	s_add_u32 s0, s10, s0
	v_lshlrev_b32_e32 v3, 1, v0
	s_addc_u32 s1, s11, s1
	v_add_co_u32_e32 v3, vcc, s0, v3
	s_movk_i32 s0, 0x195
	v_mov_b32_e32 v4, s1
	v_mul_u32_u24_sdwa v5, v0, s0 dst_sel:DWORD dst_unused:UNUSED_PAD src0_sel:WORD_0 src1_sel:DWORD
	v_addc_co_u32_e32 v4, vcc, 0, v4, vcc
	v_lshrrev_b32_e32 v9, 17, v5
	v_mov_b32_e32 v5, s23
	v_add_co_u32_e32 v6, vcc, s22, v9
	v_addc_co_u32_e32 v10, vcc, 0, v5, vcc
	v_subrev_co_u32_e32 v5, vcc, s18, v6
	v_subbrev_co_u32_e32 v6, vcc, 0, v10, vcc
	v_lshlrev_b64 v[5:6], 3, v[5:6]
	v_mov_b32_e32 v10, s9
	v_add_co_u32_e32 v5, vcc, s8, v5
	v_mov_b32_e32 v7, 0
	v_addc_co_u32_e32 v6, vcc, v10, v6, vcc
	s_branch .LBB369_10
.LBB369_9:                              ;   in Loop: Header=BB369_10 Depth=1
	s_or_b64 exec, exec, s[0:1]
	s_add_u32 s4, s4, 1
	v_mov_b32_e32 v11, s3
	s_addc_u32 s5, s5, 0
	v_mov_b32_e32 v10, s2
	v_cmp_lt_i64_e32 vcc, s[4:5], v[10:11]
	v_add_co_u32_e64 v5, s[0:1], 8, v5
	v_addc_co_u32_e64 v6, s[0:1], 0, v6, s[0:1]
	s_cbranch_vccz .LBB369_12
.LBB369_10:                             ; =>This Inner Loop Header: Depth=1
	v_mov_b32_e32 v11, s5
	v_add_co_u32_e32 v10, vcc, s4, v9
	v_addc_co_u32_e32 v11, vcc, 0, v11, vcc
	v_cmp_gt_i64_e32 vcc, s[2:3], v[10:11]
	s_and_saveexec_b64 s[0:1], vcc
	s_cbranch_execz .LBB369_9
; %bb.11:                               ;   in Loop: Header=BB369_10 Depth=1
	global_load_dwordx2 v[10:11], v[5:6], off
	s_waitcnt vmcnt(0)
	v_subrev_co_u32_e32 v10, vcc, s18, v10
	v_subbrev_co_u32_e32 v12, vcc, 0, v11, vcc
	v_mad_u64_u32 v[10:11], s[8:9], v10, 36, v[1:2]
	v_mad_u64_u32 v[11:12], s[8:9], v12, 36, v[11:12]
	global_load_ushort v12, v[3:4], off
	s_nop 0
	global_load_ushort v10, v[10:11], off
	v_add_co_u32_e32 v3, vcc, 0x288, v3
	v_addc_co_u32_e32 v4, vcc, 0, v4, vcc
	s_waitcnt vmcnt(1)
	v_lshlrev_b32_e32 v11, 16, v12
	s_waitcnt vmcnt(0)
	v_lshlrev_b32_e32 v10, 16, v10
	v_fmac_f32_e32 v7, v11, v10
	s_branch .LBB369_9
.LBB369_12:
	v_lshlrev_b32_e32 v1, 2, v0
	s_and_b64 vcc, exec, s[20:21]
	ds_write_b32 v1, v7
	s_waitcnt lgkmcnt(0)
	s_barrier
	s_cbranch_vccz .LBB369_24
; %bb.13:
	v_cmp_gt_u16_e32 vcc, 2, v8
	s_and_saveexec_b64 s[0:1], vcc
	s_cbranch_execz .LBB369_15
; %bb.14:
	ds_read2_b32 v[2:3], v1 offset1:16
	s_waitcnt lgkmcnt(0)
	v_add_f32_e32 v2, v3, v2
	ds_write_b32 v1, v2
.LBB369_15:
	s_or_b64 exec, exec, s[0:1]
	v_cmp_gt_u16_e64 s[0:1], 8, v8
	s_waitcnt lgkmcnt(0)
	s_barrier
	s_and_saveexec_b64 s[2:3], s[0:1]
	s_cbranch_execz .LBB369_17
; %bb.16:
	ds_read2_b32 v[2:3], v1 offset1:8
	s_waitcnt lgkmcnt(0)
	v_add_f32_e32 v2, v3, v2
	ds_write_b32 v1, v2
.LBB369_17:
	s_or_b64 exec, exec, s[2:3]
	v_cmp_gt_u16_e64 s[0:1], 4, v8
	s_waitcnt lgkmcnt(0)
	s_barrier
	s_and_saveexec_b64 s[2:3], s[0:1]
	s_cbranch_execz .LBB369_19
; %bb.18:
	ds_read2_b32 v[2:3], v1 offset1:4
	s_waitcnt lgkmcnt(0)
	v_add_f32_e32 v2, v3, v2
	ds_write_b32 v1, v2
.LBB369_19:
	s_or_b64 exec, exec, s[2:3]
	s_waitcnt lgkmcnt(0)
	s_barrier
	s_and_saveexec_b64 s[0:1], vcc
	s_cbranch_execz .LBB369_21
; %bb.20:
	ds_read2_b32 v[2:3], v1 offset1:2
	s_waitcnt lgkmcnt(0)
	v_add_f32_e32 v2, v3, v2
	ds_write_b32 v1, v2
.LBB369_21:
	s_or_b64 exec, exec, s[0:1]
	v_cmp_gt_u32_e32 vcc, 18, v0
	v_mov_b32_e32 v2, v7
	s_waitcnt lgkmcnt(0)
	s_barrier
	s_and_saveexec_b64 s[0:1], vcc
	s_cbranch_execz .LBB369_23
; %bb.22:
	s_movk_i32 s2, 0x44
	v_mad_u32_u24 v2, v0, s2, v1
	ds_read_b64 v[2:3], v2
	s_waitcnt lgkmcnt(0)
	v_add_f32_e32 v2, v2, v3
.LBB369_23:
	s_or_b64 exec, exec, s[0:1]
	s_branch .LBB369_36
.LBB369_24:
                                        ; implicit-def: $vgpr2
	s_cbranch_execz .LBB369_36
; %bb.25:
	v_cmp_gt_u32_e32 vcc, 36, v0
	s_and_saveexec_b64 s[0:1], vcc
	s_cbranch_execz .LBB369_27
; %bb.26:
	ds_read_b32 v2, v1 offset:1152
	ds_read_b32 v3, v1
	s_waitcnt lgkmcnt(0)
	v_add_f32_e32 v2, v2, v3
	ds_write_b32 v1, v2
.LBB369_27:
	s_or_b64 exec, exec, s[0:1]
	s_movk_i32 s0, 0x90
	v_cmp_gt_u32_e64 s[0:1], s0, v0
	s_waitcnt lgkmcnt(0)
	s_barrier
	s_and_saveexec_b64 s[2:3], s[0:1]
	s_cbranch_execz .LBB369_29
; %bb.28:
	ds_read2_b32 v[2:3], v1 offset1:144
	s_waitcnt lgkmcnt(0)
	v_add_f32_e32 v2, v3, v2
	ds_write_b32 v1, v2
.LBB369_29:
	s_or_b64 exec, exec, s[2:3]
	s_movk_i32 s0, 0x48
	v_cmp_gt_u32_e64 s[0:1], s0, v0
	s_waitcnt lgkmcnt(0)
	s_barrier
	s_and_saveexec_b64 s[2:3], s[0:1]
	s_cbranch_execz .LBB369_31
; %bb.30:
	ds_read2_b32 v[2:3], v1 offset1:72
	s_waitcnt lgkmcnt(0)
	v_add_f32_e32 v2, v3, v2
	ds_write_b32 v1, v2
.LBB369_31:
	s_or_b64 exec, exec, s[2:3]
	s_waitcnt lgkmcnt(0)
	s_barrier
	s_and_saveexec_b64 s[0:1], vcc
	s_cbranch_execz .LBB369_33
; %bb.32:
	ds_read2_b32 v[2:3], v1 offset1:36
	s_waitcnt lgkmcnt(0)
	v_add_f32_e32 v2, v3, v2
	ds_write_b32 v1, v2
.LBB369_33:
	s_or_b64 exec, exec, s[0:1]
	v_cmp_gt_u32_e32 vcc, 18, v0
	s_waitcnt lgkmcnt(0)
	s_and_saveexec_b64 s[0:1], vcc
	s_cbranch_execz .LBB369_35
; %bb.34:
	ds_read2_b32 v[2:3], v1 offset1:18
	s_waitcnt lgkmcnt(0)
	v_add_f32_e32 v7, v2, v3
.LBB369_35:
	s_or_b64 exec, exec, s[0:1]
	v_mov_b32_e32 v2, v7
.LBB369_36:
	v_cmp_gt_u32_e32 vcc, 18, v0
	s_and_saveexec_b64 s[0:1], vcc
	s_cbranch_execz .LBB369_40
; %bb.37:
	v_cmp_eq_f32_e64 s[0:1], s12, 0
	s_and_b64 vcc, exec, s[0:1]
	v_mul_f32_e32 v0, s14, v2
	s_mul_i32 s2, s7, 0x48
	s_mul_hi_u32 s3, s6, 0x48
	s_mul_i32 s4, s6, 0x48
	s_cbranch_vccz .LBB369_41
; %bb.38:
	s_add_i32 s1, s3, s2
	s_add_u32 s0, s16, s4
	s_addc_u32 s1, s17, s1
	global_store_dword v1, v0, s[0:1]
	s_cbranch_execnz .LBB369_40
.LBB369_39:
	s_add_i32 s3, s3, s2
	s_add_u32 s0, s16, s4
	s_addc_u32 s1, s17, s3
	global_load_dword v2, v1, s[0:1]
	s_waitcnt vmcnt(0)
	v_fmac_f32_e32 v0, s12, v2
	global_store_dword v1, v0, s[0:1]
.LBB369_40:
	s_endpgm
.LBB369_41:
	s_branch .LBB369_39
	.section	.rodata,"a",@progbits
	.p2align	6, 0x0
	.amdhsa_kernel _ZN9rocsparseL20bsrxmvn_17_32_kernelILj18Efll18rocsparse_bfloat16S1_fEEvT2_20rocsparse_direction_NS_24const_host_device_scalarIT0_EES2_PKS2_PKT1_SB_S8_PKT3_PKT4_S6_PT5_21rocsparse_index_base_b
		.amdhsa_group_segment_fixed_size 1296
		.amdhsa_private_segment_fixed_size 0
		.amdhsa_kernarg_size 104
		.amdhsa_user_sgpr_count 6
		.amdhsa_user_sgpr_private_segment_buffer 1
		.amdhsa_user_sgpr_dispatch_ptr 0
		.amdhsa_user_sgpr_queue_ptr 0
		.amdhsa_user_sgpr_kernarg_segment_ptr 1
		.amdhsa_user_sgpr_dispatch_id 0
		.amdhsa_user_sgpr_flat_scratch_init 0
		.amdhsa_user_sgpr_private_segment_size 0
		.amdhsa_uses_dynamic_stack 0
		.amdhsa_system_sgpr_private_segment_wavefront_offset 0
		.amdhsa_system_sgpr_workgroup_id_x 1
		.amdhsa_system_sgpr_workgroup_id_y 0
		.amdhsa_system_sgpr_workgroup_id_z 0
		.amdhsa_system_sgpr_workgroup_info 0
		.amdhsa_system_vgpr_workitem_id 0
		.amdhsa_next_free_vgpr 13
		.amdhsa_next_free_sgpr 26
		.amdhsa_reserve_vcc 1
		.amdhsa_reserve_flat_scratch 0
		.amdhsa_float_round_mode_32 0
		.amdhsa_float_round_mode_16_64 0
		.amdhsa_float_denorm_mode_32 3
		.amdhsa_float_denorm_mode_16_64 3
		.amdhsa_dx10_clamp 1
		.amdhsa_ieee_mode 1
		.amdhsa_fp16_overflow 0
		.amdhsa_exception_fp_ieee_invalid_op 0
		.amdhsa_exception_fp_denorm_src 0
		.amdhsa_exception_fp_ieee_div_zero 0
		.amdhsa_exception_fp_ieee_overflow 0
		.amdhsa_exception_fp_ieee_underflow 0
		.amdhsa_exception_fp_ieee_inexact 0
		.amdhsa_exception_int_div_zero 0
	.end_amdhsa_kernel
	.section	.text._ZN9rocsparseL20bsrxmvn_17_32_kernelILj18Efll18rocsparse_bfloat16S1_fEEvT2_20rocsparse_direction_NS_24const_host_device_scalarIT0_EES2_PKS2_PKT1_SB_S8_PKT3_PKT4_S6_PT5_21rocsparse_index_base_b,"axG",@progbits,_ZN9rocsparseL20bsrxmvn_17_32_kernelILj18Efll18rocsparse_bfloat16S1_fEEvT2_20rocsparse_direction_NS_24const_host_device_scalarIT0_EES2_PKS2_PKT1_SB_S8_PKT3_PKT4_S6_PT5_21rocsparse_index_base_b,comdat
.Lfunc_end369:
	.size	_ZN9rocsparseL20bsrxmvn_17_32_kernelILj18Efll18rocsparse_bfloat16S1_fEEvT2_20rocsparse_direction_NS_24const_host_device_scalarIT0_EES2_PKS2_PKT1_SB_S8_PKT3_PKT4_S6_PT5_21rocsparse_index_base_b, .Lfunc_end369-_ZN9rocsparseL20bsrxmvn_17_32_kernelILj18Efll18rocsparse_bfloat16S1_fEEvT2_20rocsparse_direction_NS_24const_host_device_scalarIT0_EES2_PKS2_PKT1_SB_S8_PKT3_PKT4_S6_PT5_21rocsparse_index_base_b
                                        ; -- End function
	.set _ZN9rocsparseL20bsrxmvn_17_32_kernelILj18Efll18rocsparse_bfloat16S1_fEEvT2_20rocsparse_direction_NS_24const_host_device_scalarIT0_EES2_PKS2_PKT1_SB_S8_PKT3_PKT4_S6_PT5_21rocsparse_index_base_b.num_vgpr, 13
	.set _ZN9rocsparseL20bsrxmvn_17_32_kernelILj18Efll18rocsparse_bfloat16S1_fEEvT2_20rocsparse_direction_NS_24const_host_device_scalarIT0_EES2_PKS2_PKT1_SB_S8_PKT3_PKT4_S6_PT5_21rocsparse_index_base_b.num_agpr, 0
	.set _ZN9rocsparseL20bsrxmvn_17_32_kernelILj18Efll18rocsparse_bfloat16S1_fEEvT2_20rocsparse_direction_NS_24const_host_device_scalarIT0_EES2_PKS2_PKT1_SB_S8_PKT3_PKT4_S6_PT5_21rocsparse_index_base_b.numbered_sgpr, 26
	.set _ZN9rocsparseL20bsrxmvn_17_32_kernelILj18Efll18rocsparse_bfloat16S1_fEEvT2_20rocsparse_direction_NS_24const_host_device_scalarIT0_EES2_PKS2_PKT1_SB_S8_PKT3_PKT4_S6_PT5_21rocsparse_index_base_b.num_named_barrier, 0
	.set _ZN9rocsparseL20bsrxmvn_17_32_kernelILj18Efll18rocsparse_bfloat16S1_fEEvT2_20rocsparse_direction_NS_24const_host_device_scalarIT0_EES2_PKS2_PKT1_SB_S8_PKT3_PKT4_S6_PT5_21rocsparse_index_base_b.private_seg_size, 0
	.set _ZN9rocsparseL20bsrxmvn_17_32_kernelILj18Efll18rocsparse_bfloat16S1_fEEvT2_20rocsparse_direction_NS_24const_host_device_scalarIT0_EES2_PKS2_PKT1_SB_S8_PKT3_PKT4_S6_PT5_21rocsparse_index_base_b.uses_vcc, 1
	.set _ZN9rocsparseL20bsrxmvn_17_32_kernelILj18Efll18rocsparse_bfloat16S1_fEEvT2_20rocsparse_direction_NS_24const_host_device_scalarIT0_EES2_PKS2_PKT1_SB_S8_PKT3_PKT4_S6_PT5_21rocsparse_index_base_b.uses_flat_scratch, 0
	.set _ZN9rocsparseL20bsrxmvn_17_32_kernelILj18Efll18rocsparse_bfloat16S1_fEEvT2_20rocsparse_direction_NS_24const_host_device_scalarIT0_EES2_PKS2_PKT1_SB_S8_PKT3_PKT4_S6_PT5_21rocsparse_index_base_b.has_dyn_sized_stack, 0
	.set _ZN9rocsparseL20bsrxmvn_17_32_kernelILj18Efll18rocsparse_bfloat16S1_fEEvT2_20rocsparse_direction_NS_24const_host_device_scalarIT0_EES2_PKS2_PKT1_SB_S8_PKT3_PKT4_S6_PT5_21rocsparse_index_base_b.has_recursion, 0
	.set _ZN9rocsparseL20bsrxmvn_17_32_kernelILj18Efll18rocsparse_bfloat16S1_fEEvT2_20rocsparse_direction_NS_24const_host_device_scalarIT0_EES2_PKS2_PKT1_SB_S8_PKT3_PKT4_S6_PT5_21rocsparse_index_base_b.has_indirect_call, 0
	.section	.AMDGPU.csdata,"",@progbits
; Kernel info:
; codeLenInByte = 1328
; TotalNumSgprs: 30
; NumVgprs: 13
; ScratchSize: 0
; MemoryBound: 0
; FloatMode: 240
; IeeeMode: 1
; LDSByteSize: 1296 bytes/workgroup (compile time only)
; SGPRBlocks: 3
; VGPRBlocks: 3
; NumSGPRsForWavesPerEU: 30
; NumVGPRsForWavesPerEU: 13
; Occupancy: 10
; WaveLimiterHint : 1
; COMPUTE_PGM_RSRC2:SCRATCH_EN: 0
; COMPUTE_PGM_RSRC2:USER_SGPR: 6
; COMPUTE_PGM_RSRC2:TRAP_HANDLER: 0
; COMPUTE_PGM_RSRC2:TGID_X_EN: 1
; COMPUTE_PGM_RSRC2:TGID_Y_EN: 0
; COMPUTE_PGM_RSRC2:TGID_Z_EN: 0
; COMPUTE_PGM_RSRC2:TIDIG_COMP_CNT: 0
	.section	.text._ZN9rocsparseL20bsrxmvn_17_32_kernelILj19Efll18rocsparse_bfloat16S1_fEEvT2_20rocsparse_direction_NS_24const_host_device_scalarIT0_EES2_PKS2_PKT1_SB_S8_PKT3_PKT4_S6_PT5_21rocsparse_index_base_b,"axG",@progbits,_ZN9rocsparseL20bsrxmvn_17_32_kernelILj19Efll18rocsparse_bfloat16S1_fEEvT2_20rocsparse_direction_NS_24const_host_device_scalarIT0_EES2_PKS2_PKT1_SB_S8_PKT3_PKT4_S6_PT5_21rocsparse_index_base_b,comdat
	.globl	_ZN9rocsparseL20bsrxmvn_17_32_kernelILj19Efll18rocsparse_bfloat16S1_fEEvT2_20rocsparse_direction_NS_24const_host_device_scalarIT0_EES2_PKS2_PKT1_SB_S8_PKT3_PKT4_S6_PT5_21rocsparse_index_base_b ; -- Begin function _ZN9rocsparseL20bsrxmvn_17_32_kernelILj19Efll18rocsparse_bfloat16S1_fEEvT2_20rocsparse_direction_NS_24const_host_device_scalarIT0_EES2_PKS2_PKT1_SB_S8_PKT3_PKT4_S6_PT5_21rocsparse_index_base_b
	.p2align	8
	.type	_ZN9rocsparseL20bsrxmvn_17_32_kernelILj19Efll18rocsparse_bfloat16S1_fEEvT2_20rocsparse_direction_NS_24const_host_device_scalarIT0_EES2_PKS2_PKT1_SB_S8_PKT3_PKT4_S6_PT5_21rocsparse_index_base_b,@function
_ZN9rocsparseL20bsrxmvn_17_32_kernelILj19Efll18rocsparse_bfloat16S1_fEEvT2_20rocsparse_direction_NS_24const_host_device_scalarIT0_EES2_PKS2_PKT1_SB_S8_PKT3_PKT4_S6_PT5_21rocsparse_index_base_b: ; @_ZN9rocsparseL20bsrxmvn_17_32_kernelILj19Efll18rocsparse_bfloat16S1_fEEvT2_20rocsparse_direction_NS_24const_host_device_scalarIT0_EES2_PKS2_PKT1_SB_S8_PKT3_PKT4_S6_PT5_21rocsparse_index_base_b
; %bb.0:
	s_load_dwordx2 s[18:19], s[4:5], 0x60
	s_load_dwordx2 s[14:15], s[4:5], 0x10
	s_load_dwordx2 s[12:13], s[4:5], 0x50
	s_waitcnt lgkmcnt(0)
	s_bitcmp1_b32 s19, 0
	s_cselect_b64 s[2:3], -1, 0
	s_xor_b64 s[0:1], s[2:3], -1
	s_and_b64 vcc, exec, s[2:3]
	s_cbranch_vccnz .LBB370_2
; %bb.1:
	s_load_dword s14, s[14:15], 0x0
.LBB370_2:
	s_andn2_b64 vcc, exec, s[0:1]
	s_cbranch_vccnz .LBB370_4
; %bb.3:
	s_load_dword s12, s[12:13], 0x0
.LBB370_4:
	s_waitcnt lgkmcnt(0)
	v_cmp_neq_f32_e64 s[0:1], s14, 0
	v_cmp_neq_f32_e64 s[2:3], s12, 1.0
	s_or_b64 s[0:1], s[0:1], s[2:3]
	s_andn2_b64 vcc, exec, s[0:1]
	s_mov_b32 s7, 0
	s_cbranch_vccnz .LBB370_40
; %bb.5:
	s_load_dwordx4 s[0:3], s[4:5], 0x20
	s_load_dwordx2 s[8:9], s[4:5], 0x30
	s_waitcnt lgkmcnt(0)
	s_cmp_eq_u64 s[0:1], 0
	s_cbranch_scc1 .LBB370_7
; %bb.6:
	s_lshl_b64 s[6:7], s[6:7], 3
	s_add_u32 s0, s0, s6
	s_addc_u32 s1, s1, s7
	s_load_dwordx2 s[0:1], s[0:1], 0x0
	s_waitcnt lgkmcnt(0)
	s_sub_u32 s6, s0, s18
	s_subb_u32 s7, s1, 0
.LBB370_7:
	s_load_dword s10, s[4:5], 0x8
	s_load_dwordx2 s[16:17], s[4:5], 0x58
	v_mul_u32_u24_e32 v1, 0xd7a, v0
	v_mov_b32_e32 v2, 19
	v_mul_lo_u16_sdwa v3, v1, v2 dst_sel:DWORD dst_unused:UNUSED_PAD src0_sel:WORD_1 src1_sel:DWORD
	s_waitcnt lgkmcnt(0)
	s_cmp_eq_u32 s10, 1
	s_cselect_b64 s[0:1], -1, 0
	s_cmp_lg_u32 s10, 1
	s_cselect_b64 s[20:21], -1, 0
	s_lshl_b64 s[10:11], s[6:7], 3
	s_add_u32 s24, s2, s10
	s_addc_u32 s25, s3, s11
	s_add_u32 s2, s24, 8
	s_addc_u32 s3, s25, 0
	;; [unrolled: 2-line block ×3, first 2 shown]
	s_cmp_eq_u64 s[8:9], 0
	s_cselect_b32 s9, s3, s11
	s_cselect_b32 s8, s2, s10
	s_load_dwordx2 s[2:3], s[8:9], 0x0
	s_load_dwordx2 s[22:23], s[24:25], 0x0
	v_sub_u16_e32 v8, v0, v3
	v_mov_b32_e32 v7, 0
	s_waitcnt lgkmcnt(0)
	v_mov_b32_e32 v4, s3
	v_mov_b32_e32 v3, s2
	v_cmp_ge_i64_e32 vcc, s[22:23], v[3:4]
	s_cbranch_vccnz .LBB370_12
; %bb.8:
	v_mov_b32_e32 v3, 14
	v_mul_lo_u16_sdwa v3, v1, v3 dst_sel:DWORD dst_unused:UNUSED_PAD src0_sel:WORD_1 src1_sel:DWORD
	s_load_dwordx4 s[8:11], s[4:5], 0x38
	s_load_dwordx2 s[24:25], s[4:5], 0x48
	v_mul_lo_u16_sdwa v2, v3, v2 dst_sel:DWORD dst_unused:UNUSED_PAD src0_sel:BYTE_1 src1_sel:DWORD
	s_sub_u32 s2, s2, s18
	v_sub_u16_sdwa v1, v1, v2 dst_sel:DWORD dst_unused:UNUSED_PAD src0_sel:WORD_1 src1_sel:DWORD
	s_subb_u32 s3, s3, 0
	v_and_b32_e32 v1, 0xff, v1
	s_sub_u32 s4, s22, s18
	v_cndmask_b32_e64 v1, v8, v1, s[0:1]
	s_subb_u32 s5, s23, 0
	v_lshlrev_b32_e32 v1, 1, v1
	s_mul_i32 s0, s5, 0x2d2
	s_mul_hi_u32 s1, s4, 0x2d2
	s_waitcnt lgkmcnt(0)
	v_mov_b32_e32 v2, s25
	v_add_co_u32_e32 v1, vcc, s24, v1
	s_add_i32 s1, s1, s0
	s_mul_i32 s0, s4, 0x2d2
	v_addc_co_u32_e32 v2, vcc, 0, v2, vcc
	s_add_u32 s0, s10, s0
	v_lshlrev_b32_e32 v3, 1, v0
	s_addc_u32 s1, s11, s1
	v_add_co_u32_e32 v3, vcc, s0, v3
	s_movk_i32 s0, 0xb6
	v_mov_b32_e32 v4, s1
	v_mul_u32_u24_sdwa v5, v0, s0 dst_sel:DWORD dst_unused:UNUSED_PAD src0_sel:WORD_0 src1_sel:DWORD
	v_addc_co_u32_e32 v4, vcc, 0, v4, vcc
	v_lshrrev_b32_e32 v9, 16, v5
	v_mov_b32_e32 v5, s23
	v_add_co_u32_e32 v6, vcc, s22, v9
	v_addc_co_u32_e32 v10, vcc, 0, v5, vcc
	v_subrev_co_u32_e32 v5, vcc, s18, v6
	v_subbrev_co_u32_e32 v6, vcc, 0, v10, vcc
	v_lshlrev_b64 v[5:6], 3, v[5:6]
	v_mov_b32_e32 v10, s9
	v_add_co_u32_e32 v5, vcc, s8, v5
	v_mov_b32_e32 v7, 0
	v_addc_co_u32_e32 v6, vcc, v10, v6, vcc
	s_branch .LBB370_10
.LBB370_9:                              ;   in Loop: Header=BB370_10 Depth=1
	s_or_b64 exec, exec, s[0:1]
	s_add_u32 s4, s4, 1
	v_mov_b32_e32 v11, s3
	s_addc_u32 s5, s5, 0
	v_mov_b32_e32 v10, s2
	v_cmp_lt_i64_e32 vcc, s[4:5], v[10:11]
	v_add_co_u32_e64 v5, s[0:1], 8, v5
	v_addc_co_u32_e64 v6, s[0:1], 0, v6, s[0:1]
	s_cbranch_vccz .LBB370_12
.LBB370_10:                             ; =>This Inner Loop Header: Depth=1
	v_mov_b32_e32 v11, s5
	v_add_co_u32_e32 v10, vcc, s4, v9
	v_addc_co_u32_e32 v11, vcc, 0, v11, vcc
	v_cmp_gt_i64_e32 vcc, s[2:3], v[10:11]
	s_and_saveexec_b64 s[0:1], vcc
	s_cbranch_execz .LBB370_9
; %bb.11:                               ;   in Loop: Header=BB370_10 Depth=1
	global_load_dwordx2 v[10:11], v[5:6], off
	s_waitcnt vmcnt(0)
	v_subrev_co_u32_e32 v10, vcc, s18, v10
	v_subbrev_co_u32_e32 v12, vcc, 0, v11, vcc
	v_mad_u64_u32 v[10:11], s[8:9], v10, 38, v[1:2]
	v_mad_u64_u32 v[11:12], s[8:9], v12, 38, v[11:12]
	global_load_ushort v12, v[3:4], off
	s_nop 0
	global_load_ushort v10, v[10:11], off
	v_add_co_u32_e32 v3, vcc, 0x2d2, v3
	v_addc_co_u32_e32 v4, vcc, 0, v4, vcc
	s_waitcnt vmcnt(1)
	v_lshlrev_b32_e32 v11, 16, v12
	s_waitcnt vmcnt(0)
	v_lshlrev_b32_e32 v10, 16, v10
	v_fmac_f32_e32 v7, v11, v10
	s_branch .LBB370_9
.LBB370_12:
	v_lshlrev_b32_e32 v1, 2, v0
	s_and_b64 vcc, exec, s[20:21]
	ds_write_b32 v1, v7
	s_waitcnt lgkmcnt(0)
	s_barrier
	s_cbranch_vccz .LBB370_24
; %bb.13:
	v_cmp_gt_u16_e32 vcc, 3, v8
	s_and_saveexec_b64 s[0:1], vcc
	s_cbranch_execz .LBB370_15
; %bb.14:
	ds_read2_b32 v[2:3], v1 offset1:16
	s_waitcnt lgkmcnt(0)
	v_add_f32_e32 v2, v3, v2
	ds_write_b32 v1, v2
.LBB370_15:
	s_or_b64 exec, exec, s[0:1]
	v_cmp_gt_u16_e32 vcc, 8, v8
	s_waitcnt lgkmcnt(0)
	s_barrier
	s_and_saveexec_b64 s[0:1], vcc
	s_cbranch_execz .LBB370_17
; %bb.16:
	ds_read2_b32 v[2:3], v1 offset1:8
	s_waitcnt lgkmcnt(0)
	v_add_f32_e32 v2, v3, v2
	ds_write_b32 v1, v2
.LBB370_17:
	s_or_b64 exec, exec, s[0:1]
	v_cmp_gt_u16_e32 vcc, 4, v8
	s_waitcnt lgkmcnt(0)
	s_barrier
	;; [unrolled: 12-line block ×3, first 2 shown]
	s_and_saveexec_b64 s[0:1], vcc
	s_cbranch_execz .LBB370_21
; %bb.20:
	ds_read2_b32 v[2:3], v1 offset1:2
	s_waitcnt lgkmcnt(0)
	v_add_f32_e32 v2, v3, v2
	ds_write_b32 v1, v2
.LBB370_21:
	s_or_b64 exec, exec, s[0:1]
	v_cmp_gt_u32_e32 vcc, 19, v0
	v_mov_b32_e32 v2, v7
	s_waitcnt lgkmcnt(0)
	s_barrier
	s_and_saveexec_b64 s[0:1], vcc
	s_cbranch_execz .LBB370_23
; %bb.22:
	s_movk_i32 s2, 0x48
	v_mad_u32_u24 v2, v0, s2, v1
	ds_read2_b32 v[2:3], v2 offset1:1
	s_waitcnt lgkmcnt(0)
	v_add_f32_e32 v2, v2, v3
.LBB370_23:
	s_or_b64 exec, exec, s[0:1]
	s_branch .LBB370_36
.LBB370_24:
                                        ; implicit-def: $vgpr2
	s_cbranch_execz .LBB370_36
; %bb.25:
	v_cmp_gt_u32_e32 vcc, 57, v0
	s_and_saveexec_b64 s[0:1], vcc
	s_cbranch_execz .LBB370_27
; %bb.26:
	ds_read_b32 v2, v1 offset:1216
	ds_read_b32 v3, v1
	s_waitcnt lgkmcnt(0)
	v_add_f32_e32 v2, v2, v3
	ds_write_b32 v1, v2
.LBB370_27:
	s_or_b64 exec, exec, s[0:1]
	s_movk_i32 s0, 0x98
	v_cmp_gt_u32_e32 vcc, s0, v0
	s_waitcnt lgkmcnt(0)
	s_barrier
	s_and_saveexec_b64 s[0:1], vcc
	s_cbranch_execz .LBB370_29
; %bb.28:
	ds_read2_b32 v[2:3], v1 offset1:152
	s_waitcnt lgkmcnt(0)
	v_add_f32_e32 v2, v3, v2
	ds_write_b32 v1, v2
.LBB370_29:
	s_or_b64 exec, exec, s[0:1]
	s_movk_i32 s0, 0x4c
	v_cmp_gt_u32_e32 vcc, s0, v0
	s_waitcnt lgkmcnt(0)
	s_barrier
	s_and_saveexec_b64 s[0:1], vcc
	s_cbranch_execz .LBB370_31
; %bb.30:
	ds_read2_b32 v[2:3], v1 offset1:76
	s_waitcnt lgkmcnt(0)
	v_add_f32_e32 v2, v3, v2
	ds_write_b32 v1, v2
.LBB370_31:
	s_or_b64 exec, exec, s[0:1]
	v_cmp_gt_u32_e32 vcc, 38, v0
	s_waitcnt lgkmcnt(0)
	s_barrier
	s_and_saveexec_b64 s[0:1], vcc
	s_cbranch_execz .LBB370_33
; %bb.32:
	ds_read2_b32 v[2:3], v1 offset1:38
	s_waitcnt lgkmcnt(0)
	v_add_f32_e32 v2, v3, v2
	ds_write_b32 v1, v2
.LBB370_33:
	s_or_b64 exec, exec, s[0:1]
	v_cmp_gt_u32_e32 vcc, 19, v0
	s_waitcnt lgkmcnt(0)
	s_and_saveexec_b64 s[0:1], vcc
	s_cbranch_execz .LBB370_35
; %bb.34:
	ds_read2_b32 v[2:3], v1 offset1:19
	s_waitcnt lgkmcnt(0)
	v_add_f32_e32 v7, v2, v3
.LBB370_35:
	s_or_b64 exec, exec, s[0:1]
	v_mov_b32_e32 v2, v7
.LBB370_36:
	v_cmp_gt_u32_e32 vcc, 19, v0
	s_and_saveexec_b64 s[0:1], vcc
	s_cbranch_execz .LBB370_40
; %bb.37:
	v_cmp_eq_f32_e64 s[0:1], s12, 0
	s_and_b64 vcc, exec, s[0:1]
	v_mul_f32_e32 v0, s14, v2
	s_mul_i32 s2, s7, 0x4c
	s_mul_hi_u32 s3, s6, 0x4c
	s_mul_i32 s4, s6, 0x4c
	s_cbranch_vccz .LBB370_41
; %bb.38:
	s_add_i32 s1, s3, s2
	s_add_u32 s0, s16, s4
	s_addc_u32 s1, s17, s1
	global_store_dword v1, v0, s[0:1]
	s_cbranch_execnz .LBB370_40
.LBB370_39:
	s_add_i32 s3, s3, s2
	s_add_u32 s0, s16, s4
	s_addc_u32 s1, s17, s3
	global_load_dword v2, v1, s[0:1]
	s_waitcnt vmcnt(0)
	v_fmac_f32_e32 v0, s12, v2
	global_store_dword v1, v0, s[0:1]
.LBB370_40:
	s_endpgm
.LBB370_41:
	s_branch .LBB370_39
	.section	.rodata,"a",@progbits
	.p2align	6, 0x0
	.amdhsa_kernel _ZN9rocsparseL20bsrxmvn_17_32_kernelILj19Efll18rocsparse_bfloat16S1_fEEvT2_20rocsparse_direction_NS_24const_host_device_scalarIT0_EES2_PKS2_PKT1_SB_S8_PKT3_PKT4_S6_PT5_21rocsparse_index_base_b
		.amdhsa_group_segment_fixed_size 1444
		.amdhsa_private_segment_fixed_size 0
		.amdhsa_kernarg_size 104
		.amdhsa_user_sgpr_count 6
		.amdhsa_user_sgpr_private_segment_buffer 1
		.amdhsa_user_sgpr_dispatch_ptr 0
		.amdhsa_user_sgpr_queue_ptr 0
		.amdhsa_user_sgpr_kernarg_segment_ptr 1
		.amdhsa_user_sgpr_dispatch_id 0
		.amdhsa_user_sgpr_flat_scratch_init 0
		.amdhsa_user_sgpr_private_segment_size 0
		.amdhsa_uses_dynamic_stack 0
		.amdhsa_system_sgpr_private_segment_wavefront_offset 0
		.amdhsa_system_sgpr_workgroup_id_x 1
		.amdhsa_system_sgpr_workgroup_id_y 0
		.amdhsa_system_sgpr_workgroup_id_z 0
		.amdhsa_system_sgpr_workgroup_info 0
		.amdhsa_system_vgpr_workitem_id 0
		.amdhsa_next_free_vgpr 13
		.amdhsa_next_free_sgpr 26
		.amdhsa_reserve_vcc 1
		.amdhsa_reserve_flat_scratch 0
		.amdhsa_float_round_mode_32 0
		.amdhsa_float_round_mode_16_64 0
		.amdhsa_float_denorm_mode_32 3
		.amdhsa_float_denorm_mode_16_64 3
		.amdhsa_dx10_clamp 1
		.amdhsa_ieee_mode 1
		.amdhsa_fp16_overflow 0
		.amdhsa_exception_fp_ieee_invalid_op 0
		.amdhsa_exception_fp_denorm_src 0
		.amdhsa_exception_fp_ieee_div_zero 0
		.amdhsa_exception_fp_ieee_overflow 0
		.amdhsa_exception_fp_ieee_underflow 0
		.amdhsa_exception_fp_ieee_inexact 0
		.amdhsa_exception_int_div_zero 0
	.end_amdhsa_kernel
	.section	.text._ZN9rocsparseL20bsrxmvn_17_32_kernelILj19Efll18rocsparse_bfloat16S1_fEEvT2_20rocsparse_direction_NS_24const_host_device_scalarIT0_EES2_PKS2_PKT1_SB_S8_PKT3_PKT4_S6_PT5_21rocsparse_index_base_b,"axG",@progbits,_ZN9rocsparseL20bsrxmvn_17_32_kernelILj19Efll18rocsparse_bfloat16S1_fEEvT2_20rocsparse_direction_NS_24const_host_device_scalarIT0_EES2_PKS2_PKT1_SB_S8_PKT3_PKT4_S6_PT5_21rocsparse_index_base_b,comdat
.Lfunc_end370:
	.size	_ZN9rocsparseL20bsrxmvn_17_32_kernelILj19Efll18rocsparse_bfloat16S1_fEEvT2_20rocsparse_direction_NS_24const_host_device_scalarIT0_EES2_PKS2_PKT1_SB_S8_PKT3_PKT4_S6_PT5_21rocsparse_index_base_b, .Lfunc_end370-_ZN9rocsparseL20bsrxmvn_17_32_kernelILj19Efll18rocsparse_bfloat16S1_fEEvT2_20rocsparse_direction_NS_24const_host_device_scalarIT0_EES2_PKS2_PKT1_SB_S8_PKT3_PKT4_S6_PT5_21rocsparse_index_base_b
                                        ; -- End function
	.set _ZN9rocsparseL20bsrxmvn_17_32_kernelILj19Efll18rocsparse_bfloat16S1_fEEvT2_20rocsparse_direction_NS_24const_host_device_scalarIT0_EES2_PKS2_PKT1_SB_S8_PKT3_PKT4_S6_PT5_21rocsparse_index_base_b.num_vgpr, 13
	.set _ZN9rocsparseL20bsrxmvn_17_32_kernelILj19Efll18rocsparse_bfloat16S1_fEEvT2_20rocsparse_direction_NS_24const_host_device_scalarIT0_EES2_PKS2_PKT1_SB_S8_PKT3_PKT4_S6_PT5_21rocsparse_index_base_b.num_agpr, 0
	.set _ZN9rocsparseL20bsrxmvn_17_32_kernelILj19Efll18rocsparse_bfloat16S1_fEEvT2_20rocsparse_direction_NS_24const_host_device_scalarIT0_EES2_PKS2_PKT1_SB_S8_PKT3_PKT4_S6_PT5_21rocsparse_index_base_b.numbered_sgpr, 26
	.set _ZN9rocsparseL20bsrxmvn_17_32_kernelILj19Efll18rocsparse_bfloat16S1_fEEvT2_20rocsparse_direction_NS_24const_host_device_scalarIT0_EES2_PKS2_PKT1_SB_S8_PKT3_PKT4_S6_PT5_21rocsparse_index_base_b.num_named_barrier, 0
	.set _ZN9rocsparseL20bsrxmvn_17_32_kernelILj19Efll18rocsparse_bfloat16S1_fEEvT2_20rocsparse_direction_NS_24const_host_device_scalarIT0_EES2_PKS2_PKT1_SB_S8_PKT3_PKT4_S6_PT5_21rocsparse_index_base_b.private_seg_size, 0
	.set _ZN9rocsparseL20bsrxmvn_17_32_kernelILj19Efll18rocsparse_bfloat16S1_fEEvT2_20rocsparse_direction_NS_24const_host_device_scalarIT0_EES2_PKS2_PKT1_SB_S8_PKT3_PKT4_S6_PT5_21rocsparse_index_base_b.uses_vcc, 1
	.set _ZN9rocsparseL20bsrxmvn_17_32_kernelILj19Efll18rocsparse_bfloat16S1_fEEvT2_20rocsparse_direction_NS_24const_host_device_scalarIT0_EES2_PKS2_PKT1_SB_S8_PKT3_PKT4_S6_PT5_21rocsparse_index_base_b.uses_flat_scratch, 0
	.set _ZN9rocsparseL20bsrxmvn_17_32_kernelILj19Efll18rocsparse_bfloat16S1_fEEvT2_20rocsparse_direction_NS_24const_host_device_scalarIT0_EES2_PKS2_PKT1_SB_S8_PKT3_PKT4_S6_PT5_21rocsparse_index_base_b.has_dyn_sized_stack, 0
	.set _ZN9rocsparseL20bsrxmvn_17_32_kernelILj19Efll18rocsparse_bfloat16S1_fEEvT2_20rocsparse_direction_NS_24const_host_device_scalarIT0_EES2_PKS2_PKT1_SB_S8_PKT3_PKT4_S6_PT5_21rocsparse_index_base_b.has_recursion, 0
	.set _ZN9rocsparseL20bsrxmvn_17_32_kernelILj19Efll18rocsparse_bfloat16S1_fEEvT2_20rocsparse_direction_NS_24const_host_device_scalarIT0_EES2_PKS2_PKT1_SB_S8_PKT3_PKT4_S6_PT5_21rocsparse_index_base_b.has_indirect_call, 0
	.section	.AMDGPU.csdata,"",@progbits
; Kernel info:
; codeLenInByte = 1320
; TotalNumSgprs: 30
; NumVgprs: 13
; ScratchSize: 0
; MemoryBound: 0
; FloatMode: 240
; IeeeMode: 1
; LDSByteSize: 1444 bytes/workgroup (compile time only)
; SGPRBlocks: 3
; VGPRBlocks: 3
; NumSGPRsForWavesPerEU: 30
; NumVGPRsForWavesPerEU: 13
; Occupancy: 10
; WaveLimiterHint : 1
; COMPUTE_PGM_RSRC2:SCRATCH_EN: 0
; COMPUTE_PGM_RSRC2:USER_SGPR: 6
; COMPUTE_PGM_RSRC2:TRAP_HANDLER: 0
; COMPUTE_PGM_RSRC2:TGID_X_EN: 1
; COMPUTE_PGM_RSRC2:TGID_Y_EN: 0
; COMPUTE_PGM_RSRC2:TGID_Z_EN: 0
; COMPUTE_PGM_RSRC2:TIDIG_COMP_CNT: 0
	.section	.text._ZN9rocsparseL20bsrxmvn_17_32_kernelILj20Efll18rocsparse_bfloat16S1_fEEvT2_20rocsparse_direction_NS_24const_host_device_scalarIT0_EES2_PKS2_PKT1_SB_S8_PKT3_PKT4_S6_PT5_21rocsparse_index_base_b,"axG",@progbits,_ZN9rocsparseL20bsrxmvn_17_32_kernelILj20Efll18rocsparse_bfloat16S1_fEEvT2_20rocsparse_direction_NS_24const_host_device_scalarIT0_EES2_PKS2_PKT1_SB_S8_PKT3_PKT4_S6_PT5_21rocsparse_index_base_b,comdat
	.globl	_ZN9rocsparseL20bsrxmvn_17_32_kernelILj20Efll18rocsparse_bfloat16S1_fEEvT2_20rocsparse_direction_NS_24const_host_device_scalarIT0_EES2_PKS2_PKT1_SB_S8_PKT3_PKT4_S6_PT5_21rocsparse_index_base_b ; -- Begin function _ZN9rocsparseL20bsrxmvn_17_32_kernelILj20Efll18rocsparse_bfloat16S1_fEEvT2_20rocsparse_direction_NS_24const_host_device_scalarIT0_EES2_PKS2_PKT1_SB_S8_PKT3_PKT4_S6_PT5_21rocsparse_index_base_b
	.p2align	8
	.type	_ZN9rocsparseL20bsrxmvn_17_32_kernelILj20Efll18rocsparse_bfloat16S1_fEEvT2_20rocsparse_direction_NS_24const_host_device_scalarIT0_EES2_PKS2_PKT1_SB_S8_PKT3_PKT4_S6_PT5_21rocsparse_index_base_b,@function
_ZN9rocsparseL20bsrxmvn_17_32_kernelILj20Efll18rocsparse_bfloat16S1_fEEvT2_20rocsparse_direction_NS_24const_host_device_scalarIT0_EES2_PKS2_PKT1_SB_S8_PKT3_PKT4_S6_PT5_21rocsparse_index_base_b: ; @_ZN9rocsparseL20bsrxmvn_17_32_kernelILj20Efll18rocsparse_bfloat16S1_fEEvT2_20rocsparse_direction_NS_24const_host_device_scalarIT0_EES2_PKS2_PKT1_SB_S8_PKT3_PKT4_S6_PT5_21rocsparse_index_base_b
; %bb.0:
	s_load_dwordx2 s[18:19], s[4:5], 0x60
	s_load_dwordx2 s[14:15], s[4:5], 0x10
	;; [unrolled: 1-line block ×3, first 2 shown]
	s_waitcnt lgkmcnt(0)
	s_bitcmp1_b32 s19, 0
	s_cselect_b64 s[2:3], -1, 0
	s_xor_b64 s[0:1], s[2:3], -1
	s_and_b64 vcc, exec, s[2:3]
	s_cbranch_vccnz .LBB371_2
; %bb.1:
	s_load_dword s14, s[14:15], 0x0
.LBB371_2:
	s_andn2_b64 vcc, exec, s[0:1]
	s_cbranch_vccnz .LBB371_4
; %bb.3:
	s_load_dword s12, s[12:13], 0x0
.LBB371_4:
	s_waitcnt lgkmcnt(0)
	v_cmp_neq_f32_e64 s[0:1], s14, 0
	v_cmp_neq_f32_e64 s[2:3], s12, 1.0
	s_or_b64 s[0:1], s[0:1], s[2:3]
	s_andn2_b64 vcc, exec, s[0:1]
	s_mov_b32 s7, 0
	s_cbranch_vccnz .LBB371_40
; %bb.5:
	s_load_dwordx4 s[0:3], s[4:5], 0x20
	s_load_dwordx2 s[8:9], s[4:5], 0x30
	s_waitcnt lgkmcnt(0)
	s_cmp_eq_u64 s[0:1], 0
	s_cbranch_scc1 .LBB371_7
; %bb.6:
	s_lshl_b64 s[6:7], s[6:7], 3
	s_add_u32 s0, s0, s6
	s_addc_u32 s1, s1, s7
	s_load_dwordx2 s[0:1], s[0:1], 0x0
	s_waitcnt lgkmcnt(0)
	s_sub_u32 s6, s0, s18
	s_subb_u32 s7, s1, 0
.LBB371_7:
	s_load_dword s10, s[4:5], 0x8
	s_load_dwordx2 s[16:17], s[4:5], 0x58
	v_mul_u32_u24_e32 v1, 0xccd, v0
	v_mov_b32_e32 v2, 20
	v_mul_lo_u16_sdwa v3, v1, v2 dst_sel:DWORD dst_unused:UNUSED_PAD src0_sel:WORD_1 src1_sel:DWORD
	s_waitcnt lgkmcnt(0)
	s_cmp_eq_u32 s10, 1
	s_cselect_b64 s[0:1], -1, 0
	s_cmp_lg_u32 s10, 1
	s_cselect_b64 s[20:21], -1, 0
	s_lshl_b64 s[10:11], s[6:7], 3
	s_add_u32 s24, s2, s10
	s_addc_u32 s25, s3, s11
	s_add_u32 s2, s24, 8
	s_addc_u32 s3, s25, 0
	;; [unrolled: 2-line block ×3, first 2 shown]
	s_cmp_eq_u64 s[8:9], 0
	s_cselect_b32 s9, s3, s11
	s_cselect_b32 s8, s2, s10
	s_load_dwordx2 s[2:3], s[8:9], 0x0
	s_load_dwordx2 s[22:23], s[24:25], 0x0
	v_sub_u16_e32 v8, v0, v3
	v_mov_b32_e32 v7, 0
	s_waitcnt lgkmcnt(0)
	v_mov_b32_e32 v4, s3
	v_mov_b32_e32 v3, s2
	v_cmp_ge_i64_e32 vcc, s[22:23], v[3:4]
	s_cbranch_vccnz .LBB371_12
; %bb.8:
	v_mov_b32_e32 v3, 13
	v_mul_lo_u16_sdwa v3, v1, v3 dst_sel:DWORD dst_unused:UNUSED_PAD src0_sel:WORD_1 src1_sel:DWORD
	s_load_dwordx4 s[8:11], s[4:5], 0x38
	s_load_dwordx2 s[24:25], s[4:5], 0x48
	v_mul_lo_u16_sdwa v2, v3, v2 dst_sel:DWORD dst_unused:UNUSED_PAD src0_sel:BYTE_1 src1_sel:DWORD
	s_sub_u32 s2, s2, s18
	v_sub_u16_sdwa v1, v1, v2 dst_sel:DWORD dst_unused:UNUSED_PAD src0_sel:WORD_1 src1_sel:DWORD
	s_subb_u32 s3, s3, 0
	v_and_b32_e32 v1, 0xff, v1
	s_sub_u32 s4, s22, s18
	v_cndmask_b32_e64 v1, v8, v1, s[0:1]
	s_subb_u32 s5, s23, 0
	v_lshlrev_b32_e32 v1, 1, v1
	s_mul_i32 s0, s5, 0x320
	s_mul_hi_u32 s1, s4, 0x320
	s_waitcnt lgkmcnt(0)
	v_mov_b32_e32 v2, s25
	v_add_co_u32_e32 v1, vcc, s24, v1
	s_add_i32 s1, s1, s0
	s_mul_i32 s0, s4, 0x320
	v_addc_co_u32_e32 v2, vcc, 0, v2, vcc
	s_add_u32 s0, s10, s0
	v_lshlrev_b32_e32 v3, 1, v0
	s_addc_u32 s1, s11, s1
	v_add_co_u32_e32 v3, vcc, s0, v3
	s_movk_i32 s0, 0xa4
	v_mov_b32_e32 v4, s1
	v_mul_u32_u24_sdwa v5, v0, s0 dst_sel:DWORD dst_unused:UNUSED_PAD src0_sel:WORD_0 src1_sel:DWORD
	v_addc_co_u32_e32 v4, vcc, 0, v4, vcc
	v_lshrrev_b32_e32 v9, 16, v5
	v_mov_b32_e32 v5, s23
	v_add_co_u32_e32 v6, vcc, s22, v9
	v_addc_co_u32_e32 v10, vcc, 0, v5, vcc
	v_subrev_co_u32_e32 v5, vcc, s18, v6
	v_subbrev_co_u32_e32 v6, vcc, 0, v10, vcc
	v_lshlrev_b64 v[5:6], 3, v[5:6]
	v_mov_b32_e32 v10, s9
	v_add_co_u32_e32 v5, vcc, s8, v5
	v_mov_b32_e32 v7, 0
	v_addc_co_u32_e32 v6, vcc, v10, v6, vcc
	s_branch .LBB371_10
.LBB371_9:                              ;   in Loop: Header=BB371_10 Depth=1
	s_or_b64 exec, exec, s[0:1]
	s_add_u32 s4, s4, 1
	v_mov_b32_e32 v11, s3
	s_addc_u32 s5, s5, 0
	v_mov_b32_e32 v10, s2
	v_cmp_lt_i64_e32 vcc, s[4:5], v[10:11]
	v_add_co_u32_e64 v5, s[0:1], 8, v5
	v_addc_co_u32_e64 v6, s[0:1], 0, v6, s[0:1]
	s_cbranch_vccz .LBB371_12
.LBB371_10:                             ; =>This Inner Loop Header: Depth=1
	v_mov_b32_e32 v11, s5
	v_add_co_u32_e32 v10, vcc, s4, v9
	v_addc_co_u32_e32 v11, vcc, 0, v11, vcc
	v_cmp_gt_i64_e32 vcc, s[2:3], v[10:11]
	s_and_saveexec_b64 s[0:1], vcc
	s_cbranch_execz .LBB371_9
; %bb.11:                               ;   in Loop: Header=BB371_10 Depth=1
	global_load_dwordx2 v[10:11], v[5:6], off
	s_waitcnt vmcnt(0)
	v_subrev_co_u32_e32 v10, vcc, s18, v10
	v_subbrev_co_u32_e32 v12, vcc, 0, v11, vcc
	v_mad_u64_u32 v[10:11], s[8:9], v10, 40, v[1:2]
	v_mad_u64_u32 v[11:12], s[8:9], v12, 40, v[11:12]
	global_load_ushort v12, v[3:4], off
	s_nop 0
	global_load_ushort v10, v[10:11], off
	v_add_co_u32_e32 v3, vcc, 0x320, v3
	v_addc_co_u32_e32 v4, vcc, 0, v4, vcc
	s_waitcnt vmcnt(1)
	v_lshlrev_b32_e32 v11, 16, v12
	s_waitcnt vmcnt(0)
	v_lshlrev_b32_e32 v10, 16, v10
	v_fmac_f32_e32 v7, v11, v10
	s_branch .LBB371_9
.LBB371_12:
	v_lshlrev_b32_e32 v1, 2, v0
	s_and_b64 vcc, exec, s[20:21]
	ds_write_b32 v1, v7
	s_waitcnt lgkmcnt(0)
	s_barrier
	s_cbranch_vccz .LBB371_24
; %bb.13:
	v_cmp_gt_u16_e32 vcc, 4, v8
	s_and_saveexec_b64 s[0:1], vcc
	s_cbranch_execz .LBB371_15
; %bb.14:
	ds_read2_b32 v[2:3], v1 offset1:16
	s_waitcnt lgkmcnt(0)
	v_add_f32_e32 v2, v3, v2
	ds_write_b32 v1, v2
.LBB371_15:
	s_or_b64 exec, exec, s[0:1]
	v_cmp_gt_u16_e64 s[0:1], 8, v8
	s_waitcnt lgkmcnt(0)
	s_barrier
	s_and_saveexec_b64 s[2:3], s[0:1]
	s_cbranch_execz .LBB371_17
; %bb.16:
	ds_read2_b32 v[2:3], v1 offset1:8
	s_waitcnt lgkmcnt(0)
	v_add_f32_e32 v2, v3, v2
	ds_write_b32 v1, v2
.LBB371_17:
	s_or_b64 exec, exec, s[2:3]
	s_waitcnt lgkmcnt(0)
	s_barrier
	s_and_saveexec_b64 s[0:1], vcc
	s_cbranch_execz .LBB371_19
; %bb.18:
	ds_read2_b32 v[2:3], v1 offset1:4
	s_waitcnt lgkmcnt(0)
	v_add_f32_e32 v2, v3, v2
	ds_write_b32 v1, v2
.LBB371_19:
	s_or_b64 exec, exec, s[0:1]
	v_cmp_gt_u16_e32 vcc, 2, v8
	s_waitcnt lgkmcnt(0)
	s_barrier
	s_and_saveexec_b64 s[0:1], vcc
	s_cbranch_execz .LBB371_21
; %bb.20:
	ds_read2_b32 v[2:3], v1 offset1:2
	s_waitcnt lgkmcnt(0)
	v_add_f32_e32 v2, v3, v2
	ds_write_b32 v1, v2
.LBB371_21:
	s_or_b64 exec, exec, s[0:1]
	v_cmp_gt_u32_e32 vcc, 20, v0
	v_mov_b32_e32 v2, v7
	s_waitcnt lgkmcnt(0)
	s_barrier
	s_and_saveexec_b64 s[0:1], vcc
	s_cbranch_execz .LBB371_23
; %bb.22:
	s_movk_i32 s2, 0x4c
	v_mad_u32_u24 v2, v0, s2, v1
	ds_read_b64 v[2:3], v2
	s_waitcnt lgkmcnt(0)
	v_add_f32_e32 v2, v2, v3
.LBB371_23:
	s_or_b64 exec, exec, s[0:1]
	s_branch .LBB371_36
.LBB371_24:
                                        ; implicit-def: $vgpr2
	s_cbranch_execz .LBB371_36
; %bb.25:
	s_movk_i32 s0, 0x50
	v_cmp_gt_u32_e32 vcc, s0, v0
	s_and_saveexec_b64 s[0:1], vcc
	s_cbranch_execz .LBB371_27
; %bb.26:
	ds_read2st64_b32 v[2:3], v1 offset1:5
	s_waitcnt lgkmcnt(0)
	v_add_f32_e32 v2, v3, v2
	ds_write_b32 v1, v2
.LBB371_27:
	s_or_b64 exec, exec, s[0:1]
	s_movk_i32 s0, 0xa0
	v_cmp_gt_u32_e64 s[0:1], s0, v0
	s_waitcnt lgkmcnt(0)
	s_barrier
	s_and_saveexec_b64 s[2:3], s[0:1]
	s_cbranch_execz .LBB371_29
; %bb.28:
	ds_read2_b32 v[2:3], v1 offset1:160
	s_waitcnt lgkmcnt(0)
	v_add_f32_e32 v2, v3, v2
	ds_write_b32 v1, v2
.LBB371_29:
	s_or_b64 exec, exec, s[2:3]
	s_waitcnt lgkmcnt(0)
	s_barrier
	s_and_saveexec_b64 s[0:1], vcc
	s_cbranch_execz .LBB371_31
; %bb.30:
	ds_read2_b32 v[2:3], v1 offset1:80
	s_waitcnt lgkmcnt(0)
	v_add_f32_e32 v2, v3, v2
	ds_write_b32 v1, v2
.LBB371_31:
	s_or_b64 exec, exec, s[0:1]
	v_cmp_gt_u32_e32 vcc, 40, v0
	s_waitcnt lgkmcnt(0)
	s_barrier
	s_and_saveexec_b64 s[0:1], vcc
	s_cbranch_execz .LBB371_33
; %bb.32:
	ds_read2_b32 v[2:3], v1 offset1:40
	s_waitcnt lgkmcnt(0)
	v_add_f32_e32 v2, v3, v2
	ds_write_b32 v1, v2
.LBB371_33:
	s_or_b64 exec, exec, s[0:1]
	v_cmp_gt_u32_e32 vcc, 20, v0
	s_waitcnt lgkmcnt(0)
	s_and_saveexec_b64 s[0:1], vcc
	s_cbranch_execz .LBB371_35
; %bb.34:
	ds_read2_b32 v[2:3], v1 offset1:20
	s_waitcnt lgkmcnt(0)
	v_add_f32_e32 v7, v2, v3
.LBB371_35:
	s_or_b64 exec, exec, s[0:1]
	v_mov_b32_e32 v2, v7
.LBB371_36:
	v_cmp_gt_u32_e32 vcc, 20, v0
	s_and_saveexec_b64 s[0:1], vcc
	s_cbranch_execz .LBB371_40
; %bb.37:
	v_cmp_eq_f32_e64 s[0:1], s12, 0
	s_and_b64 vcc, exec, s[0:1]
	v_mul_f32_e32 v0, s14, v2
	s_mul_i32 s2, s7, 0x50
	s_mul_hi_u32 s3, s6, 0x50
	s_mul_i32 s4, s6, 0x50
	s_cbranch_vccz .LBB371_41
; %bb.38:
	s_add_i32 s1, s3, s2
	s_add_u32 s0, s16, s4
	s_addc_u32 s1, s17, s1
	global_store_dword v1, v0, s[0:1]
	s_cbranch_execnz .LBB371_40
.LBB371_39:
	s_add_i32 s3, s3, s2
	s_add_u32 s0, s16, s4
	s_addc_u32 s1, s17, s3
	global_load_dword v2, v1, s[0:1]
	s_waitcnt vmcnt(0)
	v_fmac_f32_e32 v0, s12, v2
	global_store_dword v1, v0, s[0:1]
.LBB371_40:
	s_endpgm
.LBB371_41:
	s_branch .LBB371_39
	.section	.rodata,"a",@progbits
	.p2align	6, 0x0
	.amdhsa_kernel _ZN9rocsparseL20bsrxmvn_17_32_kernelILj20Efll18rocsparse_bfloat16S1_fEEvT2_20rocsparse_direction_NS_24const_host_device_scalarIT0_EES2_PKS2_PKT1_SB_S8_PKT3_PKT4_S6_PT5_21rocsparse_index_base_b
		.amdhsa_group_segment_fixed_size 1600
		.amdhsa_private_segment_fixed_size 0
		.amdhsa_kernarg_size 104
		.amdhsa_user_sgpr_count 6
		.amdhsa_user_sgpr_private_segment_buffer 1
		.amdhsa_user_sgpr_dispatch_ptr 0
		.amdhsa_user_sgpr_queue_ptr 0
		.amdhsa_user_sgpr_kernarg_segment_ptr 1
		.amdhsa_user_sgpr_dispatch_id 0
		.amdhsa_user_sgpr_flat_scratch_init 0
		.amdhsa_user_sgpr_private_segment_size 0
		.amdhsa_uses_dynamic_stack 0
		.amdhsa_system_sgpr_private_segment_wavefront_offset 0
		.amdhsa_system_sgpr_workgroup_id_x 1
		.amdhsa_system_sgpr_workgroup_id_y 0
		.amdhsa_system_sgpr_workgroup_id_z 0
		.amdhsa_system_sgpr_workgroup_info 0
		.amdhsa_system_vgpr_workitem_id 0
		.amdhsa_next_free_vgpr 13
		.amdhsa_next_free_sgpr 26
		.amdhsa_reserve_vcc 1
		.amdhsa_reserve_flat_scratch 0
		.amdhsa_float_round_mode_32 0
		.amdhsa_float_round_mode_16_64 0
		.amdhsa_float_denorm_mode_32 3
		.amdhsa_float_denorm_mode_16_64 3
		.amdhsa_dx10_clamp 1
		.amdhsa_ieee_mode 1
		.amdhsa_fp16_overflow 0
		.amdhsa_exception_fp_ieee_invalid_op 0
		.amdhsa_exception_fp_denorm_src 0
		.amdhsa_exception_fp_ieee_div_zero 0
		.amdhsa_exception_fp_ieee_overflow 0
		.amdhsa_exception_fp_ieee_underflow 0
		.amdhsa_exception_fp_ieee_inexact 0
		.amdhsa_exception_int_div_zero 0
	.end_amdhsa_kernel
	.section	.text._ZN9rocsparseL20bsrxmvn_17_32_kernelILj20Efll18rocsparse_bfloat16S1_fEEvT2_20rocsparse_direction_NS_24const_host_device_scalarIT0_EES2_PKS2_PKT1_SB_S8_PKT3_PKT4_S6_PT5_21rocsparse_index_base_b,"axG",@progbits,_ZN9rocsparseL20bsrxmvn_17_32_kernelILj20Efll18rocsparse_bfloat16S1_fEEvT2_20rocsparse_direction_NS_24const_host_device_scalarIT0_EES2_PKS2_PKT1_SB_S8_PKT3_PKT4_S6_PT5_21rocsparse_index_base_b,comdat
.Lfunc_end371:
	.size	_ZN9rocsparseL20bsrxmvn_17_32_kernelILj20Efll18rocsparse_bfloat16S1_fEEvT2_20rocsparse_direction_NS_24const_host_device_scalarIT0_EES2_PKS2_PKT1_SB_S8_PKT3_PKT4_S6_PT5_21rocsparse_index_base_b, .Lfunc_end371-_ZN9rocsparseL20bsrxmvn_17_32_kernelILj20Efll18rocsparse_bfloat16S1_fEEvT2_20rocsparse_direction_NS_24const_host_device_scalarIT0_EES2_PKS2_PKT1_SB_S8_PKT3_PKT4_S6_PT5_21rocsparse_index_base_b
                                        ; -- End function
	.set _ZN9rocsparseL20bsrxmvn_17_32_kernelILj20Efll18rocsparse_bfloat16S1_fEEvT2_20rocsparse_direction_NS_24const_host_device_scalarIT0_EES2_PKS2_PKT1_SB_S8_PKT3_PKT4_S6_PT5_21rocsparse_index_base_b.num_vgpr, 13
	.set _ZN9rocsparseL20bsrxmvn_17_32_kernelILj20Efll18rocsparse_bfloat16S1_fEEvT2_20rocsparse_direction_NS_24const_host_device_scalarIT0_EES2_PKS2_PKT1_SB_S8_PKT3_PKT4_S6_PT5_21rocsparse_index_base_b.num_agpr, 0
	.set _ZN9rocsparseL20bsrxmvn_17_32_kernelILj20Efll18rocsparse_bfloat16S1_fEEvT2_20rocsparse_direction_NS_24const_host_device_scalarIT0_EES2_PKS2_PKT1_SB_S8_PKT3_PKT4_S6_PT5_21rocsparse_index_base_b.numbered_sgpr, 26
	.set _ZN9rocsparseL20bsrxmvn_17_32_kernelILj20Efll18rocsparse_bfloat16S1_fEEvT2_20rocsparse_direction_NS_24const_host_device_scalarIT0_EES2_PKS2_PKT1_SB_S8_PKT3_PKT4_S6_PT5_21rocsparse_index_base_b.num_named_barrier, 0
	.set _ZN9rocsparseL20bsrxmvn_17_32_kernelILj20Efll18rocsparse_bfloat16S1_fEEvT2_20rocsparse_direction_NS_24const_host_device_scalarIT0_EES2_PKS2_PKT1_SB_S8_PKT3_PKT4_S6_PT5_21rocsparse_index_base_b.private_seg_size, 0
	.set _ZN9rocsparseL20bsrxmvn_17_32_kernelILj20Efll18rocsparse_bfloat16S1_fEEvT2_20rocsparse_direction_NS_24const_host_device_scalarIT0_EES2_PKS2_PKT1_SB_S8_PKT3_PKT4_S6_PT5_21rocsparse_index_base_b.uses_vcc, 1
	.set _ZN9rocsparseL20bsrxmvn_17_32_kernelILj20Efll18rocsparse_bfloat16S1_fEEvT2_20rocsparse_direction_NS_24const_host_device_scalarIT0_EES2_PKS2_PKT1_SB_S8_PKT3_PKT4_S6_PT5_21rocsparse_index_base_b.uses_flat_scratch, 0
	.set _ZN9rocsparseL20bsrxmvn_17_32_kernelILj20Efll18rocsparse_bfloat16S1_fEEvT2_20rocsparse_direction_NS_24const_host_device_scalarIT0_EES2_PKS2_PKT1_SB_S8_PKT3_PKT4_S6_PT5_21rocsparse_index_base_b.has_dyn_sized_stack, 0
	.set _ZN9rocsparseL20bsrxmvn_17_32_kernelILj20Efll18rocsparse_bfloat16S1_fEEvT2_20rocsparse_direction_NS_24const_host_device_scalarIT0_EES2_PKS2_PKT1_SB_S8_PKT3_PKT4_S6_PT5_21rocsparse_index_base_b.has_recursion, 0
	.set _ZN9rocsparseL20bsrxmvn_17_32_kernelILj20Efll18rocsparse_bfloat16S1_fEEvT2_20rocsparse_direction_NS_24const_host_device_scalarIT0_EES2_PKS2_PKT1_SB_S8_PKT3_PKT4_S6_PT5_21rocsparse_index_base_b.has_indirect_call, 0
	.section	.AMDGPU.csdata,"",@progbits
; Kernel info:
; codeLenInByte = 1312
; TotalNumSgprs: 30
; NumVgprs: 13
; ScratchSize: 0
; MemoryBound: 0
; FloatMode: 240
; IeeeMode: 1
; LDSByteSize: 1600 bytes/workgroup (compile time only)
; SGPRBlocks: 3
; VGPRBlocks: 3
; NumSGPRsForWavesPerEU: 30
; NumVGPRsForWavesPerEU: 13
; Occupancy: 10
; WaveLimiterHint : 1
; COMPUTE_PGM_RSRC2:SCRATCH_EN: 0
; COMPUTE_PGM_RSRC2:USER_SGPR: 6
; COMPUTE_PGM_RSRC2:TRAP_HANDLER: 0
; COMPUTE_PGM_RSRC2:TGID_X_EN: 1
; COMPUTE_PGM_RSRC2:TGID_Y_EN: 0
; COMPUTE_PGM_RSRC2:TGID_Z_EN: 0
; COMPUTE_PGM_RSRC2:TIDIG_COMP_CNT: 0
	.section	.text._ZN9rocsparseL20bsrxmvn_17_32_kernelILj21Efll18rocsparse_bfloat16S1_fEEvT2_20rocsparse_direction_NS_24const_host_device_scalarIT0_EES2_PKS2_PKT1_SB_S8_PKT3_PKT4_S6_PT5_21rocsparse_index_base_b,"axG",@progbits,_ZN9rocsparseL20bsrxmvn_17_32_kernelILj21Efll18rocsparse_bfloat16S1_fEEvT2_20rocsparse_direction_NS_24const_host_device_scalarIT0_EES2_PKS2_PKT1_SB_S8_PKT3_PKT4_S6_PT5_21rocsparse_index_base_b,comdat
	.globl	_ZN9rocsparseL20bsrxmvn_17_32_kernelILj21Efll18rocsparse_bfloat16S1_fEEvT2_20rocsparse_direction_NS_24const_host_device_scalarIT0_EES2_PKS2_PKT1_SB_S8_PKT3_PKT4_S6_PT5_21rocsparse_index_base_b ; -- Begin function _ZN9rocsparseL20bsrxmvn_17_32_kernelILj21Efll18rocsparse_bfloat16S1_fEEvT2_20rocsparse_direction_NS_24const_host_device_scalarIT0_EES2_PKS2_PKT1_SB_S8_PKT3_PKT4_S6_PT5_21rocsparse_index_base_b
	.p2align	8
	.type	_ZN9rocsparseL20bsrxmvn_17_32_kernelILj21Efll18rocsparse_bfloat16S1_fEEvT2_20rocsparse_direction_NS_24const_host_device_scalarIT0_EES2_PKS2_PKT1_SB_S8_PKT3_PKT4_S6_PT5_21rocsparse_index_base_b,@function
_ZN9rocsparseL20bsrxmvn_17_32_kernelILj21Efll18rocsparse_bfloat16S1_fEEvT2_20rocsparse_direction_NS_24const_host_device_scalarIT0_EES2_PKS2_PKT1_SB_S8_PKT3_PKT4_S6_PT5_21rocsparse_index_base_b: ; @_ZN9rocsparseL20bsrxmvn_17_32_kernelILj21Efll18rocsparse_bfloat16S1_fEEvT2_20rocsparse_direction_NS_24const_host_device_scalarIT0_EES2_PKS2_PKT1_SB_S8_PKT3_PKT4_S6_PT5_21rocsparse_index_base_b
; %bb.0:
	s_load_dwordx2 s[18:19], s[4:5], 0x60
	s_load_dwordx2 s[14:15], s[4:5], 0x10
	;; [unrolled: 1-line block ×3, first 2 shown]
	s_waitcnt lgkmcnt(0)
	s_bitcmp1_b32 s19, 0
	s_cselect_b64 s[2:3], -1, 0
	s_xor_b64 s[0:1], s[2:3], -1
	s_and_b64 vcc, exec, s[2:3]
	s_cbranch_vccnz .LBB372_2
; %bb.1:
	s_load_dword s14, s[14:15], 0x0
.LBB372_2:
	s_andn2_b64 vcc, exec, s[0:1]
	s_cbranch_vccnz .LBB372_4
; %bb.3:
	s_load_dword s12, s[12:13], 0x0
.LBB372_4:
	s_waitcnt lgkmcnt(0)
	v_cmp_neq_f32_e64 s[0:1], s14, 0
	v_cmp_neq_f32_e64 s[2:3], s12, 1.0
	s_or_b64 s[0:1], s[0:1], s[2:3]
	s_andn2_b64 vcc, exec, s[0:1]
	s_mov_b32 s7, 0
	s_cbranch_vccnz .LBB372_40
; %bb.5:
	s_load_dwordx4 s[0:3], s[4:5], 0x20
	s_load_dwordx2 s[8:9], s[4:5], 0x30
	s_waitcnt lgkmcnt(0)
	s_cmp_eq_u64 s[0:1], 0
	s_cbranch_scc1 .LBB372_7
; %bb.6:
	s_lshl_b64 s[6:7], s[6:7], 3
	s_add_u32 s0, s0, s6
	s_addc_u32 s1, s1, s7
	s_load_dwordx2 s[0:1], s[0:1], 0x0
	s_waitcnt lgkmcnt(0)
	s_sub_u32 s6, s0, s18
	s_subb_u32 s7, s1, 0
.LBB372_7:
	s_load_dword s10, s[4:5], 0x8
	s_load_dwordx2 s[16:17], s[4:5], 0x58
	v_mul_u32_u24_e32 v1, 0xc31, v0
	v_mov_b32_e32 v2, 21
	v_mul_lo_u16_sdwa v2, v1, v2 dst_sel:DWORD dst_unused:UNUSED_PAD src0_sel:WORD_1 src1_sel:DWORD
	s_waitcnt lgkmcnt(0)
	s_cmp_eq_u32 s10, 1
	s_cselect_b64 s[0:1], -1, 0
	s_cmp_lg_u32 s10, 1
	s_cselect_b64 s[20:21], -1, 0
	s_lshl_b64 s[10:11], s[6:7], 3
	s_add_u32 s24, s2, s10
	s_addc_u32 s25, s3, s11
	s_add_u32 s2, s24, 8
	s_addc_u32 s3, s25, 0
	;; [unrolled: 2-line block ×3, first 2 shown]
	s_cmp_eq_u64 s[8:9], 0
	s_cselect_b32 s9, s3, s11
	s_cselect_b32 s8, s2, s10
	s_load_dwordx2 s[2:3], s[8:9], 0x0
	s_load_dwordx2 s[22:23], s[24:25], 0x0
	v_sub_u16_e32 v8, v0, v2
	v_mov_b32_e32 v7, 0
	s_waitcnt lgkmcnt(0)
	v_mov_b32_e32 v2, s2
	v_mov_b32_e32 v3, s3
	v_cmp_ge_i64_e32 vcc, s[22:23], v[2:3]
	s_cbranch_vccnz .LBB372_12
; %bb.8:
	v_mov_b32_e32 v2, 25
	v_mul_lo_u16_sdwa v2, v1, v2 dst_sel:DWORD dst_unused:UNUSED_PAD src0_sel:WORD_1 src1_sel:DWORD
	v_lshrrev_b16_e32 v2, 9, v2
	s_load_dwordx4 s[8:11], s[4:5], 0x38
	s_load_dwordx2 s[24:25], s[4:5], 0x48
	v_mul_lo_u16_e32 v2, 21, v2
	s_sub_u32 s2, s2, s18
	v_sub_u16_sdwa v1, v1, v2 dst_sel:DWORD dst_unused:UNUSED_PAD src0_sel:WORD_1 src1_sel:DWORD
	s_subb_u32 s3, s3, 0
	v_and_b32_e32 v1, 0xff, v1
	s_sub_u32 s4, s22, s18
	v_cndmask_b32_e64 v1, v8, v1, s[0:1]
	s_subb_u32 s5, s23, 0
	v_lshlrev_b32_e32 v1, 1, v1
	s_mul_i32 s0, s5, 0x372
	s_mul_hi_u32 s1, s4, 0x372
	s_waitcnt lgkmcnt(0)
	v_mov_b32_e32 v2, s25
	v_add_co_u32_e32 v1, vcc, s24, v1
	s_add_i32 s1, s1, s0
	s_mul_i32 s0, s4, 0x372
	v_addc_co_u32_e32 v2, vcc, 0, v2, vcc
	s_add_u32 s0, s10, s0
	v_lshlrev_b32_e32 v3, 1, v0
	s_addc_u32 s1, s11, s1
	v_add_co_u32_e32 v3, vcc, s0, v3
	s_movk_i32 s0, 0x253
	v_mov_b32_e32 v4, s1
	v_mul_u32_u24_sdwa v5, v0, s0 dst_sel:DWORD dst_unused:UNUSED_PAD src0_sel:WORD_0 src1_sel:DWORD
	v_addc_co_u32_e32 v4, vcc, 0, v4, vcc
	v_lshrrev_b32_e32 v9, 18, v5
	v_mov_b32_e32 v5, s23
	v_add_co_u32_e32 v6, vcc, s22, v9
	v_addc_co_u32_e32 v10, vcc, 0, v5, vcc
	v_subrev_co_u32_e32 v5, vcc, s18, v6
	v_subbrev_co_u32_e32 v6, vcc, 0, v10, vcc
	v_lshlrev_b64 v[5:6], 3, v[5:6]
	v_mov_b32_e32 v10, s9
	v_add_co_u32_e32 v5, vcc, s8, v5
	v_mov_b32_e32 v7, 0
	v_addc_co_u32_e32 v6, vcc, v10, v6, vcc
	s_branch .LBB372_10
.LBB372_9:                              ;   in Loop: Header=BB372_10 Depth=1
	s_or_b64 exec, exec, s[0:1]
	s_add_u32 s4, s4, 1
	v_mov_b32_e32 v11, s3
	s_addc_u32 s5, s5, 0
	v_mov_b32_e32 v10, s2
	v_cmp_lt_i64_e32 vcc, s[4:5], v[10:11]
	v_add_co_u32_e64 v5, s[0:1], 8, v5
	v_addc_co_u32_e64 v6, s[0:1], 0, v6, s[0:1]
	s_cbranch_vccz .LBB372_12
.LBB372_10:                             ; =>This Inner Loop Header: Depth=1
	v_mov_b32_e32 v11, s5
	v_add_co_u32_e32 v10, vcc, s4, v9
	v_addc_co_u32_e32 v11, vcc, 0, v11, vcc
	v_cmp_gt_i64_e32 vcc, s[2:3], v[10:11]
	s_and_saveexec_b64 s[0:1], vcc
	s_cbranch_execz .LBB372_9
; %bb.11:                               ;   in Loop: Header=BB372_10 Depth=1
	global_load_dwordx2 v[10:11], v[5:6], off
	s_waitcnt vmcnt(0)
	v_subrev_co_u32_e32 v10, vcc, s18, v10
	v_subbrev_co_u32_e32 v12, vcc, 0, v11, vcc
	v_mad_u64_u32 v[10:11], s[8:9], v10, 42, v[1:2]
	v_mad_u64_u32 v[11:12], s[8:9], v12, 42, v[11:12]
	global_load_ushort v12, v[3:4], off
	s_nop 0
	global_load_ushort v10, v[10:11], off
	v_add_co_u32_e32 v3, vcc, 0x372, v3
	v_addc_co_u32_e32 v4, vcc, 0, v4, vcc
	s_waitcnt vmcnt(1)
	v_lshlrev_b32_e32 v11, 16, v12
	s_waitcnt vmcnt(0)
	v_lshlrev_b32_e32 v10, 16, v10
	v_fmac_f32_e32 v7, v11, v10
	s_branch .LBB372_9
.LBB372_12:
	v_lshlrev_b32_e32 v1, 2, v0
	s_and_b64 vcc, exec, s[20:21]
	ds_write_b32 v1, v7
	s_waitcnt lgkmcnt(0)
	s_barrier
	s_cbranch_vccz .LBB372_24
; %bb.13:
	v_cmp_gt_u16_e32 vcc, 5, v8
	s_and_saveexec_b64 s[0:1], vcc
	s_cbranch_execz .LBB372_15
; %bb.14:
	ds_read2_b32 v[2:3], v1 offset1:16
	s_waitcnt lgkmcnt(0)
	v_add_f32_e32 v2, v3, v2
	ds_write_b32 v1, v2
.LBB372_15:
	s_or_b64 exec, exec, s[0:1]
	v_cmp_gt_u16_e32 vcc, 8, v8
	s_waitcnt lgkmcnt(0)
	s_barrier
	s_and_saveexec_b64 s[0:1], vcc
	s_cbranch_execz .LBB372_17
; %bb.16:
	ds_read2_b32 v[2:3], v1 offset1:8
	s_waitcnt lgkmcnt(0)
	v_add_f32_e32 v2, v3, v2
	ds_write_b32 v1, v2
.LBB372_17:
	s_or_b64 exec, exec, s[0:1]
	v_cmp_gt_u16_e32 vcc, 4, v8
	s_waitcnt lgkmcnt(0)
	s_barrier
	;; [unrolled: 12-line block ×3, first 2 shown]
	s_and_saveexec_b64 s[0:1], vcc
	s_cbranch_execz .LBB372_21
; %bb.20:
	ds_read2_b32 v[2:3], v1 offset1:2
	s_waitcnt lgkmcnt(0)
	v_add_f32_e32 v2, v3, v2
	ds_write_b32 v1, v2
.LBB372_21:
	s_or_b64 exec, exec, s[0:1]
	v_cmp_gt_u32_e32 vcc, 21, v0
	v_mov_b32_e32 v2, v7
	s_waitcnt lgkmcnt(0)
	s_barrier
	s_and_saveexec_b64 s[0:1], vcc
	s_cbranch_execz .LBB372_23
; %bb.22:
	s_movk_i32 s2, 0x50
	v_mad_u32_u24 v2, v0, s2, v1
	ds_read2_b32 v[2:3], v2 offset1:1
	s_waitcnt lgkmcnt(0)
	v_add_f32_e32 v2, v2, v3
.LBB372_23:
	s_or_b64 exec, exec, s[0:1]
	s_branch .LBB372_36
.LBB372_24:
                                        ; implicit-def: $vgpr2
	s_cbranch_execz .LBB372_36
; %bb.25:
	s_movk_i32 s0, 0x69
	v_cmp_gt_u32_e32 vcc, s0, v0
	s_and_saveexec_b64 s[0:1], vcc
	s_cbranch_execz .LBB372_27
; %bb.26:
	ds_read_b32 v2, v1 offset:1344
	ds_read_b32 v3, v1
	s_waitcnt lgkmcnt(0)
	v_add_f32_e32 v2, v2, v3
	ds_write_b32 v1, v2
.LBB372_27:
	s_or_b64 exec, exec, s[0:1]
	s_movk_i32 s0, 0xa8
	v_cmp_gt_u32_e32 vcc, s0, v0
	s_waitcnt lgkmcnt(0)
	s_barrier
	s_and_saveexec_b64 s[0:1], vcc
	s_cbranch_execz .LBB372_29
; %bb.28:
	ds_read2_b32 v[2:3], v1 offset1:168
	s_waitcnt lgkmcnt(0)
	v_add_f32_e32 v2, v3, v2
	ds_write_b32 v1, v2
.LBB372_29:
	s_or_b64 exec, exec, s[0:1]
	s_movk_i32 s0, 0x54
	v_cmp_gt_u32_e32 vcc, s0, v0
	s_waitcnt lgkmcnt(0)
	s_barrier
	s_and_saveexec_b64 s[0:1], vcc
	s_cbranch_execz .LBB372_31
; %bb.30:
	ds_read2_b32 v[2:3], v1 offset1:84
	s_waitcnt lgkmcnt(0)
	v_add_f32_e32 v2, v3, v2
	ds_write_b32 v1, v2
.LBB372_31:
	s_or_b64 exec, exec, s[0:1]
	v_cmp_gt_u32_e32 vcc, 42, v0
	s_waitcnt lgkmcnt(0)
	s_barrier
	s_and_saveexec_b64 s[0:1], vcc
	s_cbranch_execz .LBB372_33
; %bb.32:
	ds_read2_b32 v[2:3], v1 offset1:42
	s_waitcnt lgkmcnt(0)
	v_add_f32_e32 v2, v3, v2
	ds_write_b32 v1, v2
.LBB372_33:
	s_or_b64 exec, exec, s[0:1]
	v_cmp_gt_u32_e32 vcc, 21, v0
	s_waitcnt lgkmcnt(0)
	s_and_saveexec_b64 s[0:1], vcc
	s_cbranch_execz .LBB372_35
; %bb.34:
	ds_read2_b32 v[2:3], v1 offset1:21
	s_waitcnt lgkmcnt(0)
	v_add_f32_e32 v7, v2, v3
.LBB372_35:
	s_or_b64 exec, exec, s[0:1]
	v_mov_b32_e32 v2, v7
.LBB372_36:
	v_cmp_gt_u32_e32 vcc, 21, v0
	s_and_saveexec_b64 s[0:1], vcc
	s_cbranch_execz .LBB372_40
; %bb.37:
	v_cmp_eq_f32_e64 s[0:1], s12, 0
	s_and_b64 vcc, exec, s[0:1]
	v_mul_f32_e32 v0, s14, v2
	s_mul_i32 s2, s7, 0x54
	s_mul_hi_u32 s3, s6, 0x54
	s_mul_i32 s4, s6, 0x54
	s_cbranch_vccz .LBB372_41
; %bb.38:
	s_add_i32 s1, s3, s2
	s_add_u32 s0, s16, s4
	s_addc_u32 s1, s17, s1
	global_store_dword v1, v0, s[0:1]
	s_cbranch_execnz .LBB372_40
.LBB372_39:
	s_add_i32 s3, s3, s2
	s_add_u32 s0, s16, s4
	s_addc_u32 s1, s17, s3
	global_load_dword v2, v1, s[0:1]
	s_waitcnt vmcnt(0)
	v_fmac_f32_e32 v0, s12, v2
	global_store_dword v1, v0, s[0:1]
.LBB372_40:
	s_endpgm
.LBB372_41:
	s_branch .LBB372_39
	.section	.rodata,"a",@progbits
	.p2align	6, 0x0
	.amdhsa_kernel _ZN9rocsparseL20bsrxmvn_17_32_kernelILj21Efll18rocsparse_bfloat16S1_fEEvT2_20rocsparse_direction_NS_24const_host_device_scalarIT0_EES2_PKS2_PKT1_SB_S8_PKT3_PKT4_S6_PT5_21rocsparse_index_base_b
		.amdhsa_group_segment_fixed_size 1764
		.amdhsa_private_segment_fixed_size 0
		.amdhsa_kernarg_size 104
		.amdhsa_user_sgpr_count 6
		.amdhsa_user_sgpr_private_segment_buffer 1
		.amdhsa_user_sgpr_dispatch_ptr 0
		.amdhsa_user_sgpr_queue_ptr 0
		.amdhsa_user_sgpr_kernarg_segment_ptr 1
		.amdhsa_user_sgpr_dispatch_id 0
		.amdhsa_user_sgpr_flat_scratch_init 0
		.amdhsa_user_sgpr_private_segment_size 0
		.amdhsa_uses_dynamic_stack 0
		.amdhsa_system_sgpr_private_segment_wavefront_offset 0
		.amdhsa_system_sgpr_workgroup_id_x 1
		.amdhsa_system_sgpr_workgroup_id_y 0
		.amdhsa_system_sgpr_workgroup_id_z 0
		.amdhsa_system_sgpr_workgroup_info 0
		.amdhsa_system_vgpr_workitem_id 0
		.amdhsa_next_free_vgpr 13
		.amdhsa_next_free_sgpr 26
		.amdhsa_reserve_vcc 1
		.amdhsa_reserve_flat_scratch 0
		.amdhsa_float_round_mode_32 0
		.amdhsa_float_round_mode_16_64 0
		.amdhsa_float_denorm_mode_32 3
		.amdhsa_float_denorm_mode_16_64 3
		.amdhsa_dx10_clamp 1
		.amdhsa_ieee_mode 1
		.amdhsa_fp16_overflow 0
		.amdhsa_exception_fp_ieee_invalid_op 0
		.amdhsa_exception_fp_denorm_src 0
		.amdhsa_exception_fp_ieee_div_zero 0
		.amdhsa_exception_fp_ieee_overflow 0
		.amdhsa_exception_fp_ieee_underflow 0
		.amdhsa_exception_fp_ieee_inexact 0
		.amdhsa_exception_int_div_zero 0
	.end_amdhsa_kernel
	.section	.text._ZN9rocsparseL20bsrxmvn_17_32_kernelILj21Efll18rocsparse_bfloat16S1_fEEvT2_20rocsparse_direction_NS_24const_host_device_scalarIT0_EES2_PKS2_PKT1_SB_S8_PKT3_PKT4_S6_PT5_21rocsparse_index_base_b,"axG",@progbits,_ZN9rocsparseL20bsrxmvn_17_32_kernelILj21Efll18rocsparse_bfloat16S1_fEEvT2_20rocsparse_direction_NS_24const_host_device_scalarIT0_EES2_PKS2_PKT1_SB_S8_PKT3_PKT4_S6_PT5_21rocsparse_index_base_b,comdat
.Lfunc_end372:
	.size	_ZN9rocsparseL20bsrxmvn_17_32_kernelILj21Efll18rocsparse_bfloat16S1_fEEvT2_20rocsparse_direction_NS_24const_host_device_scalarIT0_EES2_PKS2_PKT1_SB_S8_PKT3_PKT4_S6_PT5_21rocsparse_index_base_b, .Lfunc_end372-_ZN9rocsparseL20bsrxmvn_17_32_kernelILj21Efll18rocsparse_bfloat16S1_fEEvT2_20rocsparse_direction_NS_24const_host_device_scalarIT0_EES2_PKS2_PKT1_SB_S8_PKT3_PKT4_S6_PT5_21rocsparse_index_base_b
                                        ; -- End function
	.set _ZN9rocsparseL20bsrxmvn_17_32_kernelILj21Efll18rocsparse_bfloat16S1_fEEvT2_20rocsparse_direction_NS_24const_host_device_scalarIT0_EES2_PKS2_PKT1_SB_S8_PKT3_PKT4_S6_PT5_21rocsparse_index_base_b.num_vgpr, 13
	.set _ZN9rocsparseL20bsrxmvn_17_32_kernelILj21Efll18rocsparse_bfloat16S1_fEEvT2_20rocsparse_direction_NS_24const_host_device_scalarIT0_EES2_PKS2_PKT1_SB_S8_PKT3_PKT4_S6_PT5_21rocsparse_index_base_b.num_agpr, 0
	.set _ZN9rocsparseL20bsrxmvn_17_32_kernelILj21Efll18rocsparse_bfloat16S1_fEEvT2_20rocsparse_direction_NS_24const_host_device_scalarIT0_EES2_PKS2_PKT1_SB_S8_PKT3_PKT4_S6_PT5_21rocsparse_index_base_b.numbered_sgpr, 26
	.set _ZN9rocsparseL20bsrxmvn_17_32_kernelILj21Efll18rocsparse_bfloat16S1_fEEvT2_20rocsparse_direction_NS_24const_host_device_scalarIT0_EES2_PKS2_PKT1_SB_S8_PKT3_PKT4_S6_PT5_21rocsparse_index_base_b.num_named_barrier, 0
	.set _ZN9rocsparseL20bsrxmvn_17_32_kernelILj21Efll18rocsparse_bfloat16S1_fEEvT2_20rocsparse_direction_NS_24const_host_device_scalarIT0_EES2_PKS2_PKT1_SB_S8_PKT3_PKT4_S6_PT5_21rocsparse_index_base_b.private_seg_size, 0
	.set _ZN9rocsparseL20bsrxmvn_17_32_kernelILj21Efll18rocsparse_bfloat16S1_fEEvT2_20rocsparse_direction_NS_24const_host_device_scalarIT0_EES2_PKS2_PKT1_SB_S8_PKT3_PKT4_S6_PT5_21rocsparse_index_base_b.uses_vcc, 1
	.set _ZN9rocsparseL20bsrxmvn_17_32_kernelILj21Efll18rocsparse_bfloat16S1_fEEvT2_20rocsparse_direction_NS_24const_host_device_scalarIT0_EES2_PKS2_PKT1_SB_S8_PKT3_PKT4_S6_PT5_21rocsparse_index_base_b.uses_flat_scratch, 0
	.set _ZN9rocsparseL20bsrxmvn_17_32_kernelILj21Efll18rocsparse_bfloat16S1_fEEvT2_20rocsparse_direction_NS_24const_host_device_scalarIT0_EES2_PKS2_PKT1_SB_S8_PKT3_PKT4_S6_PT5_21rocsparse_index_base_b.has_dyn_sized_stack, 0
	.set _ZN9rocsparseL20bsrxmvn_17_32_kernelILj21Efll18rocsparse_bfloat16S1_fEEvT2_20rocsparse_direction_NS_24const_host_device_scalarIT0_EES2_PKS2_PKT1_SB_S8_PKT3_PKT4_S6_PT5_21rocsparse_index_base_b.has_recursion, 0
	.set _ZN9rocsparseL20bsrxmvn_17_32_kernelILj21Efll18rocsparse_bfloat16S1_fEEvT2_20rocsparse_direction_NS_24const_host_device_scalarIT0_EES2_PKS2_PKT1_SB_S8_PKT3_PKT4_S6_PT5_21rocsparse_index_base_b.has_indirect_call, 0
	.section	.AMDGPU.csdata,"",@progbits
; Kernel info:
; codeLenInByte = 1324
; TotalNumSgprs: 30
; NumVgprs: 13
; ScratchSize: 0
; MemoryBound: 0
; FloatMode: 240
; IeeeMode: 1
; LDSByteSize: 1764 bytes/workgroup (compile time only)
; SGPRBlocks: 3
; VGPRBlocks: 3
; NumSGPRsForWavesPerEU: 30
; NumVGPRsForWavesPerEU: 13
; Occupancy: 10
; WaveLimiterHint : 1
; COMPUTE_PGM_RSRC2:SCRATCH_EN: 0
; COMPUTE_PGM_RSRC2:USER_SGPR: 6
; COMPUTE_PGM_RSRC2:TRAP_HANDLER: 0
; COMPUTE_PGM_RSRC2:TGID_X_EN: 1
; COMPUTE_PGM_RSRC2:TGID_Y_EN: 0
; COMPUTE_PGM_RSRC2:TGID_Z_EN: 0
; COMPUTE_PGM_RSRC2:TIDIG_COMP_CNT: 0
	.section	.text._ZN9rocsparseL20bsrxmvn_17_32_kernelILj22Efll18rocsparse_bfloat16S1_fEEvT2_20rocsparse_direction_NS_24const_host_device_scalarIT0_EES2_PKS2_PKT1_SB_S8_PKT3_PKT4_S6_PT5_21rocsparse_index_base_b,"axG",@progbits,_ZN9rocsparseL20bsrxmvn_17_32_kernelILj22Efll18rocsparse_bfloat16S1_fEEvT2_20rocsparse_direction_NS_24const_host_device_scalarIT0_EES2_PKS2_PKT1_SB_S8_PKT3_PKT4_S6_PT5_21rocsparse_index_base_b,comdat
	.globl	_ZN9rocsparseL20bsrxmvn_17_32_kernelILj22Efll18rocsparse_bfloat16S1_fEEvT2_20rocsparse_direction_NS_24const_host_device_scalarIT0_EES2_PKS2_PKT1_SB_S8_PKT3_PKT4_S6_PT5_21rocsparse_index_base_b ; -- Begin function _ZN9rocsparseL20bsrxmvn_17_32_kernelILj22Efll18rocsparse_bfloat16S1_fEEvT2_20rocsparse_direction_NS_24const_host_device_scalarIT0_EES2_PKS2_PKT1_SB_S8_PKT3_PKT4_S6_PT5_21rocsparse_index_base_b
	.p2align	8
	.type	_ZN9rocsparseL20bsrxmvn_17_32_kernelILj22Efll18rocsparse_bfloat16S1_fEEvT2_20rocsparse_direction_NS_24const_host_device_scalarIT0_EES2_PKS2_PKT1_SB_S8_PKT3_PKT4_S6_PT5_21rocsparse_index_base_b,@function
_ZN9rocsparseL20bsrxmvn_17_32_kernelILj22Efll18rocsparse_bfloat16S1_fEEvT2_20rocsparse_direction_NS_24const_host_device_scalarIT0_EES2_PKS2_PKT1_SB_S8_PKT3_PKT4_S6_PT5_21rocsparse_index_base_b: ; @_ZN9rocsparseL20bsrxmvn_17_32_kernelILj22Efll18rocsparse_bfloat16S1_fEEvT2_20rocsparse_direction_NS_24const_host_device_scalarIT0_EES2_PKS2_PKT1_SB_S8_PKT3_PKT4_S6_PT5_21rocsparse_index_base_b
; %bb.0:
	s_load_dwordx2 s[18:19], s[4:5], 0x60
	s_load_dwordx2 s[14:15], s[4:5], 0x10
	;; [unrolled: 1-line block ×3, first 2 shown]
	s_waitcnt lgkmcnt(0)
	s_bitcmp1_b32 s19, 0
	s_cselect_b64 s[2:3], -1, 0
	s_xor_b64 s[0:1], s[2:3], -1
	s_and_b64 vcc, exec, s[2:3]
	s_cbranch_vccnz .LBB373_2
; %bb.1:
	s_load_dword s14, s[14:15], 0x0
.LBB373_2:
	s_andn2_b64 vcc, exec, s[0:1]
	s_cbranch_vccnz .LBB373_4
; %bb.3:
	s_load_dword s12, s[12:13], 0x0
.LBB373_4:
	s_waitcnt lgkmcnt(0)
	v_cmp_neq_f32_e64 s[0:1], s14, 0
	v_cmp_neq_f32_e64 s[2:3], s12, 1.0
	s_or_b64 s[0:1], s[0:1], s[2:3]
	s_andn2_b64 vcc, exec, s[0:1]
	s_mov_b32 s7, 0
	s_cbranch_vccnz .LBB373_40
; %bb.5:
	s_load_dwordx4 s[0:3], s[4:5], 0x20
	s_load_dwordx2 s[8:9], s[4:5], 0x30
	s_waitcnt lgkmcnt(0)
	s_cmp_eq_u64 s[0:1], 0
	s_cbranch_scc1 .LBB373_7
; %bb.6:
	s_lshl_b64 s[6:7], s[6:7], 3
	s_add_u32 s0, s0, s6
	s_addc_u32 s1, s1, s7
	s_load_dwordx2 s[0:1], s[0:1], 0x0
	s_waitcnt lgkmcnt(0)
	s_sub_u32 s6, s0, s18
	s_subb_u32 s7, s1, 0
.LBB373_7:
	s_load_dword s10, s[4:5], 0x8
	s_load_dwordx2 s[16:17], s[4:5], 0x58
	v_mul_u32_u24_e32 v1, 0xba3, v0
	v_mov_b32_e32 v2, 22
	v_mul_lo_u16_sdwa v3, v1, v2 dst_sel:DWORD dst_unused:UNUSED_PAD src0_sel:WORD_1 src1_sel:DWORD
	s_waitcnt lgkmcnt(0)
	s_cmp_eq_u32 s10, 1
	s_cselect_b64 s[0:1], -1, 0
	s_cmp_lg_u32 s10, 1
	s_cselect_b64 s[20:21], -1, 0
	s_lshl_b64 s[10:11], s[6:7], 3
	s_add_u32 s24, s2, s10
	s_addc_u32 s25, s3, s11
	s_add_u32 s2, s24, 8
	s_addc_u32 s3, s25, 0
	;; [unrolled: 2-line block ×3, first 2 shown]
	s_cmp_eq_u64 s[8:9], 0
	s_cselect_b32 s9, s3, s11
	s_cselect_b32 s8, s2, s10
	s_load_dwordx2 s[2:3], s[8:9], 0x0
	s_load_dwordx2 s[22:23], s[24:25], 0x0
	v_sub_u16_e32 v8, v0, v3
	v_mov_b32_e32 v7, 0
	s_waitcnt lgkmcnt(0)
	v_mov_b32_e32 v4, s3
	v_mov_b32_e32 v3, s2
	v_cmp_ge_i64_e32 vcc, s[22:23], v[3:4]
	s_cbranch_vccnz .LBB373_12
; %bb.8:
	v_mov_b32_e32 v3, 12
	v_mul_lo_u16_sdwa v3, v1, v3 dst_sel:DWORD dst_unused:UNUSED_PAD src0_sel:WORD_1 src1_sel:DWORD
	s_load_dwordx4 s[8:11], s[4:5], 0x38
	s_load_dwordx2 s[24:25], s[4:5], 0x48
	v_mul_lo_u16_sdwa v2, v3, v2 dst_sel:DWORD dst_unused:UNUSED_PAD src0_sel:BYTE_1 src1_sel:DWORD
	s_sub_u32 s2, s2, s18
	v_sub_u16_sdwa v1, v1, v2 dst_sel:DWORD dst_unused:UNUSED_PAD src0_sel:WORD_1 src1_sel:DWORD
	s_subb_u32 s3, s3, 0
	v_and_b32_e32 v1, 0xff, v1
	s_sub_u32 s4, s22, s18
	v_cndmask_b32_e64 v1, v8, v1, s[0:1]
	s_subb_u32 s5, s23, 0
	v_lshlrev_b32_e32 v1, 1, v1
	s_mul_i32 s0, s5, 0x3c8
	s_mul_hi_u32 s1, s4, 0x3c8
	s_waitcnt lgkmcnt(0)
	v_mov_b32_e32 v2, s25
	v_add_co_u32_e32 v1, vcc, s24, v1
	s_add_i32 s1, s1, s0
	s_mul_i32 s0, s4, 0x3c8
	v_addc_co_u32_e32 v2, vcc, 0, v2, vcc
	s_add_u32 s0, s10, s0
	v_lshlrev_b32_e32 v3, 1, v0
	s_addc_u32 s1, s11, s1
	v_add_co_u32_e32 v3, vcc, s0, v3
	s_movk_i32 s0, 0x10f
	v_mov_b32_e32 v4, s1
	v_mul_u32_u24_sdwa v5, v0, s0 dst_sel:DWORD dst_unused:UNUSED_PAD src0_sel:WORD_0 src1_sel:DWORD
	v_addc_co_u32_e32 v4, vcc, 0, v4, vcc
	v_lshrrev_b32_e32 v9, 17, v5
	v_mov_b32_e32 v5, s23
	v_add_co_u32_e32 v6, vcc, s22, v9
	v_addc_co_u32_e32 v10, vcc, 0, v5, vcc
	v_subrev_co_u32_e32 v5, vcc, s18, v6
	v_subbrev_co_u32_e32 v6, vcc, 0, v10, vcc
	v_lshlrev_b64 v[5:6], 3, v[5:6]
	v_mov_b32_e32 v10, s9
	v_add_co_u32_e32 v5, vcc, s8, v5
	v_mov_b32_e32 v7, 0
	v_addc_co_u32_e32 v6, vcc, v10, v6, vcc
	s_branch .LBB373_10
.LBB373_9:                              ;   in Loop: Header=BB373_10 Depth=1
	s_or_b64 exec, exec, s[0:1]
	s_add_u32 s4, s4, 1
	v_mov_b32_e32 v11, s3
	s_addc_u32 s5, s5, 0
	v_mov_b32_e32 v10, s2
	v_cmp_lt_i64_e32 vcc, s[4:5], v[10:11]
	v_add_co_u32_e64 v5, s[0:1], 8, v5
	v_addc_co_u32_e64 v6, s[0:1], 0, v6, s[0:1]
	s_cbranch_vccz .LBB373_12
.LBB373_10:                             ; =>This Inner Loop Header: Depth=1
	v_mov_b32_e32 v11, s5
	v_add_co_u32_e32 v10, vcc, s4, v9
	v_addc_co_u32_e32 v11, vcc, 0, v11, vcc
	v_cmp_gt_i64_e32 vcc, s[2:3], v[10:11]
	s_and_saveexec_b64 s[0:1], vcc
	s_cbranch_execz .LBB373_9
; %bb.11:                               ;   in Loop: Header=BB373_10 Depth=1
	global_load_dwordx2 v[10:11], v[5:6], off
	s_waitcnt vmcnt(0)
	v_subrev_co_u32_e32 v10, vcc, s18, v10
	v_subbrev_co_u32_e32 v12, vcc, 0, v11, vcc
	v_mad_u64_u32 v[10:11], s[8:9], v10, 44, v[1:2]
	v_mad_u64_u32 v[11:12], s[8:9], v12, 44, v[11:12]
	global_load_ushort v12, v[3:4], off
	s_nop 0
	global_load_ushort v10, v[10:11], off
	v_add_co_u32_e32 v3, vcc, 0x3c8, v3
	v_addc_co_u32_e32 v4, vcc, 0, v4, vcc
	s_waitcnt vmcnt(1)
	v_lshlrev_b32_e32 v11, 16, v12
	s_waitcnt vmcnt(0)
	v_lshlrev_b32_e32 v10, 16, v10
	v_fmac_f32_e32 v7, v11, v10
	s_branch .LBB373_9
.LBB373_12:
	v_lshlrev_b32_e32 v1, 2, v0
	s_and_b64 vcc, exec, s[20:21]
	ds_write_b32 v1, v7
	s_waitcnt lgkmcnt(0)
	s_barrier
	s_cbranch_vccz .LBB373_24
; %bb.13:
	v_cmp_gt_u16_e32 vcc, 6, v8
	s_and_saveexec_b64 s[0:1], vcc
	s_cbranch_execz .LBB373_15
; %bb.14:
	ds_read2_b32 v[2:3], v1 offset1:16
	s_waitcnt lgkmcnt(0)
	v_add_f32_e32 v2, v3, v2
	ds_write_b32 v1, v2
.LBB373_15:
	s_or_b64 exec, exec, s[0:1]
	v_cmp_gt_u16_e32 vcc, 8, v8
	s_waitcnt lgkmcnt(0)
	s_barrier
	s_and_saveexec_b64 s[0:1], vcc
	s_cbranch_execz .LBB373_17
; %bb.16:
	ds_read2_b32 v[2:3], v1 offset1:8
	s_waitcnt lgkmcnt(0)
	v_add_f32_e32 v2, v3, v2
	ds_write_b32 v1, v2
.LBB373_17:
	s_or_b64 exec, exec, s[0:1]
	v_cmp_gt_u16_e32 vcc, 4, v8
	s_waitcnt lgkmcnt(0)
	s_barrier
	;; [unrolled: 12-line block ×3, first 2 shown]
	s_and_saveexec_b64 s[0:1], vcc
	s_cbranch_execz .LBB373_21
; %bb.20:
	ds_read2_b32 v[2:3], v1 offset1:2
	s_waitcnt lgkmcnt(0)
	v_add_f32_e32 v2, v3, v2
	ds_write_b32 v1, v2
.LBB373_21:
	s_or_b64 exec, exec, s[0:1]
	v_cmp_gt_u32_e32 vcc, 22, v0
	v_mov_b32_e32 v2, v7
	s_waitcnt lgkmcnt(0)
	s_barrier
	s_and_saveexec_b64 s[0:1], vcc
	s_cbranch_execz .LBB373_23
; %bb.22:
	s_movk_i32 s2, 0x54
	v_mad_u32_u24 v2, v0, s2, v1
	ds_read_b64 v[2:3], v2
	s_waitcnt lgkmcnt(0)
	v_add_f32_e32 v2, v2, v3
.LBB373_23:
	s_or_b64 exec, exec, s[0:1]
	s_branch .LBB373_36
.LBB373_24:
                                        ; implicit-def: $vgpr2
	s_cbranch_execz .LBB373_36
; %bb.25:
	s_movk_i32 s0, 0x84
	v_cmp_gt_u32_e32 vcc, s0, v0
	s_and_saveexec_b64 s[0:1], vcc
	s_cbranch_execz .LBB373_27
; %bb.26:
	ds_read_b32 v2, v1 offset:1408
	ds_read_b32 v3, v1
	s_waitcnt lgkmcnt(0)
	v_add_f32_e32 v2, v2, v3
	ds_write_b32 v1, v2
.LBB373_27:
	s_or_b64 exec, exec, s[0:1]
	s_movk_i32 s0, 0xb0
	v_cmp_gt_u32_e32 vcc, s0, v0
	s_waitcnt lgkmcnt(0)
	s_barrier
	s_and_saveexec_b64 s[0:1], vcc
	s_cbranch_execz .LBB373_29
; %bb.28:
	ds_read2_b32 v[2:3], v1 offset1:176
	s_waitcnt lgkmcnt(0)
	v_add_f32_e32 v2, v3, v2
	ds_write_b32 v1, v2
.LBB373_29:
	s_or_b64 exec, exec, s[0:1]
	s_movk_i32 s0, 0x58
	v_cmp_gt_u32_e32 vcc, s0, v0
	s_waitcnt lgkmcnt(0)
	s_barrier
	s_and_saveexec_b64 s[0:1], vcc
	s_cbranch_execz .LBB373_31
; %bb.30:
	ds_read2_b32 v[2:3], v1 offset1:88
	s_waitcnt lgkmcnt(0)
	v_add_f32_e32 v2, v3, v2
	ds_write_b32 v1, v2
.LBB373_31:
	s_or_b64 exec, exec, s[0:1]
	v_cmp_gt_u32_e32 vcc, 44, v0
	s_waitcnt lgkmcnt(0)
	s_barrier
	s_and_saveexec_b64 s[0:1], vcc
	s_cbranch_execz .LBB373_33
; %bb.32:
	ds_read2_b32 v[2:3], v1 offset1:44
	s_waitcnt lgkmcnt(0)
	v_add_f32_e32 v2, v3, v2
	ds_write_b32 v1, v2
.LBB373_33:
	s_or_b64 exec, exec, s[0:1]
	v_cmp_gt_u32_e32 vcc, 22, v0
	s_waitcnt lgkmcnt(0)
	s_and_saveexec_b64 s[0:1], vcc
	s_cbranch_execz .LBB373_35
; %bb.34:
	ds_read2_b32 v[2:3], v1 offset1:22
	s_waitcnt lgkmcnt(0)
	v_add_f32_e32 v7, v2, v3
.LBB373_35:
	s_or_b64 exec, exec, s[0:1]
	v_mov_b32_e32 v2, v7
.LBB373_36:
	v_cmp_gt_u32_e32 vcc, 22, v0
	s_and_saveexec_b64 s[0:1], vcc
	s_cbranch_execz .LBB373_40
; %bb.37:
	v_cmp_eq_f32_e64 s[0:1], s12, 0
	s_and_b64 vcc, exec, s[0:1]
	v_mul_f32_e32 v0, s14, v2
	s_mul_i32 s2, s7, 0x58
	s_mul_hi_u32 s3, s6, 0x58
	s_mul_i32 s4, s6, 0x58
	s_cbranch_vccz .LBB373_41
; %bb.38:
	s_add_i32 s1, s3, s2
	s_add_u32 s0, s16, s4
	s_addc_u32 s1, s17, s1
	global_store_dword v1, v0, s[0:1]
	s_cbranch_execnz .LBB373_40
.LBB373_39:
	s_add_i32 s3, s3, s2
	s_add_u32 s0, s16, s4
	s_addc_u32 s1, s17, s3
	global_load_dword v2, v1, s[0:1]
	s_waitcnt vmcnt(0)
	v_fmac_f32_e32 v0, s12, v2
	global_store_dword v1, v0, s[0:1]
.LBB373_40:
	s_endpgm
.LBB373_41:
	s_branch .LBB373_39
	.section	.rodata,"a",@progbits
	.p2align	6, 0x0
	.amdhsa_kernel _ZN9rocsparseL20bsrxmvn_17_32_kernelILj22Efll18rocsparse_bfloat16S1_fEEvT2_20rocsparse_direction_NS_24const_host_device_scalarIT0_EES2_PKS2_PKT1_SB_S8_PKT3_PKT4_S6_PT5_21rocsparse_index_base_b
		.amdhsa_group_segment_fixed_size 1936
		.amdhsa_private_segment_fixed_size 0
		.amdhsa_kernarg_size 104
		.amdhsa_user_sgpr_count 6
		.amdhsa_user_sgpr_private_segment_buffer 1
		.amdhsa_user_sgpr_dispatch_ptr 0
		.amdhsa_user_sgpr_queue_ptr 0
		.amdhsa_user_sgpr_kernarg_segment_ptr 1
		.amdhsa_user_sgpr_dispatch_id 0
		.amdhsa_user_sgpr_flat_scratch_init 0
		.amdhsa_user_sgpr_private_segment_size 0
		.amdhsa_uses_dynamic_stack 0
		.amdhsa_system_sgpr_private_segment_wavefront_offset 0
		.amdhsa_system_sgpr_workgroup_id_x 1
		.amdhsa_system_sgpr_workgroup_id_y 0
		.amdhsa_system_sgpr_workgroup_id_z 0
		.amdhsa_system_sgpr_workgroup_info 0
		.amdhsa_system_vgpr_workitem_id 0
		.amdhsa_next_free_vgpr 13
		.amdhsa_next_free_sgpr 26
		.amdhsa_reserve_vcc 1
		.amdhsa_reserve_flat_scratch 0
		.amdhsa_float_round_mode_32 0
		.amdhsa_float_round_mode_16_64 0
		.amdhsa_float_denorm_mode_32 3
		.amdhsa_float_denorm_mode_16_64 3
		.amdhsa_dx10_clamp 1
		.amdhsa_ieee_mode 1
		.amdhsa_fp16_overflow 0
		.amdhsa_exception_fp_ieee_invalid_op 0
		.amdhsa_exception_fp_denorm_src 0
		.amdhsa_exception_fp_ieee_div_zero 0
		.amdhsa_exception_fp_ieee_overflow 0
		.amdhsa_exception_fp_ieee_underflow 0
		.amdhsa_exception_fp_ieee_inexact 0
		.amdhsa_exception_int_div_zero 0
	.end_amdhsa_kernel
	.section	.text._ZN9rocsparseL20bsrxmvn_17_32_kernelILj22Efll18rocsparse_bfloat16S1_fEEvT2_20rocsparse_direction_NS_24const_host_device_scalarIT0_EES2_PKS2_PKT1_SB_S8_PKT3_PKT4_S6_PT5_21rocsparse_index_base_b,"axG",@progbits,_ZN9rocsparseL20bsrxmvn_17_32_kernelILj22Efll18rocsparse_bfloat16S1_fEEvT2_20rocsparse_direction_NS_24const_host_device_scalarIT0_EES2_PKS2_PKT1_SB_S8_PKT3_PKT4_S6_PT5_21rocsparse_index_base_b,comdat
.Lfunc_end373:
	.size	_ZN9rocsparseL20bsrxmvn_17_32_kernelILj22Efll18rocsparse_bfloat16S1_fEEvT2_20rocsparse_direction_NS_24const_host_device_scalarIT0_EES2_PKS2_PKT1_SB_S8_PKT3_PKT4_S6_PT5_21rocsparse_index_base_b, .Lfunc_end373-_ZN9rocsparseL20bsrxmvn_17_32_kernelILj22Efll18rocsparse_bfloat16S1_fEEvT2_20rocsparse_direction_NS_24const_host_device_scalarIT0_EES2_PKS2_PKT1_SB_S8_PKT3_PKT4_S6_PT5_21rocsparse_index_base_b
                                        ; -- End function
	.set _ZN9rocsparseL20bsrxmvn_17_32_kernelILj22Efll18rocsparse_bfloat16S1_fEEvT2_20rocsparse_direction_NS_24const_host_device_scalarIT0_EES2_PKS2_PKT1_SB_S8_PKT3_PKT4_S6_PT5_21rocsparse_index_base_b.num_vgpr, 13
	.set _ZN9rocsparseL20bsrxmvn_17_32_kernelILj22Efll18rocsparse_bfloat16S1_fEEvT2_20rocsparse_direction_NS_24const_host_device_scalarIT0_EES2_PKS2_PKT1_SB_S8_PKT3_PKT4_S6_PT5_21rocsparse_index_base_b.num_agpr, 0
	.set _ZN9rocsparseL20bsrxmvn_17_32_kernelILj22Efll18rocsparse_bfloat16S1_fEEvT2_20rocsparse_direction_NS_24const_host_device_scalarIT0_EES2_PKS2_PKT1_SB_S8_PKT3_PKT4_S6_PT5_21rocsparse_index_base_b.numbered_sgpr, 26
	.set _ZN9rocsparseL20bsrxmvn_17_32_kernelILj22Efll18rocsparse_bfloat16S1_fEEvT2_20rocsparse_direction_NS_24const_host_device_scalarIT0_EES2_PKS2_PKT1_SB_S8_PKT3_PKT4_S6_PT5_21rocsparse_index_base_b.num_named_barrier, 0
	.set _ZN9rocsparseL20bsrxmvn_17_32_kernelILj22Efll18rocsparse_bfloat16S1_fEEvT2_20rocsparse_direction_NS_24const_host_device_scalarIT0_EES2_PKS2_PKT1_SB_S8_PKT3_PKT4_S6_PT5_21rocsparse_index_base_b.private_seg_size, 0
	.set _ZN9rocsparseL20bsrxmvn_17_32_kernelILj22Efll18rocsparse_bfloat16S1_fEEvT2_20rocsparse_direction_NS_24const_host_device_scalarIT0_EES2_PKS2_PKT1_SB_S8_PKT3_PKT4_S6_PT5_21rocsparse_index_base_b.uses_vcc, 1
	.set _ZN9rocsparseL20bsrxmvn_17_32_kernelILj22Efll18rocsparse_bfloat16S1_fEEvT2_20rocsparse_direction_NS_24const_host_device_scalarIT0_EES2_PKS2_PKT1_SB_S8_PKT3_PKT4_S6_PT5_21rocsparse_index_base_b.uses_flat_scratch, 0
	.set _ZN9rocsparseL20bsrxmvn_17_32_kernelILj22Efll18rocsparse_bfloat16S1_fEEvT2_20rocsparse_direction_NS_24const_host_device_scalarIT0_EES2_PKS2_PKT1_SB_S8_PKT3_PKT4_S6_PT5_21rocsparse_index_base_b.has_dyn_sized_stack, 0
	.set _ZN9rocsparseL20bsrxmvn_17_32_kernelILj22Efll18rocsparse_bfloat16S1_fEEvT2_20rocsparse_direction_NS_24const_host_device_scalarIT0_EES2_PKS2_PKT1_SB_S8_PKT3_PKT4_S6_PT5_21rocsparse_index_base_b.has_recursion, 0
	.set _ZN9rocsparseL20bsrxmvn_17_32_kernelILj22Efll18rocsparse_bfloat16S1_fEEvT2_20rocsparse_direction_NS_24const_host_device_scalarIT0_EES2_PKS2_PKT1_SB_S8_PKT3_PKT4_S6_PT5_21rocsparse_index_base_b.has_indirect_call, 0
	.section	.AMDGPU.csdata,"",@progbits
; Kernel info:
; codeLenInByte = 1324
; TotalNumSgprs: 30
; NumVgprs: 13
; ScratchSize: 0
; MemoryBound: 0
; FloatMode: 240
; IeeeMode: 1
; LDSByteSize: 1936 bytes/workgroup (compile time only)
; SGPRBlocks: 3
; VGPRBlocks: 3
; NumSGPRsForWavesPerEU: 30
; NumVGPRsForWavesPerEU: 13
; Occupancy: 10
; WaveLimiterHint : 1
; COMPUTE_PGM_RSRC2:SCRATCH_EN: 0
; COMPUTE_PGM_RSRC2:USER_SGPR: 6
; COMPUTE_PGM_RSRC2:TRAP_HANDLER: 0
; COMPUTE_PGM_RSRC2:TGID_X_EN: 1
; COMPUTE_PGM_RSRC2:TGID_Y_EN: 0
; COMPUTE_PGM_RSRC2:TGID_Z_EN: 0
; COMPUTE_PGM_RSRC2:TIDIG_COMP_CNT: 0
	.section	.text._ZN9rocsparseL20bsrxmvn_17_32_kernelILj23Efll18rocsparse_bfloat16S1_fEEvT2_20rocsparse_direction_NS_24const_host_device_scalarIT0_EES2_PKS2_PKT1_SB_S8_PKT3_PKT4_S6_PT5_21rocsparse_index_base_b,"axG",@progbits,_ZN9rocsparseL20bsrxmvn_17_32_kernelILj23Efll18rocsparse_bfloat16S1_fEEvT2_20rocsparse_direction_NS_24const_host_device_scalarIT0_EES2_PKS2_PKT1_SB_S8_PKT3_PKT4_S6_PT5_21rocsparse_index_base_b,comdat
	.globl	_ZN9rocsparseL20bsrxmvn_17_32_kernelILj23Efll18rocsparse_bfloat16S1_fEEvT2_20rocsparse_direction_NS_24const_host_device_scalarIT0_EES2_PKS2_PKT1_SB_S8_PKT3_PKT4_S6_PT5_21rocsparse_index_base_b ; -- Begin function _ZN9rocsparseL20bsrxmvn_17_32_kernelILj23Efll18rocsparse_bfloat16S1_fEEvT2_20rocsparse_direction_NS_24const_host_device_scalarIT0_EES2_PKS2_PKT1_SB_S8_PKT3_PKT4_S6_PT5_21rocsparse_index_base_b
	.p2align	8
	.type	_ZN9rocsparseL20bsrxmvn_17_32_kernelILj23Efll18rocsparse_bfloat16S1_fEEvT2_20rocsparse_direction_NS_24const_host_device_scalarIT0_EES2_PKS2_PKT1_SB_S8_PKT3_PKT4_S6_PT5_21rocsparse_index_base_b,@function
_ZN9rocsparseL20bsrxmvn_17_32_kernelILj23Efll18rocsparse_bfloat16S1_fEEvT2_20rocsparse_direction_NS_24const_host_device_scalarIT0_EES2_PKS2_PKT1_SB_S8_PKT3_PKT4_S6_PT5_21rocsparse_index_base_b: ; @_ZN9rocsparseL20bsrxmvn_17_32_kernelILj23Efll18rocsparse_bfloat16S1_fEEvT2_20rocsparse_direction_NS_24const_host_device_scalarIT0_EES2_PKS2_PKT1_SB_S8_PKT3_PKT4_S6_PT5_21rocsparse_index_base_b
; %bb.0:
	s_load_dwordx2 s[18:19], s[4:5], 0x60
	s_load_dwordx2 s[14:15], s[4:5], 0x10
	;; [unrolled: 1-line block ×3, first 2 shown]
	s_waitcnt lgkmcnt(0)
	s_bitcmp1_b32 s19, 0
	s_cselect_b64 s[2:3], -1, 0
	s_xor_b64 s[0:1], s[2:3], -1
	s_and_b64 vcc, exec, s[2:3]
	s_cbranch_vccnz .LBB374_2
; %bb.1:
	s_load_dword s14, s[14:15], 0x0
.LBB374_2:
	s_andn2_b64 vcc, exec, s[0:1]
	s_cbranch_vccnz .LBB374_4
; %bb.3:
	s_load_dword s12, s[12:13], 0x0
.LBB374_4:
	s_waitcnt lgkmcnt(0)
	v_cmp_neq_f32_e64 s[0:1], s14, 0
	v_cmp_neq_f32_e64 s[2:3], s12, 1.0
	s_or_b64 s[0:1], s[0:1], s[2:3]
	s_andn2_b64 vcc, exec, s[0:1]
	s_mov_b32 s7, 0
	s_cbranch_vccnz .LBB374_40
; %bb.5:
	s_load_dwordx4 s[0:3], s[4:5], 0x20
	s_load_dwordx2 s[8:9], s[4:5], 0x30
	s_waitcnt lgkmcnt(0)
	s_cmp_eq_u64 s[0:1], 0
	s_cbranch_scc1 .LBB374_7
; %bb.6:
	s_lshl_b64 s[6:7], s[6:7], 3
	s_add_u32 s0, s0, s6
	s_addc_u32 s1, s1, s7
	s_load_dwordx2 s[0:1], s[0:1], 0x0
	s_waitcnt lgkmcnt(0)
	s_sub_u32 s6, s0, s18
	s_subb_u32 s7, s1, 0
.LBB374_7:
	s_load_dword s10, s[4:5], 0x8
	s_load_dwordx2 s[16:17], s[4:5], 0x58
	v_mul_u32_u24_e32 v1, 0xb22, v0
	v_mov_b32_e32 v2, 23
	v_mul_lo_u16_sdwa v2, v1, v2 dst_sel:DWORD dst_unused:UNUSED_PAD src0_sel:WORD_1 src1_sel:DWORD
	s_waitcnt lgkmcnt(0)
	s_cmp_eq_u32 s10, 1
	s_cselect_b64 s[0:1], -1, 0
	s_cmp_lg_u32 s10, 1
	s_cselect_b64 s[20:21], -1, 0
	s_lshl_b64 s[10:11], s[6:7], 3
	s_add_u32 s24, s2, s10
	s_addc_u32 s25, s3, s11
	s_add_u32 s2, s24, 8
	s_addc_u32 s3, s25, 0
	;; [unrolled: 2-line block ×3, first 2 shown]
	s_cmp_eq_u64 s[8:9], 0
	s_cselect_b32 s9, s3, s11
	s_cselect_b32 s8, s2, s10
	s_load_dwordx2 s[2:3], s[8:9], 0x0
	s_load_dwordx2 s[22:23], s[24:25], 0x0
	v_sub_u16_e32 v9, v0, v2
	s_waitcnt lgkmcnt(0)
	v_mov_b32_e32 v2, s2
	v_mov_b32_e32 v3, s3
	v_cmp_ge_i64_e32 vcc, s[22:23], v[2:3]
	v_mov_b32_e32 v2, 0
	s_cbranch_vccnz .LBB374_12
; %bb.8:
	s_load_dwordx4 s[8:11], s[4:5], 0x38
	s_load_dwordx2 s[24:25], s[4:5], 0x48
	s_mov_b32 s4, 0xffff
	s_movk_i32 s5, 0x211
	v_and_b32_sdwa v1, s4, v1 dst_sel:DWORD dst_unused:UNUSED_PAD src0_sel:DWORD src1_sel:WORD_1
	s_sub_u32 s2, s2, s18
	v_subrev_u32_e32 v2, 23, v1
	v_cmp_gt_u32_e32 vcc, s5, v0
	s_subb_u32 s3, s3, 0
	v_cndmask_b32_e32 v1, v2, v1, vcc
	s_sub_u32 s4, s22, s18
	v_cndmask_b32_e64 v1, v9, v1, s[0:1]
	v_mov_b32_e32 v2, 0
	s_subb_u32 s5, s23, 0
	v_lshlrev_b64 v[3:4], 1, v[1:2]
	s_mul_i32 s0, s5, 0x422
	s_mul_hi_u32 s1, s4, 0x422
	s_add_i32 s1, s1, s0
	s_mul_i32 s0, s4, 0x422
	s_waitcnt lgkmcnt(0)
	v_mov_b32_e32 v1, s25
	v_add_co_u32_e32 v3, vcc, s24, v3
	s_add_u32 s0, s10, s0
	v_addc_co_u32_e32 v4, vcc, v1, v4, vcc
	s_addc_u32 s1, s11, s1
	v_lshlrev_b32_e32 v1, 1, v0
	v_mov_b32_e32 v6, s1
	v_add_co_u32_e32 v5, vcc, s0, v1
	v_addc_co_u32_e32 v6, vcc, 0, v6, vcc
	s_movk_i32 s0, 0x210
	v_cmp_lt_u32_e32 vcc, s0, v0
	v_cndmask_b32_e64 v1, 0, 1, vcc
	v_mov_b32_e32 v7, s23
	v_add_co_u32_e32 v8, vcc, s22, v1
	v_addc_co_u32_e32 v10, vcc, 0, v7, vcc
	v_subrev_co_u32_e32 v7, vcc, s18, v8
	v_subbrev_co_u32_e32 v8, vcc, 0, v10, vcc
	v_lshlrev_b64 v[7:8], 3, v[7:8]
	v_mov_b32_e32 v10, s9
	v_add_co_u32_e32 v7, vcc, s8, v7
	v_addc_co_u32_e32 v8, vcc, v10, v8, vcc
	s_branch .LBB374_10
.LBB374_9:                              ;   in Loop: Header=BB374_10 Depth=1
	s_or_b64 exec, exec, s[0:1]
	s_add_u32 s4, s4, 1
	v_mov_b32_e32 v11, s3
	s_addc_u32 s5, s5, 0
	v_mov_b32_e32 v10, s2
	v_cmp_lt_i64_e32 vcc, s[4:5], v[10:11]
	v_add_co_u32_e64 v7, s[0:1], 8, v7
	v_addc_co_u32_e64 v8, s[0:1], 0, v8, s[0:1]
	s_cbranch_vccz .LBB374_12
.LBB374_10:                             ; =>This Inner Loop Header: Depth=1
	v_mov_b32_e32 v11, s5
	v_add_co_u32_e32 v10, vcc, s4, v1
	v_addc_co_u32_e32 v11, vcc, 0, v11, vcc
	v_cmp_gt_i64_e32 vcc, s[2:3], v[10:11]
	s_and_saveexec_b64 s[0:1], vcc
	s_cbranch_execz .LBB374_9
; %bb.11:                               ;   in Loop: Header=BB374_10 Depth=1
	global_load_dwordx2 v[10:11], v[7:8], off
	s_waitcnt vmcnt(0)
	v_subrev_co_u32_e32 v10, vcc, s18, v10
	v_subbrev_co_u32_e32 v12, vcc, 0, v11, vcc
	v_mad_u64_u32 v[10:11], s[8:9], v10, 46, v[3:4]
	v_mad_u64_u32 v[11:12], s[8:9], v12, 46, v[11:12]
	global_load_ushort v12, v[5:6], off
	s_nop 0
	global_load_ushort v10, v[10:11], off
	v_add_co_u32_e32 v5, vcc, 0x422, v5
	v_addc_co_u32_e32 v6, vcc, 0, v6, vcc
	s_waitcnt vmcnt(1)
	v_lshlrev_b32_e32 v11, 16, v12
	s_waitcnt vmcnt(0)
	v_lshlrev_b32_e32 v10, 16, v10
	v_fmac_f32_e32 v2, v11, v10
	s_branch .LBB374_9
.LBB374_12:
	v_lshlrev_b32_e32 v1, 2, v0
	s_and_b64 vcc, exec, s[20:21]
	ds_write_b32 v1, v2
	s_waitcnt lgkmcnt(0)
	s_barrier
	s_cbranch_vccz .LBB374_24
; %bb.13:
	v_cmp_gt_u16_e32 vcc, 7, v9
	s_and_saveexec_b64 s[0:1], vcc
	s_cbranch_execz .LBB374_15
; %bb.14:
	ds_read2_b32 v[3:4], v1 offset1:16
	s_waitcnt lgkmcnt(0)
	v_add_f32_e32 v3, v4, v3
	ds_write_b32 v1, v3
.LBB374_15:
	s_or_b64 exec, exec, s[0:1]
	v_cmp_gt_u16_e32 vcc, 8, v9
	s_waitcnt lgkmcnt(0)
	s_barrier
	s_and_saveexec_b64 s[0:1], vcc
	s_cbranch_execz .LBB374_17
; %bb.16:
	ds_read2_b32 v[3:4], v1 offset1:8
	s_waitcnt lgkmcnt(0)
	v_add_f32_e32 v3, v4, v3
	ds_write_b32 v1, v3
.LBB374_17:
	s_or_b64 exec, exec, s[0:1]
	v_cmp_gt_u16_e32 vcc, 4, v9
	s_waitcnt lgkmcnt(0)
	s_barrier
	;; [unrolled: 12-line block ×3, first 2 shown]
	s_and_saveexec_b64 s[0:1], vcc
	s_cbranch_execz .LBB374_21
; %bb.20:
	ds_read2_b32 v[3:4], v1 offset1:2
	s_waitcnt lgkmcnt(0)
	v_add_f32_e32 v3, v4, v3
	ds_write_b32 v1, v3
.LBB374_21:
	s_or_b64 exec, exec, s[0:1]
	v_cmp_gt_u32_e32 vcc, 23, v0
	v_mov_b32_e32 v3, v2
	s_waitcnt lgkmcnt(0)
	s_barrier
	s_and_saveexec_b64 s[0:1], vcc
	s_cbranch_execz .LBB374_23
; %bb.22:
	s_movk_i32 s2, 0x58
	v_mad_u32_u24 v3, v0, s2, v1
	ds_read2_b32 v[3:4], v3 offset1:1
	s_waitcnt lgkmcnt(0)
	v_add_f32_e32 v3, v3, v4
.LBB374_23:
	s_or_b64 exec, exec, s[0:1]
	s_branch .LBB374_36
.LBB374_24:
                                        ; implicit-def: $vgpr3
	s_cbranch_execz .LBB374_36
; %bb.25:
	s_movk_i32 s0, 0xa1
	v_cmp_gt_u32_e32 vcc, s0, v0
	s_and_saveexec_b64 s[0:1], vcc
	s_cbranch_execz .LBB374_27
; %bb.26:
	ds_read_b32 v3, v1 offset:1472
	ds_read_b32 v4, v1
	s_waitcnt lgkmcnt(0)
	v_add_f32_e32 v3, v3, v4
	ds_write_b32 v1, v3
.LBB374_27:
	s_or_b64 exec, exec, s[0:1]
	s_movk_i32 s0, 0xb8
	v_cmp_gt_u32_e32 vcc, s0, v0
	s_waitcnt lgkmcnt(0)
	s_barrier
	s_and_saveexec_b64 s[0:1], vcc
	s_cbranch_execz .LBB374_29
; %bb.28:
	ds_read2_b32 v[3:4], v1 offset1:184
	s_waitcnt lgkmcnt(0)
	v_add_f32_e32 v3, v4, v3
	ds_write_b32 v1, v3
.LBB374_29:
	s_or_b64 exec, exec, s[0:1]
	s_movk_i32 s0, 0x5c
	v_cmp_gt_u32_e32 vcc, s0, v0
	s_waitcnt lgkmcnt(0)
	s_barrier
	s_and_saveexec_b64 s[0:1], vcc
	s_cbranch_execz .LBB374_31
; %bb.30:
	ds_read2_b32 v[3:4], v1 offset1:92
	s_waitcnt lgkmcnt(0)
	v_add_f32_e32 v3, v4, v3
	ds_write_b32 v1, v3
.LBB374_31:
	s_or_b64 exec, exec, s[0:1]
	v_cmp_gt_u32_e32 vcc, 46, v0
	s_waitcnt lgkmcnt(0)
	s_barrier
	s_and_saveexec_b64 s[0:1], vcc
	s_cbranch_execz .LBB374_33
; %bb.32:
	ds_read2_b32 v[3:4], v1 offset1:46
	s_waitcnt lgkmcnt(0)
	v_add_f32_e32 v3, v4, v3
	ds_write_b32 v1, v3
.LBB374_33:
	s_or_b64 exec, exec, s[0:1]
	v_cmp_gt_u32_e32 vcc, 23, v0
	s_waitcnt lgkmcnt(0)
	s_and_saveexec_b64 s[0:1], vcc
	s_cbranch_execz .LBB374_35
; %bb.34:
	ds_read2_b32 v[2:3], v1 offset1:23
	s_waitcnt lgkmcnt(0)
	v_add_f32_e32 v2, v2, v3
.LBB374_35:
	s_or_b64 exec, exec, s[0:1]
	v_mov_b32_e32 v3, v2
.LBB374_36:
	v_cmp_gt_u32_e32 vcc, 23, v0
	s_and_saveexec_b64 s[0:1], vcc
	s_cbranch_execz .LBB374_40
; %bb.37:
	v_cmp_eq_f32_e64 s[0:1], s12, 0
	s_and_b64 vcc, exec, s[0:1]
	v_mul_f32_e32 v0, s14, v3
	s_mul_i32 s2, s7, 0x5c
	s_mul_hi_u32 s3, s6, 0x5c
	s_mul_i32 s4, s6, 0x5c
	s_cbranch_vccz .LBB374_41
; %bb.38:
	s_add_i32 s1, s3, s2
	s_add_u32 s0, s16, s4
	s_addc_u32 s1, s17, s1
	global_store_dword v1, v0, s[0:1]
	s_cbranch_execnz .LBB374_40
.LBB374_39:
	s_add_i32 s3, s3, s2
	s_add_u32 s0, s16, s4
	s_addc_u32 s1, s17, s3
	global_load_dword v2, v1, s[0:1]
	s_waitcnt vmcnt(0)
	v_fmac_f32_e32 v0, s12, v2
	global_store_dword v1, v0, s[0:1]
.LBB374_40:
	s_endpgm
.LBB374_41:
	s_branch .LBB374_39
	.section	.rodata,"a",@progbits
	.p2align	6, 0x0
	.amdhsa_kernel _ZN9rocsparseL20bsrxmvn_17_32_kernelILj23Efll18rocsparse_bfloat16S1_fEEvT2_20rocsparse_direction_NS_24const_host_device_scalarIT0_EES2_PKS2_PKT1_SB_S8_PKT3_PKT4_S6_PT5_21rocsparse_index_base_b
		.amdhsa_group_segment_fixed_size 2116
		.amdhsa_private_segment_fixed_size 0
		.amdhsa_kernarg_size 104
		.amdhsa_user_sgpr_count 6
		.amdhsa_user_sgpr_private_segment_buffer 1
		.amdhsa_user_sgpr_dispatch_ptr 0
		.amdhsa_user_sgpr_queue_ptr 0
		.amdhsa_user_sgpr_kernarg_segment_ptr 1
		.amdhsa_user_sgpr_dispatch_id 0
		.amdhsa_user_sgpr_flat_scratch_init 0
		.amdhsa_user_sgpr_private_segment_size 0
		.amdhsa_uses_dynamic_stack 0
		.amdhsa_system_sgpr_private_segment_wavefront_offset 0
		.amdhsa_system_sgpr_workgroup_id_x 1
		.amdhsa_system_sgpr_workgroup_id_y 0
		.amdhsa_system_sgpr_workgroup_id_z 0
		.amdhsa_system_sgpr_workgroup_info 0
		.amdhsa_system_vgpr_workitem_id 0
		.amdhsa_next_free_vgpr 25
		.amdhsa_next_free_sgpr 61
		.amdhsa_reserve_vcc 1
		.amdhsa_reserve_flat_scratch 0
		.amdhsa_float_round_mode_32 0
		.amdhsa_float_round_mode_16_64 0
		.amdhsa_float_denorm_mode_32 3
		.amdhsa_float_denorm_mode_16_64 3
		.amdhsa_dx10_clamp 1
		.amdhsa_ieee_mode 1
		.amdhsa_fp16_overflow 0
		.amdhsa_exception_fp_ieee_invalid_op 0
		.amdhsa_exception_fp_denorm_src 0
		.amdhsa_exception_fp_ieee_div_zero 0
		.amdhsa_exception_fp_ieee_overflow 0
		.amdhsa_exception_fp_ieee_underflow 0
		.amdhsa_exception_fp_ieee_inexact 0
		.amdhsa_exception_int_div_zero 0
	.end_amdhsa_kernel
	.section	.text._ZN9rocsparseL20bsrxmvn_17_32_kernelILj23Efll18rocsparse_bfloat16S1_fEEvT2_20rocsparse_direction_NS_24const_host_device_scalarIT0_EES2_PKS2_PKT1_SB_S8_PKT3_PKT4_S6_PT5_21rocsparse_index_base_b,"axG",@progbits,_ZN9rocsparseL20bsrxmvn_17_32_kernelILj23Efll18rocsparse_bfloat16S1_fEEvT2_20rocsparse_direction_NS_24const_host_device_scalarIT0_EES2_PKS2_PKT1_SB_S8_PKT3_PKT4_S6_PT5_21rocsparse_index_base_b,comdat
.Lfunc_end374:
	.size	_ZN9rocsparseL20bsrxmvn_17_32_kernelILj23Efll18rocsparse_bfloat16S1_fEEvT2_20rocsparse_direction_NS_24const_host_device_scalarIT0_EES2_PKS2_PKT1_SB_S8_PKT3_PKT4_S6_PT5_21rocsparse_index_base_b, .Lfunc_end374-_ZN9rocsparseL20bsrxmvn_17_32_kernelILj23Efll18rocsparse_bfloat16S1_fEEvT2_20rocsparse_direction_NS_24const_host_device_scalarIT0_EES2_PKS2_PKT1_SB_S8_PKT3_PKT4_S6_PT5_21rocsparse_index_base_b
                                        ; -- End function
	.set _ZN9rocsparseL20bsrxmvn_17_32_kernelILj23Efll18rocsparse_bfloat16S1_fEEvT2_20rocsparse_direction_NS_24const_host_device_scalarIT0_EES2_PKS2_PKT1_SB_S8_PKT3_PKT4_S6_PT5_21rocsparse_index_base_b.num_vgpr, 13
	.set _ZN9rocsparseL20bsrxmvn_17_32_kernelILj23Efll18rocsparse_bfloat16S1_fEEvT2_20rocsparse_direction_NS_24const_host_device_scalarIT0_EES2_PKS2_PKT1_SB_S8_PKT3_PKT4_S6_PT5_21rocsparse_index_base_b.num_agpr, 0
	.set _ZN9rocsparseL20bsrxmvn_17_32_kernelILj23Efll18rocsparse_bfloat16S1_fEEvT2_20rocsparse_direction_NS_24const_host_device_scalarIT0_EES2_PKS2_PKT1_SB_S8_PKT3_PKT4_S6_PT5_21rocsparse_index_base_b.numbered_sgpr, 26
	.set _ZN9rocsparseL20bsrxmvn_17_32_kernelILj23Efll18rocsparse_bfloat16S1_fEEvT2_20rocsparse_direction_NS_24const_host_device_scalarIT0_EES2_PKS2_PKT1_SB_S8_PKT3_PKT4_S6_PT5_21rocsparse_index_base_b.num_named_barrier, 0
	.set _ZN9rocsparseL20bsrxmvn_17_32_kernelILj23Efll18rocsparse_bfloat16S1_fEEvT2_20rocsparse_direction_NS_24const_host_device_scalarIT0_EES2_PKS2_PKT1_SB_S8_PKT3_PKT4_S6_PT5_21rocsparse_index_base_b.private_seg_size, 0
	.set _ZN9rocsparseL20bsrxmvn_17_32_kernelILj23Efll18rocsparse_bfloat16S1_fEEvT2_20rocsparse_direction_NS_24const_host_device_scalarIT0_EES2_PKS2_PKT1_SB_S8_PKT3_PKT4_S6_PT5_21rocsparse_index_base_b.uses_vcc, 1
	.set _ZN9rocsparseL20bsrxmvn_17_32_kernelILj23Efll18rocsparse_bfloat16S1_fEEvT2_20rocsparse_direction_NS_24const_host_device_scalarIT0_EES2_PKS2_PKT1_SB_S8_PKT3_PKT4_S6_PT5_21rocsparse_index_base_b.uses_flat_scratch, 0
	.set _ZN9rocsparseL20bsrxmvn_17_32_kernelILj23Efll18rocsparse_bfloat16S1_fEEvT2_20rocsparse_direction_NS_24const_host_device_scalarIT0_EES2_PKS2_PKT1_SB_S8_PKT3_PKT4_S6_PT5_21rocsparse_index_base_b.has_dyn_sized_stack, 0
	.set _ZN9rocsparseL20bsrxmvn_17_32_kernelILj23Efll18rocsparse_bfloat16S1_fEEvT2_20rocsparse_direction_NS_24const_host_device_scalarIT0_EES2_PKS2_PKT1_SB_S8_PKT3_PKT4_S6_PT5_21rocsparse_index_base_b.has_recursion, 0
	.set _ZN9rocsparseL20bsrxmvn_17_32_kernelILj23Efll18rocsparse_bfloat16S1_fEEvT2_20rocsparse_direction_NS_24const_host_device_scalarIT0_EES2_PKS2_PKT1_SB_S8_PKT3_PKT4_S6_PT5_21rocsparse_index_base_b.has_indirect_call, 0
	.section	.AMDGPU.csdata,"",@progbits
; Kernel info:
; codeLenInByte = 1324
; TotalNumSgprs: 30
; NumVgprs: 13
; ScratchSize: 0
; MemoryBound: 0
; FloatMode: 240
; IeeeMode: 1
; LDSByteSize: 2116 bytes/workgroup (compile time only)
; SGPRBlocks: 8
; VGPRBlocks: 6
; NumSGPRsForWavesPerEU: 65
; NumVGPRsForWavesPerEU: 25
; Occupancy: 9
; WaveLimiterHint : 1
; COMPUTE_PGM_RSRC2:SCRATCH_EN: 0
; COMPUTE_PGM_RSRC2:USER_SGPR: 6
; COMPUTE_PGM_RSRC2:TRAP_HANDLER: 0
; COMPUTE_PGM_RSRC2:TGID_X_EN: 1
; COMPUTE_PGM_RSRC2:TGID_Y_EN: 0
; COMPUTE_PGM_RSRC2:TGID_Z_EN: 0
; COMPUTE_PGM_RSRC2:TIDIG_COMP_CNT: 0
	.section	.text._ZN9rocsparseL20bsrxmvn_17_32_kernelILj24Efll18rocsparse_bfloat16S1_fEEvT2_20rocsparse_direction_NS_24const_host_device_scalarIT0_EES2_PKS2_PKT1_SB_S8_PKT3_PKT4_S6_PT5_21rocsparse_index_base_b,"axG",@progbits,_ZN9rocsparseL20bsrxmvn_17_32_kernelILj24Efll18rocsparse_bfloat16S1_fEEvT2_20rocsparse_direction_NS_24const_host_device_scalarIT0_EES2_PKS2_PKT1_SB_S8_PKT3_PKT4_S6_PT5_21rocsparse_index_base_b,comdat
	.globl	_ZN9rocsparseL20bsrxmvn_17_32_kernelILj24Efll18rocsparse_bfloat16S1_fEEvT2_20rocsparse_direction_NS_24const_host_device_scalarIT0_EES2_PKS2_PKT1_SB_S8_PKT3_PKT4_S6_PT5_21rocsparse_index_base_b ; -- Begin function _ZN9rocsparseL20bsrxmvn_17_32_kernelILj24Efll18rocsparse_bfloat16S1_fEEvT2_20rocsparse_direction_NS_24const_host_device_scalarIT0_EES2_PKS2_PKT1_SB_S8_PKT3_PKT4_S6_PT5_21rocsparse_index_base_b
	.p2align	8
	.type	_ZN9rocsparseL20bsrxmvn_17_32_kernelILj24Efll18rocsparse_bfloat16S1_fEEvT2_20rocsparse_direction_NS_24const_host_device_scalarIT0_EES2_PKS2_PKT1_SB_S8_PKT3_PKT4_S6_PT5_21rocsparse_index_base_b,@function
_ZN9rocsparseL20bsrxmvn_17_32_kernelILj24Efll18rocsparse_bfloat16S1_fEEvT2_20rocsparse_direction_NS_24const_host_device_scalarIT0_EES2_PKS2_PKT1_SB_S8_PKT3_PKT4_S6_PT5_21rocsparse_index_base_b: ; @_ZN9rocsparseL20bsrxmvn_17_32_kernelILj24Efll18rocsparse_bfloat16S1_fEEvT2_20rocsparse_direction_NS_24const_host_device_scalarIT0_EES2_PKS2_PKT1_SB_S8_PKT3_PKT4_S6_PT5_21rocsparse_index_base_b
; %bb.0:
	s_load_dwordx2 s[18:19], s[4:5], 0x60
	s_load_dwordx2 s[14:15], s[4:5], 0x10
	s_load_dwordx2 s[12:13], s[4:5], 0x50
	s_waitcnt lgkmcnt(0)
	s_bitcmp1_b32 s19, 0
	s_cselect_b64 s[2:3], -1, 0
	s_xor_b64 s[0:1], s[2:3], -1
	s_and_b64 vcc, exec, s[2:3]
	s_cbranch_vccnz .LBB375_2
; %bb.1:
	s_load_dword s14, s[14:15], 0x0
.LBB375_2:
	s_andn2_b64 vcc, exec, s[0:1]
	s_cbranch_vccnz .LBB375_4
; %bb.3:
	s_load_dword s12, s[12:13], 0x0
.LBB375_4:
	s_waitcnt lgkmcnt(0)
	v_cmp_neq_f32_e64 s[0:1], s14, 0
	v_cmp_neq_f32_e64 s[2:3], s12, 1.0
	s_or_b64 s[0:1], s[0:1], s[2:3]
	s_andn2_b64 vcc, exec, s[0:1]
	s_mov_b32 s7, 0
	s_cbranch_vccnz .LBB375_40
; %bb.5:
	s_load_dwordx4 s[0:3], s[4:5], 0x20
	s_load_dwordx2 s[8:9], s[4:5], 0x30
	s_waitcnt lgkmcnt(0)
	s_cmp_eq_u64 s[0:1], 0
	s_cbranch_scc1 .LBB375_7
; %bb.6:
	s_lshl_b64 s[6:7], s[6:7], 3
	s_add_u32 s0, s0, s6
	s_addc_u32 s1, s1, s7
	s_load_dwordx2 s[0:1], s[0:1], 0x0
	s_waitcnt lgkmcnt(0)
	s_sub_u32 s6, s0, s18
	s_subb_u32 s7, s1, 0
.LBB375_7:
	s_load_dword s10, s[4:5], 0x8
	s_load_dwordx2 s[16:17], s[4:5], 0x58
	v_mul_u32_u24_e32 v1, 0xaab, v0
	v_mov_b32_e32 v2, 24
	v_mul_lo_u16_sdwa v2, v1, v2 dst_sel:DWORD dst_unused:UNUSED_PAD src0_sel:WORD_1 src1_sel:DWORD
	s_waitcnt lgkmcnt(0)
	s_cmp_eq_u32 s10, 1
	s_cselect_b64 s[0:1], -1, 0
	s_cmp_lg_u32 s10, 1
	s_cselect_b64 s[20:21], -1, 0
	s_lshl_b64 s[10:11], s[6:7], 3
	s_add_u32 s24, s2, s10
	s_addc_u32 s25, s3, s11
	s_add_u32 s2, s24, 8
	s_addc_u32 s3, s25, 0
	;; [unrolled: 2-line block ×3, first 2 shown]
	s_cmp_eq_u64 s[8:9], 0
	s_cselect_b32 s9, s3, s11
	s_cselect_b32 s8, s2, s10
	s_load_dwordx2 s[2:3], s[8:9], 0x0
	s_load_dwordx2 s[22:23], s[24:25], 0x0
	v_sub_u16_e32 v9, v0, v2
	s_waitcnt lgkmcnt(0)
	v_mov_b32_e32 v2, s2
	v_mov_b32_e32 v3, s3
	v_cmp_ge_i64_e32 vcc, s[22:23], v[2:3]
	v_mov_b32_e32 v2, 0
	s_cbranch_vccnz .LBB375_12
; %bb.8:
	s_load_dwordx4 s[8:11], s[4:5], 0x38
	s_load_dwordx2 s[24:25], s[4:5], 0x48
	s_mov_b32 s4, 0xffff
	s_movk_i32 s5, 0x240
	v_and_b32_sdwa v1, s4, v1 dst_sel:DWORD dst_unused:UNUSED_PAD src0_sel:DWORD src1_sel:WORD_1
	s_sub_u32 s2, s2, s18
	v_subrev_u32_e32 v2, 24, v1
	v_cmp_gt_u32_e32 vcc, s5, v0
	s_subb_u32 s3, s3, 0
	v_cndmask_b32_e32 v1, v2, v1, vcc
	s_sub_u32 s4, s22, s18
	v_cndmask_b32_e64 v1, v9, v1, s[0:1]
	v_mov_b32_e32 v2, 0
	s_subb_u32 s5, s23, 0
	v_lshlrev_b64 v[3:4], 1, v[1:2]
	s_mul_i32 s0, s5, 0x480
	s_mul_hi_u32 s1, s4, 0x480
	s_add_i32 s1, s1, s0
	s_mul_i32 s0, s4, 0x480
	s_waitcnt lgkmcnt(0)
	v_mov_b32_e32 v1, s25
	v_add_co_u32_e32 v3, vcc, s24, v3
	s_add_u32 s0, s10, s0
	v_addc_co_u32_e32 v4, vcc, v1, v4, vcc
	s_addc_u32 s1, s11, s1
	v_lshlrev_b32_e32 v1, 1, v0
	v_mov_b32_e32 v6, s1
	v_add_co_u32_e32 v5, vcc, s0, v1
	v_addc_co_u32_e32 v6, vcc, 0, v6, vcc
	s_movk_i32 s0, 0x23f
	v_cmp_lt_u32_e32 vcc, s0, v0
	v_cndmask_b32_e64 v1, 0, 1, vcc
	v_mov_b32_e32 v7, s23
	v_add_co_u32_e32 v8, vcc, s22, v1
	v_addc_co_u32_e32 v10, vcc, 0, v7, vcc
	v_subrev_co_u32_e32 v7, vcc, s18, v8
	v_subbrev_co_u32_e32 v8, vcc, 0, v10, vcc
	v_lshlrev_b64 v[7:8], 3, v[7:8]
	v_mov_b32_e32 v10, s9
	v_add_co_u32_e32 v7, vcc, s8, v7
	v_addc_co_u32_e32 v8, vcc, v10, v8, vcc
	s_branch .LBB375_10
.LBB375_9:                              ;   in Loop: Header=BB375_10 Depth=1
	s_or_b64 exec, exec, s[0:1]
	s_add_u32 s4, s4, 1
	v_mov_b32_e32 v11, s3
	s_addc_u32 s5, s5, 0
	v_mov_b32_e32 v10, s2
	v_cmp_lt_i64_e32 vcc, s[4:5], v[10:11]
	v_add_co_u32_e64 v7, s[0:1], 8, v7
	v_addc_co_u32_e64 v8, s[0:1], 0, v8, s[0:1]
	s_cbranch_vccz .LBB375_12
.LBB375_10:                             ; =>This Inner Loop Header: Depth=1
	v_mov_b32_e32 v11, s5
	v_add_co_u32_e32 v10, vcc, s4, v1
	v_addc_co_u32_e32 v11, vcc, 0, v11, vcc
	v_cmp_gt_i64_e32 vcc, s[2:3], v[10:11]
	s_and_saveexec_b64 s[0:1], vcc
	s_cbranch_execz .LBB375_9
; %bb.11:                               ;   in Loop: Header=BB375_10 Depth=1
	global_load_dwordx2 v[10:11], v[7:8], off
	s_waitcnt vmcnt(0)
	v_subrev_co_u32_e32 v10, vcc, s18, v10
	v_subbrev_co_u32_e32 v12, vcc, 0, v11, vcc
	v_mad_u64_u32 v[10:11], s[8:9], v10, 48, v[3:4]
	v_mad_u64_u32 v[11:12], s[8:9], v12, 48, v[11:12]
	global_load_ushort v12, v[5:6], off
	s_nop 0
	global_load_ushort v10, v[10:11], off
	v_add_co_u32_e32 v5, vcc, 0x480, v5
	v_addc_co_u32_e32 v6, vcc, 0, v6, vcc
	s_waitcnt vmcnt(1)
	v_lshlrev_b32_e32 v11, 16, v12
	s_waitcnt vmcnt(0)
	v_lshlrev_b32_e32 v10, 16, v10
	v_fmac_f32_e32 v2, v11, v10
	s_branch .LBB375_9
.LBB375_12:
	v_lshlrev_b32_e32 v1, 2, v0
	s_and_b64 vcc, exec, s[20:21]
	ds_write_b32 v1, v2
	s_waitcnt lgkmcnt(0)
	s_barrier
	s_cbranch_vccz .LBB375_24
; %bb.13:
	v_cmp_gt_u16_e32 vcc, 8, v9
	s_and_saveexec_b64 s[0:1], vcc
	s_cbranch_execz .LBB375_15
; %bb.14:
	ds_read2_b32 v[3:4], v1 offset1:16
	s_waitcnt lgkmcnt(0)
	v_add_f32_e32 v3, v4, v3
	ds_write_b32 v1, v3
.LBB375_15:
	s_or_b64 exec, exec, s[0:1]
	s_waitcnt lgkmcnt(0)
	s_barrier
	s_and_saveexec_b64 s[0:1], vcc
	s_cbranch_execz .LBB375_17
; %bb.16:
	ds_read2_b32 v[3:4], v1 offset1:8
	s_waitcnt lgkmcnt(0)
	v_add_f32_e32 v3, v4, v3
	ds_write_b32 v1, v3
.LBB375_17:
	s_or_b64 exec, exec, s[0:1]
	v_cmp_gt_u16_e32 vcc, 4, v9
	s_waitcnt lgkmcnt(0)
	s_barrier
	s_and_saveexec_b64 s[0:1], vcc
	s_cbranch_execz .LBB375_19
; %bb.18:
	ds_read2_b32 v[3:4], v1 offset1:4
	s_waitcnt lgkmcnt(0)
	v_add_f32_e32 v3, v4, v3
	ds_write_b32 v1, v3
.LBB375_19:
	s_or_b64 exec, exec, s[0:1]
	v_cmp_gt_u16_e32 vcc, 2, v9
	s_waitcnt lgkmcnt(0)
	s_barrier
	s_and_saveexec_b64 s[0:1], vcc
	s_cbranch_execz .LBB375_21
; %bb.20:
	ds_read2_b32 v[3:4], v1 offset1:2
	s_waitcnt lgkmcnt(0)
	v_add_f32_e32 v3, v4, v3
	ds_write_b32 v1, v3
.LBB375_21:
	s_or_b64 exec, exec, s[0:1]
	v_cmp_gt_u32_e32 vcc, 24, v0
	v_mov_b32_e32 v3, v2
	s_waitcnt lgkmcnt(0)
	s_barrier
	s_and_saveexec_b64 s[0:1], vcc
	s_cbranch_execz .LBB375_23
; %bb.22:
	s_movk_i32 s2, 0x5c
	v_mad_u32_u24 v3, v0, s2, v1
	ds_read_b64 v[3:4], v3
	s_waitcnt lgkmcnt(0)
	v_add_f32_e32 v3, v3, v4
.LBB375_23:
	s_or_b64 exec, exec, s[0:1]
	s_branch .LBB375_36
.LBB375_24:
                                        ; implicit-def: $vgpr3
	s_cbranch_execz .LBB375_36
; %bb.25:
	s_movk_i32 s0, 0xc0
	v_cmp_gt_u32_e32 vcc, s0, v0
	s_and_saveexec_b64 s[0:1], vcc
	s_cbranch_execz .LBB375_27
; %bb.26:
	ds_read2st64_b32 v[3:4], v1 offset1:6
	s_waitcnt lgkmcnt(0)
	v_add_f32_e32 v3, v4, v3
	ds_write_b32 v1, v3
.LBB375_27:
	s_or_b64 exec, exec, s[0:1]
	s_waitcnt lgkmcnt(0)
	s_barrier
	s_and_saveexec_b64 s[0:1], vcc
	s_cbranch_execz .LBB375_29
; %bb.28:
	ds_read2st64_b32 v[3:4], v1 offset1:3
	s_waitcnt lgkmcnt(0)
	v_add_f32_e32 v3, v4, v3
	ds_write_b32 v1, v3
.LBB375_29:
	s_or_b64 exec, exec, s[0:1]
	s_movk_i32 s0, 0x60
	v_cmp_gt_u32_e32 vcc, s0, v0
	s_waitcnt lgkmcnt(0)
	s_barrier
	s_and_saveexec_b64 s[0:1], vcc
	s_cbranch_execz .LBB375_31
; %bb.30:
	ds_read2_b32 v[3:4], v1 offset1:96
	s_waitcnt lgkmcnt(0)
	v_add_f32_e32 v3, v4, v3
	ds_write_b32 v1, v3
.LBB375_31:
	s_or_b64 exec, exec, s[0:1]
	v_cmp_gt_u32_e32 vcc, 48, v0
	s_waitcnt lgkmcnt(0)
	s_barrier
	s_and_saveexec_b64 s[0:1], vcc
	s_cbranch_execz .LBB375_33
; %bb.32:
	ds_read2_b32 v[3:4], v1 offset1:48
	s_waitcnt lgkmcnt(0)
	v_add_f32_e32 v3, v4, v3
	ds_write_b32 v1, v3
.LBB375_33:
	s_or_b64 exec, exec, s[0:1]
	v_cmp_gt_u32_e32 vcc, 24, v0
	s_waitcnt lgkmcnt(0)
	s_and_saveexec_b64 s[0:1], vcc
	s_cbranch_execz .LBB375_35
; %bb.34:
	ds_read2_b32 v[2:3], v1 offset1:24
	s_waitcnt lgkmcnt(0)
	v_add_f32_e32 v2, v2, v3
.LBB375_35:
	s_or_b64 exec, exec, s[0:1]
	v_mov_b32_e32 v3, v2
.LBB375_36:
	v_cmp_gt_u32_e32 vcc, 24, v0
	s_and_saveexec_b64 s[0:1], vcc
	s_cbranch_execz .LBB375_40
; %bb.37:
	v_cmp_eq_f32_e64 s[0:1], s12, 0
	s_and_b64 vcc, exec, s[0:1]
	v_mul_f32_e32 v0, s14, v3
	s_mul_i32 s2, s7, 0x60
	s_mul_hi_u32 s3, s6, 0x60
	s_mul_i32 s4, s6, 0x60
	s_cbranch_vccz .LBB375_41
; %bb.38:
	s_add_i32 s1, s3, s2
	s_add_u32 s0, s16, s4
	s_addc_u32 s1, s17, s1
	global_store_dword v1, v0, s[0:1]
	s_cbranch_execnz .LBB375_40
.LBB375_39:
	s_add_i32 s3, s3, s2
	s_add_u32 s0, s16, s4
	s_addc_u32 s1, s17, s3
	global_load_dword v2, v1, s[0:1]
	s_waitcnt vmcnt(0)
	v_fmac_f32_e32 v0, s12, v2
	global_store_dword v1, v0, s[0:1]
.LBB375_40:
	s_endpgm
.LBB375_41:
	s_branch .LBB375_39
	.section	.rodata,"a",@progbits
	.p2align	6, 0x0
	.amdhsa_kernel _ZN9rocsparseL20bsrxmvn_17_32_kernelILj24Efll18rocsparse_bfloat16S1_fEEvT2_20rocsparse_direction_NS_24const_host_device_scalarIT0_EES2_PKS2_PKT1_SB_S8_PKT3_PKT4_S6_PT5_21rocsparse_index_base_b
		.amdhsa_group_segment_fixed_size 2304
		.amdhsa_private_segment_fixed_size 0
		.amdhsa_kernarg_size 104
		.amdhsa_user_sgpr_count 6
		.amdhsa_user_sgpr_private_segment_buffer 1
		.amdhsa_user_sgpr_dispatch_ptr 0
		.amdhsa_user_sgpr_queue_ptr 0
		.amdhsa_user_sgpr_kernarg_segment_ptr 1
		.amdhsa_user_sgpr_dispatch_id 0
		.amdhsa_user_sgpr_flat_scratch_init 0
		.amdhsa_user_sgpr_private_segment_size 0
		.amdhsa_uses_dynamic_stack 0
		.amdhsa_system_sgpr_private_segment_wavefront_offset 0
		.amdhsa_system_sgpr_workgroup_id_x 1
		.amdhsa_system_sgpr_workgroup_id_y 0
		.amdhsa_system_sgpr_workgroup_id_z 0
		.amdhsa_system_sgpr_workgroup_info 0
		.amdhsa_system_vgpr_workitem_id 0
		.amdhsa_next_free_vgpr 25
		.amdhsa_next_free_sgpr 61
		.amdhsa_reserve_vcc 1
		.amdhsa_reserve_flat_scratch 0
		.amdhsa_float_round_mode_32 0
		.amdhsa_float_round_mode_16_64 0
		.amdhsa_float_denorm_mode_32 3
		.amdhsa_float_denorm_mode_16_64 3
		.amdhsa_dx10_clamp 1
		.amdhsa_ieee_mode 1
		.amdhsa_fp16_overflow 0
		.amdhsa_exception_fp_ieee_invalid_op 0
		.amdhsa_exception_fp_denorm_src 0
		.amdhsa_exception_fp_ieee_div_zero 0
		.amdhsa_exception_fp_ieee_overflow 0
		.amdhsa_exception_fp_ieee_underflow 0
		.amdhsa_exception_fp_ieee_inexact 0
		.amdhsa_exception_int_div_zero 0
	.end_amdhsa_kernel
	.section	.text._ZN9rocsparseL20bsrxmvn_17_32_kernelILj24Efll18rocsparse_bfloat16S1_fEEvT2_20rocsparse_direction_NS_24const_host_device_scalarIT0_EES2_PKS2_PKT1_SB_S8_PKT3_PKT4_S6_PT5_21rocsparse_index_base_b,"axG",@progbits,_ZN9rocsparseL20bsrxmvn_17_32_kernelILj24Efll18rocsparse_bfloat16S1_fEEvT2_20rocsparse_direction_NS_24const_host_device_scalarIT0_EES2_PKS2_PKT1_SB_S8_PKT3_PKT4_S6_PT5_21rocsparse_index_base_b,comdat
.Lfunc_end375:
	.size	_ZN9rocsparseL20bsrxmvn_17_32_kernelILj24Efll18rocsparse_bfloat16S1_fEEvT2_20rocsparse_direction_NS_24const_host_device_scalarIT0_EES2_PKS2_PKT1_SB_S8_PKT3_PKT4_S6_PT5_21rocsparse_index_base_b, .Lfunc_end375-_ZN9rocsparseL20bsrxmvn_17_32_kernelILj24Efll18rocsparse_bfloat16S1_fEEvT2_20rocsparse_direction_NS_24const_host_device_scalarIT0_EES2_PKS2_PKT1_SB_S8_PKT3_PKT4_S6_PT5_21rocsparse_index_base_b
                                        ; -- End function
	.set _ZN9rocsparseL20bsrxmvn_17_32_kernelILj24Efll18rocsparse_bfloat16S1_fEEvT2_20rocsparse_direction_NS_24const_host_device_scalarIT0_EES2_PKS2_PKT1_SB_S8_PKT3_PKT4_S6_PT5_21rocsparse_index_base_b.num_vgpr, 13
	.set _ZN9rocsparseL20bsrxmvn_17_32_kernelILj24Efll18rocsparse_bfloat16S1_fEEvT2_20rocsparse_direction_NS_24const_host_device_scalarIT0_EES2_PKS2_PKT1_SB_S8_PKT3_PKT4_S6_PT5_21rocsparse_index_base_b.num_agpr, 0
	.set _ZN9rocsparseL20bsrxmvn_17_32_kernelILj24Efll18rocsparse_bfloat16S1_fEEvT2_20rocsparse_direction_NS_24const_host_device_scalarIT0_EES2_PKS2_PKT1_SB_S8_PKT3_PKT4_S6_PT5_21rocsparse_index_base_b.numbered_sgpr, 26
	.set _ZN9rocsparseL20bsrxmvn_17_32_kernelILj24Efll18rocsparse_bfloat16S1_fEEvT2_20rocsparse_direction_NS_24const_host_device_scalarIT0_EES2_PKS2_PKT1_SB_S8_PKT3_PKT4_S6_PT5_21rocsparse_index_base_b.num_named_barrier, 0
	.set _ZN9rocsparseL20bsrxmvn_17_32_kernelILj24Efll18rocsparse_bfloat16S1_fEEvT2_20rocsparse_direction_NS_24const_host_device_scalarIT0_EES2_PKS2_PKT1_SB_S8_PKT3_PKT4_S6_PT5_21rocsparse_index_base_b.private_seg_size, 0
	.set _ZN9rocsparseL20bsrxmvn_17_32_kernelILj24Efll18rocsparse_bfloat16S1_fEEvT2_20rocsparse_direction_NS_24const_host_device_scalarIT0_EES2_PKS2_PKT1_SB_S8_PKT3_PKT4_S6_PT5_21rocsparse_index_base_b.uses_vcc, 1
	.set _ZN9rocsparseL20bsrxmvn_17_32_kernelILj24Efll18rocsparse_bfloat16S1_fEEvT2_20rocsparse_direction_NS_24const_host_device_scalarIT0_EES2_PKS2_PKT1_SB_S8_PKT3_PKT4_S6_PT5_21rocsparse_index_base_b.uses_flat_scratch, 0
	.set _ZN9rocsparseL20bsrxmvn_17_32_kernelILj24Efll18rocsparse_bfloat16S1_fEEvT2_20rocsparse_direction_NS_24const_host_device_scalarIT0_EES2_PKS2_PKT1_SB_S8_PKT3_PKT4_S6_PT5_21rocsparse_index_base_b.has_dyn_sized_stack, 0
	.set _ZN9rocsparseL20bsrxmvn_17_32_kernelILj24Efll18rocsparse_bfloat16S1_fEEvT2_20rocsparse_direction_NS_24const_host_device_scalarIT0_EES2_PKS2_PKT1_SB_S8_PKT3_PKT4_S6_PT5_21rocsparse_index_base_b.has_recursion, 0
	.set _ZN9rocsparseL20bsrxmvn_17_32_kernelILj24Efll18rocsparse_bfloat16S1_fEEvT2_20rocsparse_direction_NS_24const_host_device_scalarIT0_EES2_PKS2_PKT1_SB_S8_PKT3_PKT4_S6_PT5_21rocsparse_index_base_b.has_indirect_call, 0
	.section	.AMDGPU.csdata,"",@progbits
; Kernel info:
; codeLenInByte = 1304
; TotalNumSgprs: 30
; NumVgprs: 13
; ScratchSize: 0
; MemoryBound: 0
; FloatMode: 240
; IeeeMode: 1
; LDSByteSize: 2304 bytes/workgroup (compile time only)
; SGPRBlocks: 8
; VGPRBlocks: 6
; NumSGPRsForWavesPerEU: 65
; NumVGPRsForWavesPerEU: 25
; Occupancy: 9
; WaveLimiterHint : 1
; COMPUTE_PGM_RSRC2:SCRATCH_EN: 0
; COMPUTE_PGM_RSRC2:USER_SGPR: 6
; COMPUTE_PGM_RSRC2:TRAP_HANDLER: 0
; COMPUTE_PGM_RSRC2:TGID_X_EN: 1
; COMPUTE_PGM_RSRC2:TGID_Y_EN: 0
; COMPUTE_PGM_RSRC2:TGID_Z_EN: 0
; COMPUTE_PGM_RSRC2:TIDIG_COMP_CNT: 0
	.section	.text._ZN9rocsparseL20bsrxmvn_17_32_kernelILj25Efll18rocsparse_bfloat16S1_fEEvT2_20rocsparse_direction_NS_24const_host_device_scalarIT0_EES2_PKS2_PKT1_SB_S8_PKT3_PKT4_S6_PT5_21rocsparse_index_base_b,"axG",@progbits,_ZN9rocsparseL20bsrxmvn_17_32_kernelILj25Efll18rocsparse_bfloat16S1_fEEvT2_20rocsparse_direction_NS_24const_host_device_scalarIT0_EES2_PKS2_PKT1_SB_S8_PKT3_PKT4_S6_PT5_21rocsparse_index_base_b,comdat
	.globl	_ZN9rocsparseL20bsrxmvn_17_32_kernelILj25Efll18rocsparse_bfloat16S1_fEEvT2_20rocsparse_direction_NS_24const_host_device_scalarIT0_EES2_PKS2_PKT1_SB_S8_PKT3_PKT4_S6_PT5_21rocsparse_index_base_b ; -- Begin function _ZN9rocsparseL20bsrxmvn_17_32_kernelILj25Efll18rocsparse_bfloat16S1_fEEvT2_20rocsparse_direction_NS_24const_host_device_scalarIT0_EES2_PKS2_PKT1_SB_S8_PKT3_PKT4_S6_PT5_21rocsparse_index_base_b
	.p2align	8
	.type	_ZN9rocsparseL20bsrxmvn_17_32_kernelILj25Efll18rocsparse_bfloat16S1_fEEvT2_20rocsparse_direction_NS_24const_host_device_scalarIT0_EES2_PKS2_PKT1_SB_S8_PKT3_PKT4_S6_PT5_21rocsparse_index_base_b,@function
_ZN9rocsparseL20bsrxmvn_17_32_kernelILj25Efll18rocsparse_bfloat16S1_fEEvT2_20rocsparse_direction_NS_24const_host_device_scalarIT0_EES2_PKS2_PKT1_SB_S8_PKT3_PKT4_S6_PT5_21rocsparse_index_base_b: ; @_ZN9rocsparseL20bsrxmvn_17_32_kernelILj25Efll18rocsparse_bfloat16S1_fEEvT2_20rocsparse_direction_NS_24const_host_device_scalarIT0_EES2_PKS2_PKT1_SB_S8_PKT3_PKT4_S6_PT5_21rocsparse_index_base_b
; %bb.0:
	s_load_dwordx2 s[18:19], s[4:5], 0x60
	s_load_dwordx2 s[14:15], s[4:5], 0x10
	;; [unrolled: 1-line block ×3, first 2 shown]
	s_waitcnt lgkmcnt(0)
	s_bitcmp1_b32 s19, 0
	s_cselect_b64 s[2:3], -1, 0
	s_xor_b64 s[0:1], s[2:3], -1
	s_and_b64 vcc, exec, s[2:3]
	s_cbranch_vccnz .LBB376_2
; %bb.1:
	s_load_dword s14, s[14:15], 0x0
.LBB376_2:
	s_andn2_b64 vcc, exec, s[0:1]
	s_cbranch_vccnz .LBB376_4
; %bb.3:
	s_load_dword s12, s[12:13], 0x0
.LBB376_4:
	s_waitcnt lgkmcnt(0)
	v_cmp_neq_f32_e64 s[0:1], s14, 0
	v_cmp_neq_f32_e64 s[2:3], s12, 1.0
	s_or_b64 s[0:1], s[0:1], s[2:3]
	s_andn2_b64 vcc, exec, s[0:1]
	s_mov_b32 s7, 0
	s_cbranch_vccnz .LBB376_40
; %bb.5:
	s_load_dwordx4 s[0:3], s[4:5], 0x20
	s_load_dwordx2 s[8:9], s[4:5], 0x30
	s_waitcnt lgkmcnt(0)
	s_cmp_eq_u64 s[0:1], 0
	s_cbranch_scc1 .LBB376_7
; %bb.6:
	s_lshl_b64 s[6:7], s[6:7], 3
	s_add_u32 s0, s0, s6
	s_addc_u32 s1, s1, s7
	s_load_dwordx2 s[0:1], s[0:1], 0x0
	s_waitcnt lgkmcnt(0)
	s_sub_u32 s6, s0, s18
	s_subb_u32 s7, s1, 0
.LBB376_7:
	s_load_dword s10, s[4:5], 0x8
	s_load_dwordx2 s[16:17], s[4:5], 0x58
	v_mul_u32_u24_e32 v1, 0xa3e, v0
	v_mov_b32_e32 v2, 25
	v_mul_lo_u16_sdwa v2, v1, v2 dst_sel:DWORD dst_unused:UNUSED_PAD src0_sel:WORD_1 src1_sel:DWORD
	s_waitcnt lgkmcnt(0)
	s_cmp_eq_u32 s10, 1
	s_cselect_b64 s[0:1], -1, 0
	s_cmp_lg_u32 s10, 1
	s_cselect_b64 s[20:21], -1, 0
	s_lshl_b64 s[10:11], s[6:7], 3
	s_add_u32 s24, s2, s10
	s_addc_u32 s25, s3, s11
	s_add_u32 s2, s24, 8
	s_addc_u32 s3, s25, 0
	;; [unrolled: 2-line block ×3, first 2 shown]
	s_cmp_eq_u64 s[8:9], 0
	s_cselect_b32 s9, s3, s11
	s_cselect_b32 s8, s2, s10
	s_load_dwordx2 s[2:3], s[8:9], 0x0
	s_load_dwordx2 s[22:23], s[24:25], 0x0
	v_sub_u16_e32 v11, v0, v2
	s_waitcnt lgkmcnt(0)
	v_mov_b32_e32 v2, s2
	v_mov_b32_e32 v3, s3
	v_cmp_ge_i64_e32 vcc, s[22:23], v[2:3]
	v_mov_b32_e32 v2, 0
	s_cbranch_vccnz .LBB376_12
; %bb.8:
	s_load_dwordx4 s[8:11], s[4:5], 0x38
	s_load_dwordx2 s[24:25], s[4:5], 0x48
	s_mov_b32 s4, 0xffff
	s_movk_i32 s5, 0x271
	v_and_b32_sdwa v1, s4, v1 dst_sel:DWORD dst_unused:UNUSED_PAD src0_sel:DWORD src1_sel:WORD_1
	s_sub_u32 s2, s2, s18
	v_subrev_u32_e32 v2, 25, v1
	v_cmp_gt_u32_e32 vcc, s5, v0
	s_subb_u32 s3, s3, 0
	v_cndmask_b32_e32 v1, v2, v1, vcc
	s_sub_u32 s4, s22, s18
	v_cndmask_b32_e64 v1, v11, v1, s[0:1]
	v_mov_b32_e32 v2, 0
	s_subb_u32 s5, s23, 0
	v_lshlrev_b64 v[3:4], 1, v[1:2]
	s_mul_i32 s0, s5, 0x4e2
	s_mul_hi_u32 s1, s4, 0x4e2
	s_add_i32 s1, s1, s0
	s_mul_i32 s0, s4, 0x4e2
	s_waitcnt lgkmcnt(0)
	v_mov_b32_e32 v1, s25
	v_add_co_u32_e32 v3, vcc, s24, v3
	s_add_u32 s0, s10, s0
	v_addc_co_u32_e32 v4, vcc, v1, v4, vcc
	s_addc_u32 s1, s11, s1
	v_lshlrev_b32_e32 v1, 1, v0
	v_mov_b32_e32 v6, s1
	v_add_co_u32_e32 v5, vcc, s0, v1
	v_addc_co_u32_e32 v6, vcc, 0, v6, vcc
	s_movk_i32 s0, 0x270
	v_cmp_lt_u32_e32 vcc, s0, v0
	v_cndmask_b32_e64 v1, 0, 1, vcc
	v_mov_b32_e32 v7, s23
	v_add_co_u32_e32 v8, vcc, s22, v1
	v_addc_co_u32_e32 v9, vcc, 0, v7, vcc
	v_subrev_co_u32_e32 v7, vcc, s18, v8
	v_subbrev_co_u32_e32 v8, vcc, 0, v9, vcc
	v_lshlrev_b64 v[7:8], 3, v[7:8]
	v_mov_b32_e32 v9, s9
	v_add_co_u32_e32 v7, vcc, s8, v7
	v_addc_co_u32_e32 v8, vcc, v9, v8, vcc
	v_mov_b32_e32 v10, s3
	v_mov_b32_e32 v9, s2
	s_branch .LBB376_10
.LBB376_9:                              ;   in Loop: Header=BB376_10 Depth=1
	s_or_b64 exec, exec, s[0:1]
	s_add_u32 s4, s4, 1
	s_addc_u32 s5, s5, 0
	v_cmp_lt_i64_e32 vcc, s[4:5], v[9:10]
	v_add_co_u32_e64 v7, s[0:1], 8, v7
	v_addc_co_u32_e64 v8, s[0:1], 0, v8, s[0:1]
	s_cbranch_vccz .LBB376_12
.LBB376_10:                             ; =>This Inner Loop Header: Depth=1
	v_mov_b32_e32 v13, s5
	v_add_co_u32_e32 v12, vcc, s4, v1
	v_addc_co_u32_e32 v13, vcc, 0, v13, vcc
	v_cmp_gt_i64_e32 vcc, s[2:3], v[12:13]
	s_and_saveexec_b64 s[0:1], vcc
	s_cbranch_execz .LBB376_9
; %bb.11:                               ;   in Loop: Header=BB376_10 Depth=1
	global_load_dwordx2 v[12:13], v[7:8], off
	s_waitcnt vmcnt(0)
	v_subrev_co_u32_e32 v12, vcc, s18, v12
	v_subbrev_co_u32_e32 v14, vcc, 0, v13, vcc
	v_mad_u64_u32 v[12:13], s[8:9], v12, 50, v[3:4]
	v_mad_u64_u32 v[13:14], s[8:9], v14, 50, v[13:14]
	global_load_ushort v14, v[5:6], off
	s_nop 0
	global_load_ushort v12, v[12:13], off
	v_add_co_u32_e32 v5, vcc, 0x4e2, v5
	v_addc_co_u32_e32 v6, vcc, 0, v6, vcc
	s_waitcnt vmcnt(1)
	v_lshlrev_b32_e32 v13, 16, v14
	s_waitcnt vmcnt(0)
	v_lshlrev_b32_e32 v12, 16, v12
	v_fmac_f32_e32 v2, v13, v12
	s_branch .LBB376_9
.LBB376_12:
	v_lshlrev_b32_e32 v1, 2, v0
	s_and_b64 vcc, exec, s[20:21]
	ds_write_b32 v1, v2
	s_waitcnt lgkmcnt(0)
	s_barrier
	s_cbranch_vccz .LBB376_24
; %bb.13:
	v_cmp_gt_u16_e32 vcc, 9, v11
	s_and_saveexec_b64 s[0:1], vcc
	s_cbranch_execz .LBB376_15
; %bb.14:
	ds_read2_b32 v[3:4], v1 offset1:16
	s_waitcnt lgkmcnt(0)
	v_add_f32_e32 v3, v4, v3
	ds_write_b32 v1, v3
.LBB376_15:
	s_or_b64 exec, exec, s[0:1]
	v_cmp_gt_u16_e32 vcc, 8, v11
	s_waitcnt lgkmcnt(0)
	s_barrier
	s_and_saveexec_b64 s[0:1], vcc
	s_cbranch_execz .LBB376_17
; %bb.16:
	ds_read2_b32 v[3:4], v1 offset1:8
	s_waitcnt lgkmcnt(0)
	v_add_f32_e32 v3, v4, v3
	ds_write_b32 v1, v3
.LBB376_17:
	s_or_b64 exec, exec, s[0:1]
	v_cmp_gt_u16_e32 vcc, 4, v11
	s_waitcnt lgkmcnt(0)
	s_barrier
	;; [unrolled: 12-line block ×3, first 2 shown]
	s_and_saveexec_b64 s[0:1], vcc
	s_cbranch_execz .LBB376_21
; %bb.20:
	ds_read2_b32 v[3:4], v1 offset1:2
	s_waitcnt lgkmcnt(0)
	v_add_f32_e32 v3, v4, v3
	ds_write_b32 v1, v3
.LBB376_21:
	s_or_b64 exec, exec, s[0:1]
	v_cmp_gt_u32_e32 vcc, 25, v0
	v_mov_b32_e32 v3, v2
	s_waitcnt lgkmcnt(0)
	s_barrier
	s_and_saveexec_b64 s[0:1], vcc
	s_cbranch_execz .LBB376_23
; %bb.22:
	s_movk_i32 s2, 0x60
	v_mad_u32_u24 v3, v0, s2, v1
	ds_read2_b32 v[3:4], v3 offset1:1
	s_waitcnt lgkmcnt(0)
	v_add_f32_e32 v3, v3, v4
.LBB376_23:
	s_or_b64 exec, exec, s[0:1]
	s_branch .LBB376_36
.LBB376_24:
                                        ; implicit-def: $vgpr3
	s_cbranch_execz .LBB376_36
; %bb.25:
	s_movk_i32 s0, 0xe1
	v_cmp_gt_u32_e32 vcc, s0, v0
	s_and_saveexec_b64 s[0:1], vcc
	s_cbranch_execz .LBB376_27
; %bb.26:
	ds_read_b32 v3, v1 offset:1600
	ds_read_b32 v4, v1
	s_waitcnt lgkmcnt(0)
	v_add_f32_e32 v3, v3, v4
	ds_write_b32 v1, v3
.LBB376_27:
	s_or_b64 exec, exec, s[0:1]
	s_movk_i32 s0, 0xc8
	v_cmp_gt_u32_e32 vcc, s0, v0
	s_waitcnt lgkmcnt(0)
	s_barrier
	s_and_saveexec_b64 s[0:1], vcc
	s_cbranch_execz .LBB376_29
; %bb.28:
	ds_read2_b32 v[3:4], v1 offset1:200
	s_waitcnt lgkmcnt(0)
	v_add_f32_e32 v3, v4, v3
	ds_write_b32 v1, v3
.LBB376_29:
	s_or_b64 exec, exec, s[0:1]
	s_movk_i32 s0, 0x64
	v_cmp_gt_u32_e32 vcc, s0, v0
	s_waitcnt lgkmcnt(0)
	s_barrier
	s_and_saveexec_b64 s[0:1], vcc
	s_cbranch_execz .LBB376_31
; %bb.30:
	ds_read2_b32 v[3:4], v1 offset1:100
	s_waitcnt lgkmcnt(0)
	v_add_f32_e32 v3, v4, v3
	ds_write_b32 v1, v3
.LBB376_31:
	s_or_b64 exec, exec, s[0:1]
	v_cmp_gt_u32_e32 vcc, 50, v0
	s_waitcnt lgkmcnt(0)
	s_barrier
	s_and_saveexec_b64 s[0:1], vcc
	s_cbranch_execz .LBB376_33
; %bb.32:
	ds_read2_b32 v[3:4], v1 offset1:50
	s_waitcnt lgkmcnt(0)
	v_add_f32_e32 v3, v4, v3
	ds_write_b32 v1, v3
.LBB376_33:
	s_or_b64 exec, exec, s[0:1]
	v_cmp_gt_u32_e32 vcc, 25, v0
	s_waitcnt lgkmcnt(0)
	s_and_saveexec_b64 s[0:1], vcc
	s_cbranch_execz .LBB376_35
; %bb.34:
	ds_read2_b32 v[2:3], v1 offset1:25
	s_waitcnt lgkmcnt(0)
	v_add_f32_e32 v2, v2, v3
.LBB376_35:
	s_or_b64 exec, exec, s[0:1]
	v_mov_b32_e32 v3, v2
.LBB376_36:
	v_cmp_gt_u32_e32 vcc, 25, v0
	s_and_saveexec_b64 s[0:1], vcc
	s_cbranch_execz .LBB376_40
; %bb.37:
	v_cmp_eq_f32_e64 s[0:1], s12, 0
	s_and_b64 vcc, exec, s[0:1]
	v_mul_f32_e32 v0, s14, v3
	s_mul_i32 s2, s7, 0x64
	s_mul_hi_u32 s3, s6, 0x64
	s_mul_i32 s4, s6, 0x64
	s_cbranch_vccz .LBB376_41
; %bb.38:
	s_add_i32 s1, s3, s2
	s_add_u32 s0, s16, s4
	s_addc_u32 s1, s17, s1
	global_store_dword v1, v0, s[0:1]
	s_cbranch_execnz .LBB376_40
.LBB376_39:
	s_add_i32 s3, s3, s2
	s_add_u32 s0, s16, s4
	s_addc_u32 s1, s17, s3
	global_load_dword v2, v1, s[0:1]
	s_waitcnt vmcnt(0)
	v_fmac_f32_e32 v0, s12, v2
	global_store_dword v1, v0, s[0:1]
.LBB376_40:
	s_endpgm
.LBB376_41:
	s_branch .LBB376_39
	.section	.rodata,"a",@progbits
	.p2align	6, 0x0
	.amdhsa_kernel _ZN9rocsparseL20bsrxmvn_17_32_kernelILj25Efll18rocsparse_bfloat16S1_fEEvT2_20rocsparse_direction_NS_24const_host_device_scalarIT0_EES2_PKS2_PKT1_SB_S8_PKT3_PKT4_S6_PT5_21rocsparse_index_base_b
		.amdhsa_group_segment_fixed_size 2500
		.amdhsa_private_segment_fixed_size 0
		.amdhsa_kernarg_size 104
		.amdhsa_user_sgpr_count 6
		.amdhsa_user_sgpr_private_segment_buffer 1
		.amdhsa_user_sgpr_dispatch_ptr 0
		.amdhsa_user_sgpr_queue_ptr 0
		.amdhsa_user_sgpr_kernarg_segment_ptr 1
		.amdhsa_user_sgpr_dispatch_id 0
		.amdhsa_user_sgpr_flat_scratch_init 0
		.amdhsa_user_sgpr_private_segment_size 0
		.amdhsa_uses_dynamic_stack 0
		.amdhsa_system_sgpr_private_segment_wavefront_offset 0
		.amdhsa_system_sgpr_workgroup_id_x 1
		.amdhsa_system_sgpr_workgroup_id_y 0
		.amdhsa_system_sgpr_workgroup_id_z 0
		.amdhsa_system_sgpr_workgroup_info 0
		.amdhsa_system_vgpr_workitem_id 0
		.amdhsa_next_free_vgpr 15
		.amdhsa_next_free_sgpr 26
		.amdhsa_reserve_vcc 1
		.amdhsa_reserve_flat_scratch 0
		.amdhsa_float_round_mode_32 0
		.amdhsa_float_round_mode_16_64 0
		.amdhsa_float_denorm_mode_32 3
		.amdhsa_float_denorm_mode_16_64 3
		.amdhsa_dx10_clamp 1
		.amdhsa_ieee_mode 1
		.amdhsa_fp16_overflow 0
		.amdhsa_exception_fp_ieee_invalid_op 0
		.amdhsa_exception_fp_denorm_src 0
		.amdhsa_exception_fp_ieee_div_zero 0
		.amdhsa_exception_fp_ieee_overflow 0
		.amdhsa_exception_fp_ieee_underflow 0
		.amdhsa_exception_fp_ieee_inexact 0
		.amdhsa_exception_int_div_zero 0
	.end_amdhsa_kernel
	.section	.text._ZN9rocsparseL20bsrxmvn_17_32_kernelILj25Efll18rocsparse_bfloat16S1_fEEvT2_20rocsparse_direction_NS_24const_host_device_scalarIT0_EES2_PKS2_PKT1_SB_S8_PKT3_PKT4_S6_PT5_21rocsparse_index_base_b,"axG",@progbits,_ZN9rocsparseL20bsrxmvn_17_32_kernelILj25Efll18rocsparse_bfloat16S1_fEEvT2_20rocsparse_direction_NS_24const_host_device_scalarIT0_EES2_PKS2_PKT1_SB_S8_PKT3_PKT4_S6_PT5_21rocsparse_index_base_b,comdat
.Lfunc_end376:
	.size	_ZN9rocsparseL20bsrxmvn_17_32_kernelILj25Efll18rocsparse_bfloat16S1_fEEvT2_20rocsparse_direction_NS_24const_host_device_scalarIT0_EES2_PKS2_PKT1_SB_S8_PKT3_PKT4_S6_PT5_21rocsparse_index_base_b, .Lfunc_end376-_ZN9rocsparseL20bsrxmvn_17_32_kernelILj25Efll18rocsparse_bfloat16S1_fEEvT2_20rocsparse_direction_NS_24const_host_device_scalarIT0_EES2_PKS2_PKT1_SB_S8_PKT3_PKT4_S6_PT5_21rocsparse_index_base_b
                                        ; -- End function
	.set _ZN9rocsparseL20bsrxmvn_17_32_kernelILj25Efll18rocsparse_bfloat16S1_fEEvT2_20rocsparse_direction_NS_24const_host_device_scalarIT0_EES2_PKS2_PKT1_SB_S8_PKT3_PKT4_S6_PT5_21rocsparse_index_base_b.num_vgpr, 15
	.set _ZN9rocsparseL20bsrxmvn_17_32_kernelILj25Efll18rocsparse_bfloat16S1_fEEvT2_20rocsparse_direction_NS_24const_host_device_scalarIT0_EES2_PKS2_PKT1_SB_S8_PKT3_PKT4_S6_PT5_21rocsparse_index_base_b.num_agpr, 0
	.set _ZN9rocsparseL20bsrxmvn_17_32_kernelILj25Efll18rocsparse_bfloat16S1_fEEvT2_20rocsparse_direction_NS_24const_host_device_scalarIT0_EES2_PKS2_PKT1_SB_S8_PKT3_PKT4_S6_PT5_21rocsparse_index_base_b.numbered_sgpr, 26
	.set _ZN9rocsparseL20bsrxmvn_17_32_kernelILj25Efll18rocsparse_bfloat16S1_fEEvT2_20rocsparse_direction_NS_24const_host_device_scalarIT0_EES2_PKS2_PKT1_SB_S8_PKT3_PKT4_S6_PT5_21rocsparse_index_base_b.num_named_barrier, 0
	.set _ZN9rocsparseL20bsrxmvn_17_32_kernelILj25Efll18rocsparse_bfloat16S1_fEEvT2_20rocsparse_direction_NS_24const_host_device_scalarIT0_EES2_PKS2_PKT1_SB_S8_PKT3_PKT4_S6_PT5_21rocsparse_index_base_b.private_seg_size, 0
	.set _ZN9rocsparseL20bsrxmvn_17_32_kernelILj25Efll18rocsparse_bfloat16S1_fEEvT2_20rocsparse_direction_NS_24const_host_device_scalarIT0_EES2_PKS2_PKT1_SB_S8_PKT3_PKT4_S6_PT5_21rocsparse_index_base_b.uses_vcc, 1
	.set _ZN9rocsparseL20bsrxmvn_17_32_kernelILj25Efll18rocsparse_bfloat16S1_fEEvT2_20rocsparse_direction_NS_24const_host_device_scalarIT0_EES2_PKS2_PKT1_SB_S8_PKT3_PKT4_S6_PT5_21rocsparse_index_base_b.uses_flat_scratch, 0
	.set _ZN9rocsparseL20bsrxmvn_17_32_kernelILj25Efll18rocsparse_bfloat16S1_fEEvT2_20rocsparse_direction_NS_24const_host_device_scalarIT0_EES2_PKS2_PKT1_SB_S8_PKT3_PKT4_S6_PT5_21rocsparse_index_base_b.has_dyn_sized_stack, 0
	.set _ZN9rocsparseL20bsrxmvn_17_32_kernelILj25Efll18rocsparse_bfloat16S1_fEEvT2_20rocsparse_direction_NS_24const_host_device_scalarIT0_EES2_PKS2_PKT1_SB_S8_PKT3_PKT4_S6_PT5_21rocsparse_index_base_b.has_recursion, 0
	.set _ZN9rocsparseL20bsrxmvn_17_32_kernelILj25Efll18rocsparse_bfloat16S1_fEEvT2_20rocsparse_direction_NS_24const_host_device_scalarIT0_EES2_PKS2_PKT1_SB_S8_PKT3_PKT4_S6_PT5_21rocsparse_index_base_b.has_indirect_call, 0
	.section	.AMDGPU.csdata,"",@progbits
; Kernel info:
; codeLenInByte = 1324
; TotalNumSgprs: 30
; NumVgprs: 15
; ScratchSize: 0
; MemoryBound: 0
; FloatMode: 240
; IeeeMode: 1
; LDSByteSize: 2500 bytes/workgroup (compile time only)
; SGPRBlocks: 3
; VGPRBlocks: 3
; NumSGPRsForWavesPerEU: 30
; NumVGPRsForWavesPerEU: 15
; Occupancy: 10
; WaveLimiterHint : 1
; COMPUTE_PGM_RSRC2:SCRATCH_EN: 0
; COMPUTE_PGM_RSRC2:USER_SGPR: 6
; COMPUTE_PGM_RSRC2:TRAP_HANDLER: 0
; COMPUTE_PGM_RSRC2:TGID_X_EN: 1
; COMPUTE_PGM_RSRC2:TGID_Y_EN: 0
; COMPUTE_PGM_RSRC2:TGID_Z_EN: 0
; COMPUTE_PGM_RSRC2:TIDIG_COMP_CNT: 0
	.section	.text._ZN9rocsparseL20bsrxmvn_17_32_kernelILj26Efll18rocsparse_bfloat16S1_fEEvT2_20rocsparse_direction_NS_24const_host_device_scalarIT0_EES2_PKS2_PKT1_SB_S8_PKT3_PKT4_S6_PT5_21rocsparse_index_base_b,"axG",@progbits,_ZN9rocsparseL20bsrxmvn_17_32_kernelILj26Efll18rocsparse_bfloat16S1_fEEvT2_20rocsparse_direction_NS_24const_host_device_scalarIT0_EES2_PKS2_PKT1_SB_S8_PKT3_PKT4_S6_PT5_21rocsparse_index_base_b,comdat
	.globl	_ZN9rocsparseL20bsrxmvn_17_32_kernelILj26Efll18rocsparse_bfloat16S1_fEEvT2_20rocsparse_direction_NS_24const_host_device_scalarIT0_EES2_PKS2_PKT1_SB_S8_PKT3_PKT4_S6_PT5_21rocsparse_index_base_b ; -- Begin function _ZN9rocsparseL20bsrxmvn_17_32_kernelILj26Efll18rocsparse_bfloat16S1_fEEvT2_20rocsparse_direction_NS_24const_host_device_scalarIT0_EES2_PKS2_PKT1_SB_S8_PKT3_PKT4_S6_PT5_21rocsparse_index_base_b
	.p2align	8
	.type	_ZN9rocsparseL20bsrxmvn_17_32_kernelILj26Efll18rocsparse_bfloat16S1_fEEvT2_20rocsparse_direction_NS_24const_host_device_scalarIT0_EES2_PKS2_PKT1_SB_S8_PKT3_PKT4_S6_PT5_21rocsparse_index_base_b,@function
_ZN9rocsparseL20bsrxmvn_17_32_kernelILj26Efll18rocsparse_bfloat16S1_fEEvT2_20rocsparse_direction_NS_24const_host_device_scalarIT0_EES2_PKS2_PKT1_SB_S8_PKT3_PKT4_S6_PT5_21rocsparse_index_base_b: ; @_ZN9rocsparseL20bsrxmvn_17_32_kernelILj26Efll18rocsparse_bfloat16S1_fEEvT2_20rocsparse_direction_NS_24const_host_device_scalarIT0_EES2_PKS2_PKT1_SB_S8_PKT3_PKT4_S6_PT5_21rocsparse_index_base_b
; %bb.0:
	s_load_dwordx2 s[18:19], s[4:5], 0x60
	s_load_dwordx2 s[14:15], s[4:5], 0x10
	;; [unrolled: 1-line block ×3, first 2 shown]
	s_waitcnt lgkmcnt(0)
	s_bitcmp1_b32 s19, 0
	s_cselect_b64 s[2:3], -1, 0
	s_xor_b64 s[0:1], s[2:3], -1
	s_and_b64 vcc, exec, s[2:3]
	s_cbranch_vccnz .LBB377_2
; %bb.1:
	s_load_dword s14, s[14:15], 0x0
.LBB377_2:
	s_andn2_b64 vcc, exec, s[0:1]
	s_cbranch_vccnz .LBB377_4
; %bb.3:
	s_load_dword s12, s[12:13], 0x0
.LBB377_4:
	s_waitcnt lgkmcnt(0)
	v_cmp_neq_f32_e64 s[0:1], s14, 0
	v_cmp_neq_f32_e64 s[2:3], s12, 1.0
	s_or_b64 s[0:1], s[0:1], s[2:3]
	s_andn2_b64 vcc, exec, s[0:1]
	s_mov_b32 s7, 0
	s_cbranch_vccnz .LBB377_40
; %bb.5:
	s_load_dwordx4 s[0:3], s[4:5], 0x20
	s_load_dwordx2 s[8:9], s[4:5], 0x30
	s_waitcnt lgkmcnt(0)
	s_cmp_eq_u64 s[0:1], 0
	s_cbranch_scc1 .LBB377_7
; %bb.6:
	s_lshl_b64 s[6:7], s[6:7], 3
	s_add_u32 s0, s0, s6
	s_addc_u32 s1, s1, s7
	s_load_dwordx2 s[0:1], s[0:1], 0x0
	s_waitcnt lgkmcnt(0)
	s_sub_u32 s6, s0, s18
	s_subb_u32 s7, s1, 0
.LBB377_7:
	s_load_dword s10, s[4:5], 0x8
	s_load_dwordx2 s[16:17], s[4:5], 0x58
	v_mul_u32_u24_e32 v1, 0x9d9, v0
	v_mov_b32_e32 v2, 26
	v_mul_lo_u16_sdwa v2, v1, v2 dst_sel:DWORD dst_unused:UNUSED_PAD src0_sel:WORD_1 src1_sel:DWORD
	s_waitcnt lgkmcnt(0)
	s_cmp_eq_u32 s10, 1
	s_cselect_b64 s[0:1], -1, 0
	s_cmp_lg_u32 s10, 1
	s_cselect_b64 s[20:21], -1, 0
	s_lshl_b64 s[10:11], s[6:7], 3
	s_add_u32 s24, s2, s10
	s_addc_u32 s25, s3, s11
	s_add_u32 s2, s24, 8
	s_addc_u32 s3, s25, 0
	;; [unrolled: 2-line block ×3, first 2 shown]
	s_cmp_eq_u64 s[8:9], 0
	s_cselect_b32 s9, s3, s11
	s_cselect_b32 s8, s2, s10
	s_load_dwordx2 s[2:3], s[8:9], 0x0
	s_load_dwordx2 s[22:23], s[24:25], 0x0
	v_sub_u16_e32 v11, v0, v2
	s_waitcnt lgkmcnt(0)
	v_mov_b32_e32 v2, s2
	v_mov_b32_e32 v3, s3
	v_cmp_ge_i64_e32 vcc, s[22:23], v[2:3]
	v_mov_b32_e32 v2, 0
	s_cbranch_vccnz .LBB377_12
; %bb.8:
	s_load_dwordx4 s[8:11], s[4:5], 0x38
	s_load_dwordx2 s[24:25], s[4:5], 0x48
	s_mov_b32 s4, 0xffff
	s_movk_i32 s5, 0x2a4
	v_and_b32_sdwa v1, s4, v1 dst_sel:DWORD dst_unused:UNUSED_PAD src0_sel:DWORD src1_sel:WORD_1
	s_sub_u32 s2, s2, s18
	v_subrev_u32_e32 v2, 26, v1
	v_cmp_gt_u32_e32 vcc, s5, v0
	s_subb_u32 s3, s3, 0
	v_cndmask_b32_e32 v1, v2, v1, vcc
	s_sub_u32 s4, s22, s18
	v_cndmask_b32_e64 v1, v11, v1, s[0:1]
	v_mov_b32_e32 v2, 0
	s_subb_u32 s5, s23, 0
	v_lshlrev_b64 v[3:4], 1, v[1:2]
	s_mul_i32 s0, s5, 0x548
	s_mul_hi_u32 s1, s4, 0x548
	s_add_i32 s1, s1, s0
	s_mul_i32 s0, s4, 0x548
	s_waitcnt lgkmcnt(0)
	v_mov_b32_e32 v1, s25
	v_add_co_u32_e32 v3, vcc, s24, v3
	s_add_u32 s0, s10, s0
	v_addc_co_u32_e32 v4, vcc, v1, v4, vcc
	s_addc_u32 s1, s11, s1
	v_lshlrev_b32_e32 v1, 1, v0
	v_mov_b32_e32 v6, s1
	v_add_co_u32_e32 v5, vcc, s0, v1
	v_addc_co_u32_e32 v6, vcc, 0, v6, vcc
	s_movk_i32 s0, 0x2a3
	v_cmp_lt_u32_e32 vcc, s0, v0
	v_cndmask_b32_e64 v1, 0, 1, vcc
	v_mov_b32_e32 v7, s23
	v_add_co_u32_e32 v8, vcc, s22, v1
	v_addc_co_u32_e32 v9, vcc, 0, v7, vcc
	v_subrev_co_u32_e32 v7, vcc, s18, v8
	v_subbrev_co_u32_e32 v8, vcc, 0, v9, vcc
	v_lshlrev_b64 v[7:8], 3, v[7:8]
	v_mov_b32_e32 v9, s9
	v_add_co_u32_e32 v7, vcc, s8, v7
	v_addc_co_u32_e32 v8, vcc, v9, v8, vcc
	v_mov_b32_e32 v10, s3
	v_mov_b32_e32 v9, s2
	s_branch .LBB377_10
.LBB377_9:                              ;   in Loop: Header=BB377_10 Depth=1
	s_or_b64 exec, exec, s[0:1]
	s_add_u32 s4, s4, 1
	s_addc_u32 s5, s5, 0
	v_cmp_lt_i64_e32 vcc, s[4:5], v[9:10]
	v_add_co_u32_e64 v7, s[0:1], 8, v7
	v_addc_co_u32_e64 v8, s[0:1], 0, v8, s[0:1]
	s_cbranch_vccz .LBB377_12
.LBB377_10:                             ; =>This Inner Loop Header: Depth=1
	v_mov_b32_e32 v13, s5
	v_add_co_u32_e32 v12, vcc, s4, v1
	v_addc_co_u32_e32 v13, vcc, 0, v13, vcc
	v_cmp_gt_i64_e32 vcc, s[2:3], v[12:13]
	s_and_saveexec_b64 s[0:1], vcc
	s_cbranch_execz .LBB377_9
; %bb.11:                               ;   in Loop: Header=BB377_10 Depth=1
	global_load_dwordx2 v[12:13], v[7:8], off
	s_waitcnt vmcnt(0)
	v_subrev_co_u32_e32 v12, vcc, s18, v12
	v_subbrev_co_u32_e32 v14, vcc, 0, v13, vcc
	v_mad_u64_u32 v[12:13], s[8:9], v12, 52, v[3:4]
	v_mad_u64_u32 v[13:14], s[8:9], v14, 52, v[13:14]
	global_load_ushort v14, v[5:6], off
	s_nop 0
	global_load_ushort v12, v[12:13], off
	v_add_co_u32_e32 v5, vcc, 0x548, v5
	v_addc_co_u32_e32 v6, vcc, 0, v6, vcc
	s_waitcnt vmcnt(1)
	v_lshlrev_b32_e32 v13, 16, v14
	s_waitcnt vmcnt(0)
	v_lshlrev_b32_e32 v12, 16, v12
	v_fmac_f32_e32 v2, v13, v12
	s_branch .LBB377_9
.LBB377_12:
	v_lshlrev_b32_e32 v1, 2, v0
	s_and_b64 vcc, exec, s[20:21]
	ds_write_b32 v1, v2
	s_waitcnt lgkmcnt(0)
	s_barrier
	s_cbranch_vccz .LBB377_24
; %bb.13:
	v_cmp_gt_u16_e32 vcc, 10, v11
	s_and_saveexec_b64 s[0:1], vcc
	s_cbranch_execz .LBB377_15
; %bb.14:
	ds_read2_b32 v[3:4], v1 offset1:16
	s_waitcnt lgkmcnt(0)
	v_add_f32_e32 v3, v4, v3
	ds_write_b32 v1, v3
.LBB377_15:
	s_or_b64 exec, exec, s[0:1]
	v_cmp_gt_u16_e32 vcc, 8, v11
	s_waitcnt lgkmcnt(0)
	s_barrier
	s_and_saveexec_b64 s[0:1], vcc
	s_cbranch_execz .LBB377_17
; %bb.16:
	ds_read2_b32 v[3:4], v1 offset1:8
	s_waitcnt lgkmcnt(0)
	v_add_f32_e32 v3, v4, v3
	ds_write_b32 v1, v3
.LBB377_17:
	s_or_b64 exec, exec, s[0:1]
	v_cmp_gt_u16_e32 vcc, 4, v11
	s_waitcnt lgkmcnt(0)
	s_barrier
	;; [unrolled: 12-line block ×3, first 2 shown]
	s_and_saveexec_b64 s[0:1], vcc
	s_cbranch_execz .LBB377_21
; %bb.20:
	ds_read2_b32 v[3:4], v1 offset1:2
	s_waitcnt lgkmcnt(0)
	v_add_f32_e32 v3, v4, v3
	ds_write_b32 v1, v3
.LBB377_21:
	s_or_b64 exec, exec, s[0:1]
	v_cmp_gt_u32_e32 vcc, 26, v0
	v_mov_b32_e32 v3, v2
	s_waitcnt lgkmcnt(0)
	s_barrier
	s_and_saveexec_b64 s[0:1], vcc
	s_cbranch_execz .LBB377_23
; %bb.22:
	s_movk_i32 s2, 0x64
	v_mad_u32_u24 v3, v0, s2, v1
	ds_read_b64 v[3:4], v3
	s_waitcnt lgkmcnt(0)
	v_add_f32_e32 v3, v3, v4
.LBB377_23:
	s_or_b64 exec, exec, s[0:1]
	s_branch .LBB377_36
.LBB377_24:
                                        ; implicit-def: $vgpr3
	s_cbranch_execz .LBB377_36
; %bb.25:
	s_movk_i32 s0, 0x104
	v_cmp_gt_u32_e32 vcc, s0, v0
	s_and_saveexec_b64 s[0:1], vcc
	s_cbranch_execz .LBB377_27
; %bb.26:
	ds_read_b32 v3, v1 offset:1664
	ds_read_b32 v4, v1
	s_waitcnt lgkmcnt(0)
	v_add_f32_e32 v3, v3, v4
	ds_write_b32 v1, v3
.LBB377_27:
	s_or_b64 exec, exec, s[0:1]
	s_movk_i32 s0, 0xd0
	v_cmp_gt_u32_e32 vcc, s0, v0
	s_waitcnt lgkmcnt(0)
	s_barrier
	s_and_saveexec_b64 s[0:1], vcc
	s_cbranch_execz .LBB377_29
; %bb.28:
	ds_read2_b32 v[3:4], v1 offset1:208
	s_waitcnt lgkmcnt(0)
	v_add_f32_e32 v3, v4, v3
	ds_write_b32 v1, v3
.LBB377_29:
	s_or_b64 exec, exec, s[0:1]
	s_movk_i32 s0, 0x68
	v_cmp_gt_u32_e32 vcc, s0, v0
	s_waitcnt lgkmcnt(0)
	s_barrier
	s_and_saveexec_b64 s[0:1], vcc
	s_cbranch_execz .LBB377_31
; %bb.30:
	ds_read2_b32 v[3:4], v1 offset1:104
	s_waitcnt lgkmcnt(0)
	v_add_f32_e32 v3, v4, v3
	ds_write_b32 v1, v3
.LBB377_31:
	s_or_b64 exec, exec, s[0:1]
	v_cmp_gt_u32_e32 vcc, 52, v0
	s_waitcnt lgkmcnt(0)
	s_barrier
	s_and_saveexec_b64 s[0:1], vcc
	s_cbranch_execz .LBB377_33
; %bb.32:
	ds_read2_b32 v[3:4], v1 offset1:52
	s_waitcnt lgkmcnt(0)
	v_add_f32_e32 v3, v4, v3
	ds_write_b32 v1, v3
.LBB377_33:
	s_or_b64 exec, exec, s[0:1]
	v_cmp_gt_u32_e32 vcc, 26, v0
	s_waitcnt lgkmcnt(0)
	s_and_saveexec_b64 s[0:1], vcc
	s_cbranch_execz .LBB377_35
; %bb.34:
	ds_read2_b32 v[2:3], v1 offset1:26
	s_waitcnt lgkmcnt(0)
	v_add_f32_e32 v2, v2, v3
.LBB377_35:
	s_or_b64 exec, exec, s[0:1]
	v_mov_b32_e32 v3, v2
.LBB377_36:
	v_cmp_gt_u32_e32 vcc, 26, v0
	s_and_saveexec_b64 s[0:1], vcc
	s_cbranch_execz .LBB377_40
; %bb.37:
	v_cmp_eq_f32_e64 s[0:1], s12, 0
	s_and_b64 vcc, exec, s[0:1]
	v_mul_f32_e32 v0, s14, v3
	s_mul_i32 s2, s7, 0x68
	s_mul_hi_u32 s3, s6, 0x68
	s_mul_i32 s4, s6, 0x68
	s_cbranch_vccz .LBB377_41
; %bb.38:
	s_add_i32 s1, s3, s2
	s_add_u32 s0, s16, s4
	s_addc_u32 s1, s17, s1
	global_store_dword v1, v0, s[0:1]
	s_cbranch_execnz .LBB377_40
.LBB377_39:
	s_add_i32 s3, s3, s2
	s_add_u32 s0, s16, s4
	s_addc_u32 s1, s17, s3
	global_load_dword v2, v1, s[0:1]
	s_waitcnt vmcnt(0)
	v_fmac_f32_e32 v0, s12, v2
	global_store_dword v1, v0, s[0:1]
.LBB377_40:
	s_endpgm
.LBB377_41:
	s_branch .LBB377_39
	.section	.rodata,"a",@progbits
	.p2align	6, 0x0
	.amdhsa_kernel _ZN9rocsparseL20bsrxmvn_17_32_kernelILj26Efll18rocsparse_bfloat16S1_fEEvT2_20rocsparse_direction_NS_24const_host_device_scalarIT0_EES2_PKS2_PKT1_SB_S8_PKT3_PKT4_S6_PT5_21rocsparse_index_base_b
		.amdhsa_group_segment_fixed_size 2704
		.amdhsa_private_segment_fixed_size 0
		.amdhsa_kernarg_size 104
		.amdhsa_user_sgpr_count 6
		.amdhsa_user_sgpr_private_segment_buffer 1
		.amdhsa_user_sgpr_dispatch_ptr 0
		.amdhsa_user_sgpr_queue_ptr 0
		.amdhsa_user_sgpr_kernarg_segment_ptr 1
		.amdhsa_user_sgpr_dispatch_id 0
		.amdhsa_user_sgpr_flat_scratch_init 0
		.amdhsa_user_sgpr_private_segment_size 0
		.amdhsa_uses_dynamic_stack 0
		.amdhsa_system_sgpr_private_segment_wavefront_offset 0
		.amdhsa_system_sgpr_workgroup_id_x 1
		.amdhsa_system_sgpr_workgroup_id_y 0
		.amdhsa_system_sgpr_workgroup_id_z 0
		.amdhsa_system_sgpr_workgroup_info 0
		.amdhsa_system_vgpr_workitem_id 0
		.amdhsa_next_free_vgpr 25
		.amdhsa_next_free_sgpr 61
		.amdhsa_reserve_vcc 1
		.amdhsa_reserve_flat_scratch 0
		.amdhsa_float_round_mode_32 0
		.amdhsa_float_round_mode_16_64 0
		.amdhsa_float_denorm_mode_32 3
		.amdhsa_float_denorm_mode_16_64 3
		.amdhsa_dx10_clamp 1
		.amdhsa_ieee_mode 1
		.amdhsa_fp16_overflow 0
		.amdhsa_exception_fp_ieee_invalid_op 0
		.amdhsa_exception_fp_denorm_src 0
		.amdhsa_exception_fp_ieee_div_zero 0
		.amdhsa_exception_fp_ieee_overflow 0
		.amdhsa_exception_fp_ieee_underflow 0
		.amdhsa_exception_fp_ieee_inexact 0
		.amdhsa_exception_int_div_zero 0
	.end_amdhsa_kernel
	.section	.text._ZN9rocsparseL20bsrxmvn_17_32_kernelILj26Efll18rocsparse_bfloat16S1_fEEvT2_20rocsparse_direction_NS_24const_host_device_scalarIT0_EES2_PKS2_PKT1_SB_S8_PKT3_PKT4_S6_PT5_21rocsparse_index_base_b,"axG",@progbits,_ZN9rocsparseL20bsrxmvn_17_32_kernelILj26Efll18rocsparse_bfloat16S1_fEEvT2_20rocsparse_direction_NS_24const_host_device_scalarIT0_EES2_PKS2_PKT1_SB_S8_PKT3_PKT4_S6_PT5_21rocsparse_index_base_b,comdat
.Lfunc_end377:
	.size	_ZN9rocsparseL20bsrxmvn_17_32_kernelILj26Efll18rocsparse_bfloat16S1_fEEvT2_20rocsparse_direction_NS_24const_host_device_scalarIT0_EES2_PKS2_PKT1_SB_S8_PKT3_PKT4_S6_PT5_21rocsparse_index_base_b, .Lfunc_end377-_ZN9rocsparseL20bsrxmvn_17_32_kernelILj26Efll18rocsparse_bfloat16S1_fEEvT2_20rocsparse_direction_NS_24const_host_device_scalarIT0_EES2_PKS2_PKT1_SB_S8_PKT3_PKT4_S6_PT5_21rocsparse_index_base_b
                                        ; -- End function
	.set _ZN9rocsparseL20bsrxmvn_17_32_kernelILj26Efll18rocsparse_bfloat16S1_fEEvT2_20rocsparse_direction_NS_24const_host_device_scalarIT0_EES2_PKS2_PKT1_SB_S8_PKT3_PKT4_S6_PT5_21rocsparse_index_base_b.num_vgpr, 15
	.set _ZN9rocsparseL20bsrxmvn_17_32_kernelILj26Efll18rocsparse_bfloat16S1_fEEvT2_20rocsparse_direction_NS_24const_host_device_scalarIT0_EES2_PKS2_PKT1_SB_S8_PKT3_PKT4_S6_PT5_21rocsparse_index_base_b.num_agpr, 0
	.set _ZN9rocsparseL20bsrxmvn_17_32_kernelILj26Efll18rocsparse_bfloat16S1_fEEvT2_20rocsparse_direction_NS_24const_host_device_scalarIT0_EES2_PKS2_PKT1_SB_S8_PKT3_PKT4_S6_PT5_21rocsparse_index_base_b.numbered_sgpr, 26
	.set _ZN9rocsparseL20bsrxmvn_17_32_kernelILj26Efll18rocsparse_bfloat16S1_fEEvT2_20rocsparse_direction_NS_24const_host_device_scalarIT0_EES2_PKS2_PKT1_SB_S8_PKT3_PKT4_S6_PT5_21rocsparse_index_base_b.num_named_barrier, 0
	.set _ZN9rocsparseL20bsrxmvn_17_32_kernelILj26Efll18rocsparse_bfloat16S1_fEEvT2_20rocsparse_direction_NS_24const_host_device_scalarIT0_EES2_PKS2_PKT1_SB_S8_PKT3_PKT4_S6_PT5_21rocsparse_index_base_b.private_seg_size, 0
	.set _ZN9rocsparseL20bsrxmvn_17_32_kernelILj26Efll18rocsparse_bfloat16S1_fEEvT2_20rocsparse_direction_NS_24const_host_device_scalarIT0_EES2_PKS2_PKT1_SB_S8_PKT3_PKT4_S6_PT5_21rocsparse_index_base_b.uses_vcc, 1
	.set _ZN9rocsparseL20bsrxmvn_17_32_kernelILj26Efll18rocsparse_bfloat16S1_fEEvT2_20rocsparse_direction_NS_24const_host_device_scalarIT0_EES2_PKS2_PKT1_SB_S8_PKT3_PKT4_S6_PT5_21rocsparse_index_base_b.uses_flat_scratch, 0
	.set _ZN9rocsparseL20bsrxmvn_17_32_kernelILj26Efll18rocsparse_bfloat16S1_fEEvT2_20rocsparse_direction_NS_24const_host_device_scalarIT0_EES2_PKS2_PKT1_SB_S8_PKT3_PKT4_S6_PT5_21rocsparse_index_base_b.has_dyn_sized_stack, 0
	.set _ZN9rocsparseL20bsrxmvn_17_32_kernelILj26Efll18rocsparse_bfloat16S1_fEEvT2_20rocsparse_direction_NS_24const_host_device_scalarIT0_EES2_PKS2_PKT1_SB_S8_PKT3_PKT4_S6_PT5_21rocsparse_index_base_b.has_recursion, 0
	.set _ZN9rocsparseL20bsrxmvn_17_32_kernelILj26Efll18rocsparse_bfloat16S1_fEEvT2_20rocsparse_direction_NS_24const_host_device_scalarIT0_EES2_PKS2_PKT1_SB_S8_PKT3_PKT4_S6_PT5_21rocsparse_index_base_b.has_indirect_call, 0
	.section	.AMDGPU.csdata,"",@progbits
; Kernel info:
; codeLenInByte = 1324
; TotalNumSgprs: 30
; NumVgprs: 15
; ScratchSize: 0
; MemoryBound: 0
; FloatMode: 240
; IeeeMode: 1
; LDSByteSize: 2704 bytes/workgroup (compile time only)
; SGPRBlocks: 8
; VGPRBlocks: 6
; NumSGPRsForWavesPerEU: 65
; NumVGPRsForWavesPerEU: 25
; Occupancy: 9
; WaveLimiterHint : 1
; COMPUTE_PGM_RSRC2:SCRATCH_EN: 0
; COMPUTE_PGM_RSRC2:USER_SGPR: 6
; COMPUTE_PGM_RSRC2:TRAP_HANDLER: 0
; COMPUTE_PGM_RSRC2:TGID_X_EN: 1
; COMPUTE_PGM_RSRC2:TGID_Y_EN: 0
; COMPUTE_PGM_RSRC2:TGID_Z_EN: 0
; COMPUTE_PGM_RSRC2:TIDIG_COMP_CNT: 0
	.section	.text._ZN9rocsparseL20bsrxmvn_17_32_kernelILj27Efll18rocsparse_bfloat16S1_fEEvT2_20rocsparse_direction_NS_24const_host_device_scalarIT0_EES2_PKS2_PKT1_SB_S8_PKT3_PKT4_S6_PT5_21rocsparse_index_base_b,"axG",@progbits,_ZN9rocsparseL20bsrxmvn_17_32_kernelILj27Efll18rocsparse_bfloat16S1_fEEvT2_20rocsparse_direction_NS_24const_host_device_scalarIT0_EES2_PKS2_PKT1_SB_S8_PKT3_PKT4_S6_PT5_21rocsparse_index_base_b,comdat
	.globl	_ZN9rocsparseL20bsrxmvn_17_32_kernelILj27Efll18rocsparse_bfloat16S1_fEEvT2_20rocsparse_direction_NS_24const_host_device_scalarIT0_EES2_PKS2_PKT1_SB_S8_PKT3_PKT4_S6_PT5_21rocsparse_index_base_b ; -- Begin function _ZN9rocsparseL20bsrxmvn_17_32_kernelILj27Efll18rocsparse_bfloat16S1_fEEvT2_20rocsparse_direction_NS_24const_host_device_scalarIT0_EES2_PKS2_PKT1_SB_S8_PKT3_PKT4_S6_PT5_21rocsparse_index_base_b
	.p2align	8
	.type	_ZN9rocsparseL20bsrxmvn_17_32_kernelILj27Efll18rocsparse_bfloat16S1_fEEvT2_20rocsparse_direction_NS_24const_host_device_scalarIT0_EES2_PKS2_PKT1_SB_S8_PKT3_PKT4_S6_PT5_21rocsparse_index_base_b,@function
_ZN9rocsparseL20bsrxmvn_17_32_kernelILj27Efll18rocsparse_bfloat16S1_fEEvT2_20rocsparse_direction_NS_24const_host_device_scalarIT0_EES2_PKS2_PKT1_SB_S8_PKT3_PKT4_S6_PT5_21rocsparse_index_base_b: ; @_ZN9rocsparseL20bsrxmvn_17_32_kernelILj27Efll18rocsparse_bfloat16S1_fEEvT2_20rocsparse_direction_NS_24const_host_device_scalarIT0_EES2_PKS2_PKT1_SB_S8_PKT3_PKT4_S6_PT5_21rocsparse_index_base_b
; %bb.0:
	s_load_dwordx2 s[18:19], s[4:5], 0x60
	s_load_dwordx2 s[14:15], s[4:5], 0x10
	;; [unrolled: 1-line block ×3, first 2 shown]
	s_waitcnt lgkmcnt(0)
	s_bitcmp1_b32 s19, 0
	s_cselect_b64 s[2:3], -1, 0
	s_xor_b64 s[0:1], s[2:3], -1
	s_and_b64 vcc, exec, s[2:3]
	s_cbranch_vccnz .LBB378_2
; %bb.1:
	s_load_dword s14, s[14:15], 0x0
.LBB378_2:
	s_andn2_b64 vcc, exec, s[0:1]
	s_cbranch_vccnz .LBB378_4
; %bb.3:
	s_load_dword s12, s[12:13], 0x0
.LBB378_4:
	s_waitcnt lgkmcnt(0)
	v_cmp_neq_f32_e64 s[0:1], s14, 0
	v_cmp_neq_f32_e64 s[2:3], s12, 1.0
	s_or_b64 s[0:1], s[0:1], s[2:3]
	s_andn2_b64 vcc, exec, s[0:1]
	s_mov_b32 s7, 0
	s_cbranch_vccnz .LBB378_40
; %bb.5:
	s_load_dwordx4 s[0:3], s[4:5], 0x20
	s_load_dwordx2 s[8:9], s[4:5], 0x30
	s_waitcnt lgkmcnt(0)
	s_cmp_eq_u64 s[0:1], 0
	s_cbranch_scc1 .LBB378_7
; %bb.6:
	s_lshl_b64 s[6:7], s[6:7], 3
	s_add_u32 s0, s0, s6
	s_addc_u32 s1, s1, s7
	s_load_dwordx2 s[0:1], s[0:1], 0x0
	s_waitcnt lgkmcnt(0)
	s_sub_u32 s6, s0, s18
	s_subb_u32 s7, s1, 0
.LBB378_7:
	s_load_dword s10, s[4:5], 0x8
	s_load_dwordx2 s[16:17], s[4:5], 0x58
	v_mul_u32_u24_e32 v1, 0x97c, v0
	v_mov_b32_e32 v2, 27
	v_mul_lo_u16_sdwa v2, v1, v2 dst_sel:DWORD dst_unused:UNUSED_PAD src0_sel:WORD_1 src1_sel:DWORD
	s_waitcnt lgkmcnt(0)
	s_cmp_eq_u32 s10, 1
	s_cselect_b64 s[0:1], -1, 0
	s_cmp_lg_u32 s10, 1
	s_cselect_b64 s[20:21], -1, 0
	s_lshl_b64 s[10:11], s[6:7], 3
	s_add_u32 s24, s2, s10
	s_addc_u32 s25, s3, s11
	s_add_u32 s2, s24, 8
	s_addc_u32 s3, s25, 0
	s_add_u32 s10, s8, s10
	s_addc_u32 s11, s9, s11
	s_cmp_eq_u64 s[8:9], 0
	s_cselect_b32 s9, s3, s11
	s_cselect_b32 s8, s2, s10
	s_load_dwordx2 s[2:3], s[8:9], 0x0
	s_load_dwordx2 s[22:23], s[24:25], 0x0
	v_sub_u16_e32 v11, v0, v2
	s_waitcnt lgkmcnt(0)
	v_mov_b32_e32 v2, s2
	v_mov_b32_e32 v3, s3
	v_cmp_ge_i64_e32 vcc, s[22:23], v[2:3]
	v_mov_b32_e32 v2, 0
	s_cbranch_vccnz .LBB378_12
; %bb.8:
	s_load_dwordx4 s[8:11], s[4:5], 0x38
	s_load_dwordx2 s[24:25], s[4:5], 0x48
	s_mov_b32 s4, 0xffff
	s_movk_i32 s5, 0x2d9
	v_and_b32_sdwa v1, s4, v1 dst_sel:DWORD dst_unused:UNUSED_PAD src0_sel:DWORD src1_sel:WORD_1
	s_sub_u32 s2, s2, s18
	v_subrev_u32_e32 v2, 27, v1
	v_cmp_gt_u32_e32 vcc, s5, v0
	s_subb_u32 s3, s3, 0
	v_cndmask_b32_e32 v1, v2, v1, vcc
	s_sub_u32 s4, s22, s18
	v_cndmask_b32_e64 v1, v11, v1, s[0:1]
	v_mov_b32_e32 v2, 0
	s_subb_u32 s5, s23, 0
	v_lshlrev_b64 v[3:4], 1, v[1:2]
	s_mul_i32 s0, s5, 0x5b2
	s_mul_hi_u32 s1, s4, 0x5b2
	s_add_i32 s1, s1, s0
	s_mul_i32 s0, s4, 0x5b2
	s_waitcnt lgkmcnt(0)
	v_mov_b32_e32 v1, s25
	v_add_co_u32_e32 v3, vcc, s24, v3
	s_add_u32 s0, s10, s0
	v_addc_co_u32_e32 v4, vcc, v1, v4, vcc
	s_addc_u32 s1, s11, s1
	v_lshlrev_b32_e32 v1, 1, v0
	v_mov_b32_e32 v6, s1
	v_add_co_u32_e32 v5, vcc, s0, v1
	v_addc_co_u32_e32 v6, vcc, 0, v6, vcc
	s_movk_i32 s0, 0x2d8
	v_cmp_lt_u32_e32 vcc, s0, v0
	v_cndmask_b32_e64 v1, 0, 1, vcc
	v_mov_b32_e32 v7, s23
	v_add_co_u32_e32 v8, vcc, s22, v1
	v_addc_co_u32_e32 v9, vcc, 0, v7, vcc
	v_subrev_co_u32_e32 v7, vcc, s18, v8
	v_subbrev_co_u32_e32 v8, vcc, 0, v9, vcc
	v_lshlrev_b64 v[7:8], 3, v[7:8]
	v_mov_b32_e32 v9, s9
	v_add_co_u32_e32 v7, vcc, s8, v7
	v_addc_co_u32_e32 v8, vcc, v9, v8, vcc
	v_mov_b32_e32 v10, s3
	v_mov_b32_e32 v9, s2
	s_branch .LBB378_10
.LBB378_9:                              ;   in Loop: Header=BB378_10 Depth=1
	s_or_b64 exec, exec, s[0:1]
	s_add_u32 s4, s4, 1
	s_addc_u32 s5, s5, 0
	v_cmp_lt_i64_e32 vcc, s[4:5], v[9:10]
	v_add_co_u32_e64 v7, s[0:1], 8, v7
	v_addc_co_u32_e64 v8, s[0:1], 0, v8, s[0:1]
	s_cbranch_vccz .LBB378_12
.LBB378_10:                             ; =>This Inner Loop Header: Depth=1
	v_mov_b32_e32 v13, s5
	v_add_co_u32_e32 v12, vcc, s4, v1
	v_addc_co_u32_e32 v13, vcc, 0, v13, vcc
	v_cmp_gt_i64_e32 vcc, s[2:3], v[12:13]
	s_and_saveexec_b64 s[0:1], vcc
	s_cbranch_execz .LBB378_9
; %bb.11:                               ;   in Loop: Header=BB378_10 Depth=1
	global_load_dwordx2 v[12:13], v[7:8], off
	s_waitcnt vmcnt(0)
	v_subrev_co_u32_e32 v12, vcc, s18, v12
	v_subbrev_co_u32_e32 v14, vcc, 0, v13, vcc
	v_mad_u64_u32 v[12:13], s[8:9], v12, 54, v[3:4]
	v_mad_u64_u32 v[13:14], s[8:9], v14, 54, v[13:14]
	global_load_ushort v14, v[5:6], off
	s_nop 0
	global_load_ushort v12, v[12:13], off
	v_add_co_u32_e32 v5, vcc, 0x5b2, v5
	v_addc_co_u32_e32 v6, vcc, 0, v6, vcc
	s_waitcnt vmcnt(1)
	v_lshlrev_b32_e32 v13, 16, v14
	s_waitcnt vmcnt(0)
	v_lshlrev_b32_e32 v12, 16, v12
	v_fmac_f32_e32 v2, v13, v12
	s_branch .LBB378_9
.LBB378_12:
	v_lshlrev_b32_e32 v1, 2, v0
	s_and_b64 vcc, exec, s[20:21]
	ds_write_b32 v1, v2
	s_waitcnt lgkmcnt(0)
	s_barrier
	s_cbranch_vccz .LBB378_24
; %bb.13:
	v_cmp_gt_u16_e32 vcc, 11, v11
	s_and_saveexec_b64 s[0:1], vcc
	s_cbranch_execz .LBB378_15
; %bb.14:
	ds_read2_b32 v[3:4], v1 offset1:16
	s_waitcnt lgkmcnt(0)
	v_add_f32_e32 v3, v4, v3
	ds_write_b32 v1, v3
.LBB378_15:
	s_or_b64 exec, exec, s[0:1]
	v_cmp_gt_u16_e32 vcc, 8, v11
	s_waitcnt lgkmcnt(0)
	s_barrier
	s_and_saveexec_b64 s[0:1], vcc
	s_cbranch_execz .LBB378_17
; %bb.16:
	ds_read2_b32 v[3:4], v1 offset1:8
	s_waitcnt lgkmcnt(0)
	v_add_f32_e32 v3, v4, v3
	ds_write_b32 v1, v3
.LBB378_17:
	s_or_b64 exec, exec, s[0:1]
	v_cmp_gt_u16_e32 vcc, 4, v11
	s_waitcnt lgkmcnt(0)
	s_barrier
	;; [unrolled: 12-line block ×3, first 2 shown]
	s_and_saveexec_b64 s[0:1], vcc
	s_cbranch_execz .LBB378_21
; %bb.20:
	ds_read2_b32 v[3:4], v1 offset1:2
	s_waitcnt lgkmcnt(0)
	v_add_f32_e32 v3, v4, v3
	ds_write_b32 v1, v3
.LBB378_21:
	s_or_b64 exec, exec, s[0:1]
	v_cmp_gt_u32_e32 vcc, 27, v0
	v_mov_b32_e32 v3, v2
	s_waitcnt lgkmcnt(0)
	s_barrier
	s_and_saveexec_b64 s[0:1], vcc
	s_cbranch_execz .LBB378_23
; %bb.22:
	s_movk_i32 s2, 0x68
	v_mad_u32_u24 v3, v0, s2, v1
	ds_read2_b32 v[3:4], v3 offset1:1
	s_waitcnt lgkmcnt(0)
	v_add_f32_e32 v3, v3, v4
.LBB378_23:
	s_or_b64 exec, exec, s[0:1]
	s_branch .LBB378_36
.LBB378_24:
                                        ; implicit-def: $vgpr3
	s_cbranch_execz .LBB378_36
; %bb.25:
	s_movk_i32 s0, 0x129
	v_cmp_gt_u32_e32 vcc, s0, v0
	s_and_saveexec_b64 s[0:1], vcc
	s_cbranch_execz .LBB378_27
; %bb.26:
	ds_read_b32 v3, v1 offset:1728
	ds_read_b32 v4, v1
	s_waitcnt lgkmcnt(0)
	v_add_f32_e32 v3, v3, v4
	ds_write_b32 v1, v3
.LBB378_27:
	s_or_b64 exec, exec, s[0:1]
	s_movk_i32 s0, 0xd8
	v_cmp_gt_u32_e32 vcc, s0, v0
	s_waitcnt lgkmcnt(0)
	s_barrier
	s_and_saveexec_b64 s[0:1], vcc
	s_cbranch_execz .LBB378_29
; %bb.28:
	ds_read2_b32 v[3:4], v1 offset1:216
	s_waitcnt lgkmcnt(0)
	v_add_f32_e32 v3, v4, v3
	ds_write_b32 v1, v3
.LBB378_29:
	s_or_b64 exec, exec, s[0:1]
	s_movk_i32 s0, 0x6c
	v_cmp_gt_u32_e32 vcc, s0, v0
	s_waitcnt lgkmcnt(0)
	s_barrier
	s_and_saveexec_b64 s[0:1], vcc
	s_cbranch_execz .LBB378_31
; %bb.30:
	ds_read2_b32 v[3:4], v1 offset1:108
	s_waitcnt lgkmcnt(0)
	v_add_f32_e32 v3, v4, v3
	ds_write_b32 v1, v3
.LBB378_31:
	s_or_b64 exec, exec, s[0:1]
	v_cmp_gt_u32_e32 vcc, 54, v0
	s_waitcnt lgkmcnt(0)
	s_barrier
	s_and_saveexec_b64 s[0:1], vcc
	s_cbranch_execz .LBB378_33
; %bb.32:
	ds_read2_b32 v[3:4], v1 offset1:54
	s_waitcnt lgkmcnt(0)
	v_add_f32_e32 v3, v4, v3
	ds_write_b32 v1, v3
.LBB378_33:
	s_or_b64 exec, exec, s[0:1]
	v_cmp_gt_u32_e32 vcc, 27, v0
	s_waitcnt lgkmcnt(0)
	s_and_saveexec_b64 s[0:1], vcc
	s_cbranch_execz .LBB378_35
; %bb.34:
	ds_read2_b32 v[2:3], v1 offset1:27
	s_waitcnt lgkmcnt(0)
	v_add_f32_e32 v2, v2, v3
.LBB378_35:
	s_or_b64 exec, exec, s[0:1]
	v_mov_b32_e32 v3, v2
.LBB378_36:
	v_cmp_gt_u32_e32 vcc, 27, v0
	s_and_saveexec_b64 s[0:1], vcc
	s_cbranch_execz .LBB378_40
; %bb.37:
	v_cmp_eq_f32_e64 s[0:1], s12, 0
	s_and_b64 vcc, exec, s[0:1]
	v_mul_f32_e32 v0, s14, v3
	s_mul_i32 s2, s7, 0x6c
	s_mul_hi_u32 s3, s6, 0x6c
	s_mul_i32 s4, s6, 0x6c
	s_cbranch_vccz .LBB378_41
; %bb.38:
	s_add_i32 s1, s3, s2
	s_add_u32 s0, s16, s4
	s_addc_u32 s1, s17, s1
	global_store_dword v1, v0, s[0:1]
	s_cbranch_execnz .LBB378_40
.LBB378_39:
	s_add_i32 s3, s3, s2
	s_add_u32 s0, s16, s4
	s_addc_u32 s1, s17, s3
	global_load_dword v2, v1, s[0:1]
	s_waitcnt vmcnt(0)
	v_fmac_f32_e32 v0, s12, v2
	global_store_dword v1, v0, s[0:1]
.LBB378_40:
	s_endpgm
.LBB378_41:
	s_branch .LBB378_39
	.section	.rodata,"a",@progbits
	.p2align	6, 0x0
	.amdhsa_kernel _ZN9rocsparseL20bsrxmvn_17_32_kernelILj27Efll18rocsparse_bfloat16S1_fEEvT2_20rocsparse_direction_NS_24const_host_device_scalarIT0_EES2_PKS2_PKT1_SB_S8_PKT3_PKT4_S6_PT5_21rocsparse_index_base_b
		.amdhsa_group_segment_fixed_size 2916
		.amdhsa_private_segment_fixed_size 0
		.amdhsa_kernarg_size 104
		.amdhsa_user_sgpr_count 6
		.amdhsa_user_sgpr_private_segment_buffer 1
		.amdhsa_user_sgpr_dispatch_ptr 0
		.amdhsa_user_sgpr_queue_ptr 0
		.amdhsa_user_sgpr_kernarg_segment_ptr 1
		.amdhsa_user_sgpr_dispatch_id 0
		.amdhsa_user_sgpr_flat_scratch_init 0
		.amdhsa_user_sgpr_private_segment_size 0
		.amdhsa_uses_dynamic_stack 0
		.amdhsa_system_sgpr_private_segment_wavefront_offset 0
		.amdhsa_system_sgpr_workgroup_id_x 1
		.amdhsa_system_sgpr_workgroup_id_y 0
		.amdhsa_system_sgpr_workgroup_id_z 0
		.amdhsa_system_sgpr_workgroup_info 0
		.amdhsa_system_vgpr_workitem_id 0
		.amdhsa_next_free_vgpr 25
		.amdhsa_next_free_sgpr 61
		.amdhsa_reserve_vcc 1
		.amdhsa_reserve_flat_scratch 0
		.amdhsa_float_round_mode_32 0
		.amdhsa_float_round_mode_16_64 0
		.amdhsa_float_denorm_mode_32 3
		.amdhsa_float_denorm_mode_16_64 3
		.amdhsa_dx10_clamp 1
		.amdhsa_ieee_mode 1
		.amdhsa_fp16_overflow 0
		.amdhsa_exception_fp_ieee_invalid_op 0
		.amdhsa_exception_fp_denorm_src 0
		.amdhsa_exception_fp_ieee_div_zero 0
		.amdhsa_exception_fp_ieee_overflow 0
		.amdhsa_exception_fp_ieee_underflow 0
		.amdhsa_exception_fp_ieee_inexact 0
		.amdhsa_exception_int_div_zero 0
	.end_amdhsa_kernel
	.section	.text._ZN9rocsparseL20bsrxmvn_17_32_kernelILj27Efll18rocsparse_bfloat16S1_fEEvT2_20rocsparse_direction_NS_24const_host_device_scalarIT0_EES2_PKS2_PKT1_SB_S8_PKT3_PKT4_S6_PT5_21rocsparse_index_base_b,"axG",@progbits,_ZN9rocsparseL20bsrxmvn_17_32_kernelILj27Efll18rocsparse_bfloat16S1_fEEvT2_20rocsparse_direction_NS_24const_host_device_scalarIT0_EES2_PKS2_PKT1_SB_S8_PKT3_PKT4_S6_PT5_21rocsparse_index_base_b,comdat
.Lfunc_end378:
	.size	_ZN9rocsparseL20bsrxmvn_17_32_kernelILj27Efll18rocsparse_bfloat16S1_fEEvT2_20rocsparse_direction_NS_24const_host_device_scalarIT0_EES2_PKS2_PKT1_SB_S8_PKT3_PKT4_S6_PT5_21rocsparse_index_base_b, .Lfunc_end378-_ZN9rocsparseL20bsrxmvn_17_32_kernelILj27Efll18rocsparse_bfloat16S1_fEEvT2_20rocsparse_direction_NS_24const_host_device_scalarIT0_EES2_PKS2_PKT1_SB_S8_PKT3_PKT4_S6_PT5_21rocsparse_index_base_b
                                        ; -- End function
	.set _ZN9rocsparseL20bsrxmvn_17_32_kernelILj27Efll18rocsparse_bfloat16S1_fEEvT2_20rocsparse_direction_NS_24const_host_device_scalarIT0_EES2_PKS2_PKT1_SB_S8_PKT3_PKT4_S6_PT5_21rocsparse_index_base_b.num_vgpr, 15
	.set _ZN9rocsparseL20bsrxmvn_17_32_kernelILj27Efll18rocsparse_bfloat16S1_fEEvT2_20rocsparse_direction_NS_24const_host_device_scalarIT0_EES2_PKS2_PKT1_SB_S8_PKT3_PKT4_S6_PT5_21rocsparse_index_base_b.num_agpr, 0
	.set _ZN9rocsparseL20bsrxmvn_17_32_kernelILj27Efll18rocsparse_bfloat16S1_fEEvT2_20rocsparse_direction_NS_24const_host_device_scalarIT0_EES2_PKS2_PKT1_SB_S8_PKT3_PKT4_S6_PT5_21rocsparse_index_base_b.numbered_sgpr, 26
	.set _ZN9rocsparseL20bsrxmvn_17_32_kernelILj27Efll18rocsparse_bfloat16S1_fEEvT2_20rocsparse_direction_NS_24const_host_device_scalarIT0_EES2_PKS2_PKT1_SB_S8_PKT3_PKT4_S6_PT5_21rocsparse_index_base_b.num_named_barrier, 0
	.set _ZN9rocsparseL20bsrxmvn_17_32_kernelILj27Efll18rocsparse_bfloat16S1_fEEvT2_20rocsparse_direction_NS_24const_host_device_scalarIT0_EES2_PKS2_PKT1_SB_S8_PKT3_PKT4_S6_PT5_21rocsparse_index_base_b.private_seg_size, 0
	.set _ZN9rocsparseL20bsrxmvn_17_32_kernelILj27Efll18rocsparse_bfloat16S1_fEEvT2_20rocsparse_direction_NS_24const_host_device_scalarIT0_EES2_PKS2_PKT1_SB_S8_PKT3_PKT4_S6_PT5_21rocsparse_index_base_b.uses_vcc, 1
	.set _ZN9rocsparseL20bsrxmvn_17_32_kernelILj27Efll18rocsparse_bfloat16S1_fEEvT2_20rocsparse_direction_NS_24const_host_device_scalarIT0_EES2_PKS2_PKT1_SB_S8_PKT3_PKT4_S6_PT5_21rocsparse_index_base_b.uses_flat_scratch, 0
	.set _ZN9rocsparseL20bsrxmvn_17_32_kernelILj27Efll18rocsparse_bfloat16S1_fEEvT2_20rocsparse_direction_NS_24const_host_device_scalarIT0_EES2_PKS2_PKT1_SB_S8_PKT3_PKT4_S6_PT5_21rocsparse_index_base_b.has_dyn_sized_stack, 0
	.set _ZN9rocsparseL20bsrxmvn_17_32_kernelILj27Efll18rocsparse_bfloat16S1_fEEvT2_20rocsparse_direction_NS_24const_host_device_scalarIT0_EES2_PKS2_PKT1_SB_S8_PKT3_PKT4_S6_PT5_21rocsparse_index_base_b.has_recursion, 0
	.set _ZN9rocsparseL20bsrxmvn_17_32_kernelILj27Efll18rocsparse_bfloat16S1_fEEvT2_20rocsparse_direction_NS_24const_host_device_scalarIT0_EES2_PKS2_PKT1_SB_S8_PKT3_PKT4_S6_PT5_21rocsparse_index_base_b.has_indirect_call, 0
	.section	.AMDGPU.csdata,"",@progbits
; Kernel info:
; codeLenInByte = 1324
; TotalNumSgprs: 30
; NumVgprs: 15
; ScratchSize: 0
; MemoryBound: 0
; FloatMode: 240
; IeeeMode: 1
; LDSByteSize: 2916 bytes/workgroup (compile time only)
; SGPRBlocks: 8
; VGPRBlocks: 6
; NumSGPRsForWavesPerEU: 65
; NumVGPRsForWavesPerEU: 25
; Occupancy: 9
; WaveLimiterHint : 1
; COMPUTE_PGM_RSRC2:SCRATCH_EN: 0
; COMPUTE_PGM_RSRC2:USER_SGPR: 6
; COMPUTE_PGM_RSRC2:TRAP_HANDLER: 0
; COMPUTE_PGM_RSRC2:TGID_X_EN: 1
; COMPUTE_PGM_RSRC2:TGID_Y_EN: 0
; COMPUTE_PGM_RSRC2:TGID_Z_EN: 0
; COMPUTE_PGM_RSRC2:TIDIG_COMP_CNT: 0
	.section	.text._ZN9rocsparseL20bsrxmvn_17_32_kernelILj28Efll18rocsparse_bfloat16S1_fEEvT2_20rocsparse_direction_NS_24const_host_device_scalarIT0_EES2_PKS2_PKT1_SB_S8_PKT3_PKT4_S6_PT5_21rocsparse_index_base_b,"axG",@progbits,_ZN9rocsparseL20bsrxmvn_17_32_kernelILj28Efll18rocsparse_bfloat16S1_fEEvT2_20rocsparse_direction_NS_24const_host_device_scalarIT0_EES2_PKS2_PKT1_SB_S8_PKT3_PKT4_S6_PT5_21rocsparse_index_base_b,comdat
	.globl	_ZN9rocsparseL20bsrxmvn_17_32_kernelILj28Efll18rocsparse_bfloat16S1_fEEvT2_20rocsparse_direction_NS_24const_host_device_scalarIT0_EES2_PKS2_PKT1_SB_S8_PKT3_PKT4_S6_PT5_21rocsparse_index_base_b ; -- Begin function _ZN9rocsparseL20bsrxmvn_17_32_kernelILj28Efll18rocsparse_bfloat16S1_fEEvT2_20rocsparse_direction_NS_24const_host_device_scalarIT0_EES2_PKS2_PKT1_SB_S8_PKT3_PKT4_S6_PT5_21rocsparse_index_base_b
	.p2align	8
	.type	_ZN9rocsparseL20bsrxmvn_17_32_kernelILj28Efll18rocsparse_bfloat16S1_fEEvT2_20rocsparse_direction_NS_24const_host_device_scalarIT0_EES2_PKS2_PKT1_SB_S8_PKT3_PKT4_S6_PT5_21rocsparse_index_base_b,@function
_ZN9rocsparseL20bsrxmvn_17_32_kernelILj28Efll18rocsparse_bfloat16S1_fEEvT2_20rocsparse_direction_NS_24const_host_device_scalarIT0_EES2_PKS2_PKT1_SB_S8_PKT3_PKT4_S6_PT5_21rocsparse_index_base_b: ; @_ZN9rocsparseL20bsrxmvn_17_32_kernelILj28Efll18rocsparse_bfloat16S1_fEEvT2_20rocsparse_direction_NS_24const_host_device_scalarIT0_EES2_PKS2_PKT1_SB_S8_PKT3_PKT4_S6_PT5_21rocsparse_index_base_b
; %bb.0:
	s_load_dwordx2 s[18:19], s[4:5], 0x60
	s_load_dwordx2 s[14:15], s[4:5], 0x10
	;; [unrolled: 1-line block ×3, first 2 shown]
	s_waitcnt lgkmcnt(0)
	s_bitcmp1_b32 s19, 0
	s_cselect_b64 s[2:3], -1, 0
	s_xor_b64 s[0:1], s[2:3], -1
	s_and_b64 vcc, exec, s[2:3]
	s_cbranch_vccnz .LBB379_2
; %bb.1:
	s_load_dword s14, s[14:15], 0x0
.LBB379_2:
	s_andn2_b64 vcc, exec, s[0:1]
	s_cbranch_vccnz .LBB379_4
; %bb.3:
	s_load_dword s12, s[12:13], 0x0
.LBB379_4:
	s_waitcnt lgkmcnt(0)
	v_cmp_neq_f32_e64 s[0:1], s14, 0
	v_cmp_neq_f32_e64 s[2:3], s12, 1.0
	s_or_b64 s[0:1], s[0:1], s[2:3]
	s_andn2_b64 vcc, exec, s[0:1]
	s_mov_b32 s7, 0
	s_cbranch_vccnz .LBB379_40
; %bb.5:
	s_load_dwordx4 s[0:3], s[4:5], 0x20
	s_load_dwordx2 s[8:9], s[4:5], 0x30
	s_waitcnt lgkmcnt(0)
	s_cmp_eq_u64 s[0:1], 0
	s_cbranch_scc1 .LBB379_7
; %bb.6:
	s_lshl_b64 s[6:7], s[6:7], 3
	s_add_u32 s0, s0, s6
	s_addc_u32 s1, s1, s7
	s_load_dwordx2 s[0:1], s[0:1], 0x0
	s_waitcnt lgkmcnt(0)
	s_sub_u32 s6, s0, s18
	s_subb_u32 s7, s1, 0
.LBB379_7:
	s_load_dword s10, s[4:5], 0x8
	s_load_dwordx2 s[16:17], s[4:5], 0x58
	v_mul_u32_u24_e32 v1, 0x925, v0
	v_mov_b32_e32 v2, 28
	v_mul_lo_u16_sdwa v2, v1, v2 dst_sel:DWORD dst_unused:UNUSED_PAD src0_sel:WORD_1 src1_sel:DWORD
	s_waitcnt lgkmcnt(0)
	s_cmp_eq_u32 s10, 1
	s_cselect_b64 s[0:1], -1, 0
	s_cmp_lg_u32 s10, 1
	s_cselect_b64 s[20:21], -1, 0
	s_lshl_b64 s[10:11], s[6:7], 3
	s_add_u32 s24, s2, s10
	s_addc_u32 s25, s3, s11
	s_add_u32 s2, s24, 8
	s_addc_u32 s3, s25, 0
	;; [unrolled: 2-line block ×3, first 2 shown]
	s_cmp_eq_u64 s[8:9], 0
	s_cselect_b32 s9, s3, s11
	s_cselect_b32 s8, s2, s10
	s_load_dwordx2 s[2:3], s[8:9], 0x0
	s_load_dwordx2 s[22:23], s[24:25], 0x0
	v_sub_u16_e32 v11, v0, v2
	s_waitcnt lgkmcnt(0)
	v_mov_b32_e32 v2, s2
	v_mov_b32_e32 v3, s3
	v_cmp_ge_i64_e32 vcc, s[22:23], v[2:3]
	v_mov_b32_e32 v2, 0
	s_cbranch_vccnz .LBB379_12
; %bb.8:
	s_load_dwordx4 s[8:11], s[4:5], 0x38
	s_load_dwordx2 s[24:25], s[4:5], 0x48
	s_mov_b32 s4, 0xffff
	s_movk_i32 s5, 0x310
	v_and_b32_sdwa v1, s4, v1 dst_sel:DWORD dst_unused:UNUSED_PAD src0_sel:DWORD src1_sel:WORD_1
	s_sub_u32 s2, s2, s18
	v_subrev_u32_e32 v2, 28, v1
	v_cmp_gt_u32_e32 vcc, s5, v0
	s_subb_u32 s3, s3, 0
	v_cndmask_b32_e32 v1, v2, v1, vcc
	s_sub_u32 s4, s22, s18
	v_cndmask_b32_e64 v1, v11, v1, s[0:1]
	v_mov_b32_e32 v2, 0
	s_subb_u32 s5, s23, 0
	v_lshlrev_b64 v[3:4], 1, v[1:2]
	s_mul_i32 s0, s5, 0x620
	s_mul_hi_u32 s1, s4, 0x620
	s_add_i32 s1, s1, s0
	s_mul_i32 s0, s4, 0x620
	s_waitcnt lgkmcnt(0)
	v_mov_b32_e32 v1, s25
	v_add_co_u32_e32 v3, vcc, s24, v3
	s_add_u32 s0, s10, s0
	v_addc_co_u32_e32 v4, vcc, v1, v4, vcc
	s_addc_u32 s1, s11, s1
	v_lshlrev_b32_e32 v1, 1, v0
	v_mov_b32_e32 v6, s1
	v_add_co_u32_e32 v5, vcc, s0, v1
	v_addc_co_u32_e32 v6, vcc, 0, v6, vcc
	s_movk_i32 s0, 0x30f
	v_cmp_lt_u32_e32 vcc, s0, v0
	v_cndmask_b32_e64 v1, 0, 1, vcc
	v_mov_b32_e32 v7, s23
	v_add_co_u32_e32 v8, vcc, s22, v1
	v_addc_co_u32_e32 v9, vcc, 0, v7, vcc
	v_subrev_co_u32_e32 v7, vcc, s18, v8
	v_subbrev_co_u32_e32 v8, vcc, 0, v9, vcc
	v_lshlrev_b64 v[7:8], 3, v[7:8]
	v_mov_b32_e32 v9, s9
	v_add_co_u32_e32 v7, vcc, s8, v7
	v_addc_co_u32_e32 v8, vcc, v9, v8, vcc
	v_mov_b32_e32 v10, s3
	v_mov_b32_e32 v9, s2
	s_branch .LBB379_10
.LBB379_9:                              ;   in Loop: Header=BB379_10 Depth=1
	s_or_b64 exec, exec, s[0:1]
	s_add_u32 s4, s4, 1
	s_addc_u32 s5, s5, 0
	v_cmp_lt_i64_e32 vcc, s[4:5], v[9:10]
	v_add_co_u32_e64 v7, s[0:1], 8, v7
	v_addc_co_u32_e64 v8, s[0:1], 0, v8, s[0:1]
	s_cbranch_vccz .LBB379_12
.LBB379_10:                             ; =>This Inner Loop Header: Depth=1
	v_mov_b32_e32 v13, s5
	v_add_co_u32_e32 v12, vcc, s4, v1
	v_addc_co_u32_e32 v13, vcc, 0, v13, vcc
	v_cmp_gt_i64_e32 vcc, s[2:3], v[12:13]
	s_and_saveexec_b64 s[0:1], vcc
	s_cbranch_execz .LBB379_9
; %bb.11:                               ;   in Loop: Header=BB379_10 Depth=1
	global_load_dwordx2 v[12:13], v[7:8], off
	s_waitcnt vmcnt(0)
	v_subrev_co_u32_e32 v12, vcc, s18, v12
	v_subbrev_co_u32_e32 v14, vcc, 0, v13, vcc
	v_mad_u64_u32 v[12:13], s[8:9], v12, 56, v[3:4]
	v_mad_u64_u32 v[13:14], s[8:9], v14, 56, v[13:14]
	global_load_ushort v14, v[5:6], off
	s_nop 0
	global_load_ushort v12, v[12:13], off
	v_add_co_u32_e32 v5, vcc, 0x620, v5
	v_addc_co_u32_e32 v6, vcc, 0, v6, vcc
	s_waitcnt vmcnt(1)
	v_lshlrev_b32_e32 v13, 16, v14
	s_waitcnt vmcnt(0)
	v_lshlrev_b32_e32 v12, 16, v12
	v_fmac_f32_e32 v2, v13, v12
	s_branch .LBB379_9
.LBB379_12:
	v_lshlrev_b32_e32 v1, 2, v0
	s_and_b64 vcc, exec, s[20:21]
	ds_write_b32 v1, v2
	s_waitcnt lgkmcnt(0)
	s_barrier
	s_cbranch_vccz .LBB379_24
; %bb.13:
	v_cmp_gt_u16_e32 vcc, 12, v11
	s_and_saveexec_b64 s[0:1], vcc
	s_cbranch_execz .LBB379_15
; %bb.14:
	ds_read2_b32 v[3:4], v1 offset1:16
	s_waitcnt lgkmcnt(0)
	v_add_f32_e32 v3, v4, v3
	ds_write_b32 v1, v3
.LBB379_15:
	s_or_b64 exec, exec, s[0:1]
	v_cmp_gt_u16_e32 vcc, 8, v11
	s_waitcnt lgkmcnt(0)
	s_barrier
	s_and_saveexec_b64 s[0:1], vcc
	s_cbranch_execz .LBB379_17
; %bb.16:
	ds_read2_b32 v[3:4], v1 offset1:8
	s_waitcnt lgkmcnt(0)
	v_add_f32_e32 v3, v4, v3
	ds_write_b32 v1, v3
.LBB379_17:
	s_or_b64 exec, exec, s[0:1]
	v_cmp_gt_u16_e32 vcc, 4, v11
	s_waitcnt lgkmcnt(0)
	s_barrier
	;; [unrolled: 12-line block ×3, first 2 shown]
	s_and_saveexec_b64 s[0:1], vcc
	s_cbranch_execz .LBB379_21
; %bb.20:
	ds_read2_b32 v[3:4], v1 offset1:2
	s_waitcnt lgkmcnt(0)
	v_add_f32_e32 v3, v4, v3
	ds_write_b32 v1, v3
.LBB379_21:
	s_or_b64 exec, exec, s[0:1]
	v_cmp_gt_u32_e32 vcc, 28, v0
	v_mov_b32_e32 v3, v2
	s_waitcnt lgkmcnt(0)
	s_barrier
	s_and_saveexec_b64 s[0:1], vcc
	s_cbranch_execz .LBB379_23
; %bb.22:
	s_movk_i32 s2, 0x6c
	v_mad_u32_u24 v3, v0, s2, v1
	ds_read_b64 v[3:4], v3
	s_waitcnt lgkmcnt(0)
	v_add_f32_e32 v3, v3, v4
.LBB379_23:
	s_or_b64 exec, exec, s[0:1]
	s_branch .LBB379_36
.LBB379_24:
                                        ; implicit-def: $vgpr3
	s_cbranch_execz .LBB379_36
; %bb.25:
	s_movk_i32 s0, 0x150
	v_cmp_gt_u32_e32 vcc, s0, v0
	s_and_saveexec_b64 s[0:1], vcc
	s_cbranch_execz .LBB379_27
; %bb.26:
	ds_read2st64_b32 v[3:4], v1 offset1:7
	s_waitcnt lgkmcnt(0)
	v_add_f32_e32 v3, v4, v3
	ds_write_b32 v1, v3
.LBB379_27:
	s_or_b64 exec, exec, s[0:1]
	s_movk_i32 s0, 0xe0
	v_cmp_gt_u32_e32 vcc, s0, v0
	s_waitcnt lgkmcnt(0)
	s_barrier
	s_and_saveexec_b64 s[0:1], vcc
	s_cbranch_execz .LBB379_29
; %bb.28:
	ds_read2_b32 v[3:4], v1 offset1:224
	s_waitcnt lgkmcnt(0)
	v_add_f32_e32 v3, v4, v3
	ds_write_b32 v1, v3
.LBB379_29:
	s_or_b64 exec, exec, s[0:1]
	s_movk_i32 s0, 0x70
	v_cmp_gt_u32_e32 vcc, s0, v0
	s_waitcnt lgkmcnt(0)
	s_barrier
	s_and_saveexec_b64 s[0:1], vcc
	s_cbranch_execz .LBB379_31
; %bb.30:
	ds_read2_b32 v[3:4], v1 offset1:112
	s_waitcnt lgkmcnt(0)
	v_add_f32_e32 v3, v4, v3
	ds_write_b32 v1, v3
.LBB379_31:
	s_or_b64 exec, exec, s[0:1]
	v_cmp_gt_u32_e32 vcc, 56, v0
	s_waitcnt lgkmcnt(0)
	s_barrier
	s_and_saveexec_b64 s[0:1], vcc
	s_cbranch_execz .LBB379_33
; %bb.32:
	ds_read2_b32 v[3:4], v1 offset1:56
	s_waitcnt lgkmcnt(0)
	v_add_f32_e32 v3, v4, v3
	ds_write_b32 v1, v3
.LBB379_33:
	s_or_b64 exec, exec, s[0:1]
	v_cmp_gt_u32_e32 vcc, 28, v0
	s_waitcnt lgkmcnt(0)
	s_and_saveexec_b64 s[0:1], vcc
	s_cbranch_execz .LBB379_35
; %bb.34:
	ds_read2_b32 v[2:3], v1 offset1:28
	s_waitcnt lgkmcnt(0)
	v_add_f32_e32 v2, v2, v3
.LBB379_35:
	s_or_b64 exec, exec, s[0:1]
	v_mov_b32_e32 v3, v2
.LBB379_36:
	v_cmp_gt_u32_e32 vcc, 28, v0
	s_and_saveexec_b64 s[0:1], vcc
	s_cbranch_execz .LBB379_40
; %bb.37:
	v_cmp_eq_f32_e64 s[0:1], s12, 0
	s_and_b64 vcc, exec, s[0:1]
	v_mul_f32_e32 v0, s14, v3
	s_mul_i32 s2, s7, 0x70
	s_mul_hi_u32 s3, s6, 0x70
	s_mul_i32 s4, s6, 0x70
	s_cbranch_vccz .LBB379_41
; %bb.38:
	s_add_i32 s1, s3, s2
	s_add_u32 s0, s16, s4
	s_addc_u32 s1, s17, s1
	global_store_dword v1, v0, s[0:1]
	s_cbranch_execnz .LBB379_40
.LBB379_39:
	s_add_i32 s3, s3, s2
	s_add_u32 s0, s16, s4
	s_addc_u32 s1, s17, s3
	global_load_dword v2, v1, s[0:1]
	s_waitcnt vmcnt(0)
	v_fmac_f32_e32 v0, s12, v2
	global_store_dword v1, v0, s[0:1]
.LBB379_40:
	s_endpgm
.LBB379_41:
	s_branch .LBB379_39
	.section	.rodata,"a",@progbits
	.p2align	6, 0x0
	.amdhsa_kernel _ZN9rocsparseL20bsrxmvn_17_32_kernelILj28Efll18rocsparse_bfloat16S1_fEEvT2_20rocsparse_direction_NS_24const_host_device_scalarIT0_EES2_PKS2_PKT1_SB_S8_PKT3_PKT4_S6_PT5_21rocsparse_index_base_b
		.amdhsa_group_segment_fixed_size 3136
		.amdhsa_private_segment_fixed_size 0
		.amdhsa_kernarg_size 104
		.amdhsa_user_sgpr_count 6
		.amdhsa_user_sgpr_private_segment_buffer 1
		.amdhsa_user_sgpr_dispatch_ptr 0
		.amdhsa_user_sgpr_queue_ptr 0
		.amdhsa_user_sgpr_kernarg_segment_ptr 1
		.amdhsa_user_sgpr_dispatch_id 0
		.amdhsa_user_sgpr_flat_scratch_init 0
		.amdhsa_user_sgpr_private_segment_size 0
		.amdhsa_uses_dynamic_stack 0
		.amdhsa_system_sgpr_private_segment_wavefront_offset 0
		.amdhsa_system_sgpr_workgroup_id_x 1
		.amdhsa_system_sgpr_workgroup_id_y 0
		.amdhsa_system_sgpr_workgroup_id_z 0
		.amdhsa_system_sgpr_workgroup_info 0
		.amdhsa_system_vgpr_workitem_id 0
		.amdhsa_next_free_vgpr 15
		.amdhsa_next_free_sgpr 26
		.amdhsa_reserve_vcc 1
		.amdhsa_reserve_flat_scratch 0
		.amdhsa_float_round_mode_32 0
		.amdhsa_float_round_mode_16_64 0
		.amdhsa_float_denorm_mode_32 3
		.amdhsa_float_denorm_mode_16_64 3
		.amdhsa_dx10_clamp 1
		.amdhsa_ieee_mode 1
		.amdhsa_fp16_overflow 0
		.amdhsa_exception_fp_ieee_invalid_op 0
		.amdhsa_exception_fp_denorm_src 0
		.amdhsa_exception_fp_ieee_div_zero 0
		.amdhsa_exception_fp_ieee_overflow 0
		.amdhsa_exception_fp_ieee_underflow 0
		.amdhsa_exception_fp_ieee_inexact 0
		.amdhsa_exception_int_div_zero 0
	.end_amdhsa_kernel
	.section	.text._ZN9rocsparseL20bsrxmvn_17_32_kernelILj28Efll18rocsparse_bfloat16S1_fEEvT2_20rocsparse_direction_NS_24const_host_device_scalarIT0_EES2_PKS2_PKT1_SB_S8_PKT3_PKT4_S6_PT5_21rocsparse_index_base_b,"axG",@progbits,_ZN9rocsparseL20bsrxmvn_17_32_kernelILj28Efll18rocsparse_bfloat16S1_fEEvT2_20rocsparse_direction_NS_24const_host_device_scalarIT0_EES2_PKS2_PKT1_SB_S8_PKT3_PKT4_S6_PT5_21rocsparse_index_base_b,comdat
.Lfunc_end379:
	.size	_ZN9rocsparseL20bsrxmvn_17_32_kernelILj28Efll18rocsparse_bfloat16S1_fEEvT2_20rocsparse_direction_NS_24const_host_device_scalarIT0_EES2_PKS2_PKT1_SB_S8_PKT3_PKT4_S6_PT5_21rocsparse_index_base_b, .Lfunc_end379-_ZN9rocsparseL20bsrxmvn_17_32_kernelILj28Efll18rocsparse_bfloat16S1_fEEvT2_20rocsparse_direction_NS_24const_host_device_scalarIT0_EES2_PKS2_PKT1_SB_S8_PKT3_PKT4_S6_PT5_21rocsparse_index_base_b
                                        ; -- End function
	.set _ZN9rocsparseL20bsrxmvn_17_32_kernelILj28Efll18rocsparse_bfloat16S1_fEEvT2_20rocsparse_direction_NS_24const_host_device_scalarIT0_EES2_PKS2_PKT1_SB_S8_PKT3_PKT4_S6_PT5_21rocsparse_index_base_b.num_vgpr, 15
	.set _ZN9rocsparseL20bsrxmvn_17_32_kernelILj28Efll18rocsparse_bfloat16S1_fEEvT2_20rocsparse_direction_NS_24const_host_device_scalarIT0_EES2_PKS2_PKT1_SB_S8_PKT3_PKT4_S6_PT5_21rocsparse_index_base_b.num_agpr, 0
	.set _ZN9rocsparseL20bsrxmvn_17_32_kernelILj28Efll18rocsparse_bfloat16S1_fEEvT2_20rocsparse_direction_NS_24const_host_device_scalarIT0_EES2_PKS2_PKT1_SB_S8_PKT3_PKT4_S6_PT5_21rocsparse_index_base_b.numbered_sgpr, 26
	.set _ZN9rocsparseL20bsrxmvn_17_32_kernelILj28Efll18rocsparse_bfloat16S1_fEEvT2_20rocsparse_direction_NS_24const_host_device_scalarIT0_EES2_PKS2_PKT1_SB_S8_PKT3_PKT4_S6_PT5_21rocsparse_index_base_b.num_named_barrier, 0
	.set _ZN9rocsparseL20bsrxmvn_17_32_kernelILj28Efll18rocsparse_bfloat16S1_fEEvT2_20rocsparse_direction_NS_24const_host_device_scalarIT0_EES2_PKS2_PKT1_SB_S8_PKT3_PKT4_S6_PT5_21rocsparse_index_base_b.private_seg_size, 0
	.set _ZN9rocsparseL20bsrxmvn_17_32_kernelILj28Efll18rocsparse_bfloat16S1_fEEvT2_20rocsparse_direction_NS_24const_host_device_scalarIT0_EES2_PKS2_PKT1_SB_S8_PKT3_PKT4_S6_PT5_21rocsparse_index_base_b.uses_vcc, 1
	.set _ZN9rocsparseL20bsrxmvn_17_32_kernelILj28Efll18rocsparse_bfloat16S1_fEEvT2_20rocsparse_direction_NS_24const_host_device_scalarIT0_EES2_PKS2_PKT1_SB_S8_PKT3_PKT4_S6_PT5_21rocsparse_index_base_b.uses_flat_scratch, 0
	.set _ZN9rocsparseL20bsrxmvn_17_32_kernelILj28Efll18rocsparse_bfloat16S1_fEEvT2_20rocsparse_direction_NS_24const_host_device_scalarIT0_EES2_PKS2_PKT1_SB_S8_PKT3_PKT4_S6_PT5_21rocsparse_index_base_b.has_dyn_sized_stack, 0
	.set _ZN9rocsparseL20bsrxmvn_17_32_kernelILj28Efll18rocsparse_bfloat16S1_fEEvT2_20rocsparse_direction_NS_24const_host_device_scalarIT0_EES2_PKS2_PKT1_SB_S8_PKT3_PKT4_S6_PT5_21rocsparse_index_base_b.has_recursion, 0
	.set _ZN9rocsparseL20bsrxmvn_17_32_kernelILj28Efll18rocsparse_bfloat16S1_fEEvT2_20rocsparse_direction_NS_24const_host_device_scalarIT0_EES2_PKS2_PKT1_SB_S8_PKT3_PKT4_S6_PT5_21rocsparse_index_base_b.has_indirect_call, 0
	.section	.AMDGPU.csdata,"",@progbits
; Kernel info:
; codeLenInByte = 1316
; TotalNumSgprs: 30
; NumVgprs: 15
; ScratchSize: 0
; MemoryBound: 0
; FloatMode: 240
; IeeeMode: 1
; LDSByteSize: 3136 bytes/workgroup (compile time only)
; SGPRBlocks: 3
; VGPRBlocks: 3
; NumSGPRsForWavesPerEU: 30
; NumVGPRsForWavesPerEU: 15
; Occupancy: 10
; WaveLimiterHint : 1
; COMPUTE_PGM_RSRC2:SCRATCH_EN: 0
; COMPUTE_PGM_RSRC2:USER_SGPR: 6
; COMPUTE_PGM_RSRC2:TRAP_HANDLER: 0
; COMPUTE_PGM_RSRC2:TGID_X_EN: 1
; COMPUTE_PGM_RSRC2:TGID_Y_EN: 0
; COMPUTE_PGM_RSRC2:TGID_Z_EN: 0
; COMPUTE_PGM_RSRC2:TIDIG_COMP_CNT: 0
	.section	.text._ZN9rocsparseL20bsrxmvn_17_32_kernelILj29Efll18rocsparse_bfloat16S1_fEEvT2_20rocsparse_direction_NS_24const_host_device_scalarIT0_EES2_PKS2_PKT1_SB_S8_PKT3_PKT4_S6_PT5_21rocsparse_index_base_b,"axG",@progbits,_ZN9rocsparseL20bsrxmvn_17_32_kernelILj29Efll18rocsparse_bfloat16S1_fEEvT2_20rocsparse_direction_NS_24const_host_device_scalarIT0_EES2_PKS2_PKT1_SB_S8_PKT3_PKT4_S6_PT5_21rocsparse_index_base_b,comdat
	.globl	_ZN9rocsparseL20bsrxmvn_17_32_kernelILj29Efll18rocsparse_bfloat16S1_fEEvT2_20rocsparse_direction_NS_24const_host_device_scalarIT0_EES2_PKS2_PKT1_SB_S8_PKT3_PKT4_S6_PT5_21rocsparse_index_base_b ; -- Begin function _ZN9rocsparseL20bsrxmvn_17_32_kernelILj29Efll18rocsparse_bfloat16S1_fEEvT2_20rocsparse_direction_NS_24const_host_device_scalarIT0_EES2_PKS2_PKT1_SB_S8_PKT3_PKT4_S6_PT5_21rocsparse_index_base_b
	.p2align	8
	.type	_ZN9rocsparseL20bsrxmvn_17_32_kernelILj29Efll18rocsparse_bfloat16S1_fEEvT2_20rocsparse_direction_NS_24const_host_device_scalarIT0_EES2_PKS2_PKT1_SB_S8_PKT3_PKT4_S6_PT5_21rocsparse_index_base_b,@function
_ZN9rocsparseL20bsrxmvn_17_32_kernelILj29Efll18rocsparse_bfloat16S1_fEEvT2_20rocsparse_direction_NS_24const_host_device_scalarIT0_EES2_PKS2_PKT1_SB_S8_PKT3_PKT4_S6_PT5_21rocsparse_index_base_b: ; @_ZN9rocsparseL20bsrxmvn_17_32_kernelILj29Efll18rocsparse_bfloat16S1_fEEvT2_20rocsparse_direction_NS_24const_host_device_scalarIT0_EES2_PKS2_PKT1_SB_S8_PKT3_PKT4_S6_PT5_21rocsparse_index_base_b
; %bb.0:
	s_load_dwordx2 s[18:19], s[4:5], 0x60
	s_load_dwordx2 s[14:15], s[4:5], 0x10
	;; [unrolled: 1-line block ×3, first 2 shown]
	s_waitcnt lgkmcnt(0)
	s_bitcmp1_b32 s19, 0
	s_cselect_b64 s[2:3], -1, 0
	s_xor_b64 s[0:1], s[2:3], -1
	s_and_b64 vcc, exec, s[2:3]
	s_cbranch_vccnz .LBB380_2
; %bb.1:
	s_load_dword s14, s[14:15], 0x0
.LBB380_2:
	s_andn2_b64 vcc, exec, s[0:1]
	s_cbranch_vccnz .LBB380_4
; %bb.3:
	s_load_dword s12, s[12:13], 0x0
.LBB380_4:
	s_waitcnt lgkmcnt(0)
	v_cmp_neq_f32_e64 s[0:1], s14, 0
	v_cmp_neq_f32_e64 s[2:3], s12, 1.0
	s_or_b64 s[0:1], s[0:1], s[2:3]
	s_andn2_b64 vcc, exec, s[0:1]
	s_mov_b32 s7, 0
	s_cbranch_vccnz .LBB380_40
; %bb.5:
	s_load_dwordx4 s[0:3], s[4:5], 0x20
	s_load_dwordx2 s[8:9], s[4:5], 0x30
	s_waitcnt lgkmcnt(0)
	s_cmp_eq_u64 s[0:1], 0
	s_cbranch_scc1 .LBB380_7
; %bb.6:
	s_lshl_b64 s[6:7], s[6:7], 3
	s_add_u32 s0, s0, s6
	s_addc_u32 s1, s1, s7
	s_load_dwordx2 s[0:1], s[0:1], 0x0
	s_waitcnt lgkmcnt(0)
	s_sub_u32 s6, s0, s18
	s_subb_u32 s7, s1, 0
.LBB380_7:
	s_load_dword s10, s[4:5], 0x8
	s_load_dwordx2 s[16:17], s[4:5], 0x58
	v_mul_u32_u24_e32 v1, 0x8d4, v0
	v_mov_b32_e32 v2, 29
	v_mul_lo_u16_sdwa v2, v1, v2 dst_sel:DWORD dst_unused:UNUSED_PAD src0_sel:WORD_1 src1_sel:DWORD
	s_waitcnt lgkmcnt(0)
	s_cmp_eq_u32 s10, 1
	s_cselect_b64 s[0:1], -1, 0
	s_cmp_lg_u32 s10, 1
	s_cselect_b64 s[20:21], -1, 0
	s_lshl_b64 s[10:11], s[6:7], 3
	s_add_u32 s24, s2, s10
	s_addc_u32 s25, s3, s11
	s_add_u32 s2, s24, 8
	s_addc_u32 s3, s25, 0
	;; [unrolled: 2-line block ×3, first 2 shown]
	s_cmp_eq_u64 s[8:9], 0
	s_cselect_b32 s9, s3, s11
	s_cselect_b32 s8, s2, s10
	s_load_dwordx2 s[2:3], s[8:9], 0x0
	s_load_dwordx2 s[22:23], s[24:25], 0x0
	v_sub_u16_e32 v11, v0, v2
	s_waitcnt lgkmcnt(0)
	v_mov_b32_e32 v2, s2
	v_mov_b32_e32 v3, s3
	v_cmp_ge_i64_e32 vcc, s[22:23], v[2:3]
	v_mov_b32_e32 v2, 0
	s_cbranch_vccnz .LBB380_12
; %bb.8:
	s_load_dwordx4 s[8:11], s[4:5], 0x38
	s_load_dwordx2 s[24:25], s[4:5], 0x48
	s_mov_b32 s4, 0xffff
	s_movk_i32 s5, 0x349
	v_and_b32_sdwa v1, s4, v1 dst_sel:DWORD dst_unused:UNUSED_PAD src0_sel:DWORD src1_sel:WORD_1
	s_sub_u32 s2, s2, s18
	v_subrev_u32_e32 v2, 29, v1
	v_cmp_gt_u32_e32 vcc, s5, v0
	s_subb_u32 s3, s3, 0
	v_cndmask_b32_e32 v1, v2, v1, vcc
	s_sub_u32 s4, s22, s18
	v_cndmask_b32_e64 v1, v11, v1, s[0:1]
	v_mov_b32_e32 v2, 0
	s_subb_u32 s5, s23, 0
	v_lshlrev_b64 v[3:4], 1, v[1:2]
	s_mul_i32 s0, s5, 0x692
	s_mul_hi_u32 s1, s4, 0x692
	s_add_i32 s1, s1, s0
	s_mul_i32 s0, s4, 0x692
	s_waitcnt lgkmcnt(0)
	v_mov_b32_e32 v1, s25
	v_add_co_u32_e32 v3, vcc, s24, v3
	s_add_u32 s0, s10, s0
	v_addc_co_u32_e32 v4, vcc, v1, v4, vcc
	s_addc_u32 s1, s11, s1
	v_lshlrev_b32_e32 v1, 1, v0
	v_mov_b32_e32 v6, s1
	v_add_co_u32_e32 v5, vcc, s0, v1
	v_addc_co_u32_e32 v6, vcc, 0, v6, vcc
	s_movk_i32 s0, 0x348
	v_cmp_lt_u32_e32 vcc, s0, v0
	v_cndmask_b32_e64 v1, 0, 1, vcc
	v_mov_b32_e32 v7, s23
	v_add_co_u32_e32 v8, vcc, s22, v1
	v_addc_co_u32_e32 v9, vcc, 0, v7, vcc
	v_subrev_co_u32_e32 v7, vcc, s18, v8
	v_subbrev_co_u32_e32 v8, vcc, 0, v9, vcc
	v_lshlrev_b64 v[7:8], 3, v[7:8]
	v_mov_b32_e32 v9, s9
	v_add_co_u32_e32 v7, vcc, s8, v7
	v_addc_co_u32_e32 v8, vcc, v9, v8, vcc
	v_mov_b32_e32 v10, s3
	v_mov_b32_e32 v9, s2
	s_branch .LBB380_10
.LBB380_9:                              ;   in Loop: Header=BB380_10 Depth=1
	s_or_b64 exec, exec, s[0:1]
	s_add_u32 s4, s4, 1
	s_addc_u32 s5, s5, 0
	v_cmp_lt_i64_e32 vcc, s[4:5], v[9:10]
	v_add_co_u32_e64 v7, s[0:1], 8, v7
	v_addc_co_u32_e64 v8, s[0:1], 0, v8, s[0:1]
	s_cbranch_vccz .LBB380_12
.LBB380_10:                             ; =>This Inner Loop Header: Depth=1
	v_mov_b32_e32 v13, s5
	v_add_co_u32_e32 v12, vcc, s4, v1
	v_addc_co_u32_e32 v13, vcc, 0, v13, vcc
	v_cmp_gt_i64_e32 vcc, s[2:3], v[12:13]
	s_and_saveexec_b64 s[0:1], vcc
	s_cbranch_execz .LBB380_9
; %bb.11:                               ;   in Loop: Header=BB380_10 Depth=1
	global_load_dwordx2 v[12:13], v[7:8], off
	s_waitcnt vmcnt(0)
	v_subrev_co_u32_e32 v12, vcc, s18, v12
	v_subbrev_co_u32_e32 v14, vcc, 0, v13, vcc
	v_mad_u64_u32 v[12:13], s[8:9], v12, 58, v[3:4]
	v_mad_u64_u32 v[13:14], s[8:9], v14, 58, v[13:14]
	global_load_ushort v14, v[5:6], off
	s_nop 0
	global_load_ushort v12, v[12:13], off
	v_add_co_u32_e32 v5, vcc, 0x692, v5
	v_addc_co_u32_e32 v6, vcc, 0, v6, vcc
	s_waitcnt vmcnt(1)
	v_lshlrev_b32_e32 v13, 16, v14
	s_waitcnt vmcnt(0)
	v_lshlrev_b32_e32 v12, 16, v12
	v_fmac_f32_e32 v2, v13, v12
	s_branch .LBB380_9
.LBB380_12:
	v_lshlrev_b32_e32 v1, 2, v0
	s_and_b64 vcc, exec, s[20:21]
	ds_write_b32 v1, v2
	s_waitcnt lgkmcnt(0)
	s_barrier
	s_cbranch_vccz .LBB380_24
; %bb.13:
	v_cmp_gt_u16_e32 vcc, 13, v11
	s_and_saveexec_b64 s[0:1], vcc
	s_cbranch_execz .LBB380_15
; %bb.14:
	ds_read2_b32 v[3:4], v1 offset1:16
	s_waitcnt lgkmcnt(0)
	v_add_f32_e32 v3, v4, v3
	ds_write_b32 v1, v3
.LBB380_15:
	s_or_b64 exec, exec, s[0:1]
	v_cmp_gt_u16_e32 vcc, 8, v11
	s_waitcnt lgkmcnt(0)
	s_barrier
	s_and_saveexec_b64 s[0:1], vcc
	s_cbranch_execz .LBB380_17
; %bb.16:
	ds_read2_b32 v[3:4], v1 offset1:8
	s_waitcnt lgkmcnt(0)
	v_add_f32_e32 v3, v4, v3
	ds_write_b32 v1, v3
.LBB380_17:
	s_or_b64 exec, exec, s[0:1]
	v_cmp_gt_u16_e32 vcc, 4, v11
	s_waitcnt lgkmcnt(0)
	s_barrier
	;; [unrolled: 12-line block ×3, first 2 shown]
	s_and_saveexec_b64 s[0:1], vcc
	s_cbranch_execz .LBB380_21
; %bb.20:
	ds_read2_b32 v[3:4], v1 offset1:2
	s_waitcnt lgkmcnt(0)
	v_add_f32_e32 v3, v4, v3
	ds_write_b32 v1, v3
.LBB380_21:
	s_or_b64 exec, exec, s[0:1]
	v_cmp_gt_u32_e32 vcc, 29, v0
	v_mov_b32_e32 v3, v2
	s_waitcnt lgkmcnt(0)
	s_barrier
	s_and_saveexec_b64 s[0:1], vcc
	s_cbranch_execz .LBB380_23
; %bb.22:
	s_movk_i32 s2, 0x70
	v_mad_u32_u24 v3, v0, s2, v1
	ds_read2_b32 v[3:4], v3 offset1:1
	s_waitcnt lgkmcnt(0)
	v_add_f32_e32 v3, v3, v4
.LBB380_23:
	s_or_b64 exec, exec, s[0:1]
	s_branch .LBB380_36
.LBB380_24:
                                        ; implicit-def: $vgpr3
	s_cbranch_execz .LBB380_36
; %bb.25:
	s_movk_i32 s0, 0x179
	v_cmp_gt_u32_e32 vcc, s0, v0
	s_and_saveexec_b64 s[0:1], vcc
	s_cbranch_execz .LBB380_27
; %bb.26:
	ds_read_b32 v3, v1 offset:1856
	ds_read_b32 v4, v1
	s_waitcnt lgkmcnt(0)
	v_add_f32_e32 v3, v3, v4
	ds_write_b32 v1, v3
.LBB380_27:
	s_or_b64 exec, exec, s[0:1]
	s_movk_i32 s0, 0xe8
	v_cmp_gt_u32_e32 vcc, s0, v0
	s_waitcnt lgkmcnt(0)
	s_barrier
	s_and_saveexec_b64 s[0:1], vcc
	s_cbranch_execz .LBB380_29
; %bb.28:
	ds_read2_b32 v[3:4], v1 offset1:232
	s_waitcnt lgkmcnt(0)
	v_add_f32_e32 v3, v4, v3
	ds_write_b32 v1, v3
.LBB380_29:
	s_or_b64 exec, exec, s[0:1]
	s_movk_i32 s0, 0x74
	v_cmp_gt_u32_e32 vcc, s0, v0
	s_waitcnt lgkmcnt(0)
	s_barrier
	s_and_saveexec_b64 s[0:1], vcc
	s_cbranch_execz .LBB380_31
; %bb.30:
	ds_read2_b32 v[3:4], v1 offset1:116
	s_waitcnt lgkmcnt(0)
	v_add_f32_e32 v3, v4, v3
	ds_write_b32 v1, v3
.LBB380_31:
	s_or_b64 exec, exec, s[0:1]
	v_cmp_gt_u32_e32 vcc, 58, v0
	s_waitcnt lgkmcnt(0)
	s_barrier
	s_and_saveexec_b64 s[0:1], vcc
	s_cbranch_execz .LBB380_33
; %bb.32:
	ds_read2_b32 v[3:4], v1 offset1:58
	s_waitcnt lgkmcnt(0)
	v_add_f32_e32 v3, v4, v3
	ds_write_b32 v1, v3
.LBB380_33:
	s_or_b64 exec, exec, s[0:1]
	v_cmp_gt_u32_e32 vcc, 29, v0
	s_waitcnt lgkmcnt(0)
	s_and_saveexec_b64 s[0:1], vcc
	s_cbranch_execz .LBB380_35
; %bb.34:
	ds_read2_b32 v[2:3], v1 offset1:29
	s_waitcnt lgkmcnt(0)
	v_add_f32_e32 v2, v2, v3
.LBB380_35:
	s_or_b64 exec, exec, s[0:1]
	v_mov_b32_e32 v3, v2
.LBB380_36:
	v_cmp_gt_u32_e32 vcc, 29, v0
	s_and_saveexec_b64 s[0:1], vcc
	s_cbranch_execz .LBB380_40
; %bb.37:
	v_cmp_eq_f32_e64 s[0:1], s12, 0
	s_and_b64 vcc, exec, s[0:1]
	v_mul_f32_e32 v0, s14, v3
	s_mul_i32 s2, s7, 0x74
	s_mul_hi_u32 s3, s6, 0x74
	s_mul_i32 s4, s6, 0x74
	s_cbranch_vccz .LBB380_41
; %bb.38:
	s_add_i32 s1, s3, s2
	s_add_u32 s0, s16, s4
	s_addc_u32 s1, s17, s1
	global_store_dword v1, v0, s[0:1]
	s_cbranch_execnz .LBB380_40
.LBB380_39:
	s_add_i32 s3, s3, s2
	s_add_u32 s0, s16, s4
	s_addc_u32 s1, s17, s3
	global_load_dword v2, v1, s[0:1]
	s_waitcnt vmcnt(0)
	v_fmac_f32_e32 v0, s12, v2
	global_store_dword v1, v0, s[0:1]
.LBB380_40:
	s_endpgm
.LBB380_41:
	s_branch .LBB380_39
	.section	.rodata,"a",@progbits
	.p2align	6, 0x0
	.amdhsa_kernel _ZN9rocsparseL20bsrxmvn_17_32_kernelILj29Efll18rocsparse_bfloat16S1_fEEvT2_20rocsparse_direction_NS_24const_host_device_scalarIT0_EES2_PKS2_PKT1_SB_S8_PKT3_PKT4_S6_PT5_21rocsparse_index_base_b
		.amdhsa_group_segment_fixed_size 3364
		.amdhsa_private_segment_fixed_size 0
		.amdhsa_kernarg_size 104
		.amdhsa_user_sgpr_count 6
		.amdhsa_user_sgpr_private_segment_buffer 1
		.amdhsa_user_sgpr_dispatch_ptr 0
		.amdhsa_user_sgpr_queue_ptr 0
		.amdhsa_user_sgpr_kernarg_segment_ptr 1
		.amdhsa_user_sgpr_dispatch_id 0
		.amdhsa_user_sgpr_flat_scratch_init 0
		.amdhsa_user_sgpr_private_segment_size 0
		.amdhsa_uses_dynamic_stack 0
		.amdhsa_system_sgpr_private_segment_wavefront_offset 0
		.amdhsa_system_sgpr_workgroup_id_x 1
		.amdhsa_system_sgpr_workgroup_id_y 0
		.amdhsa_system_sgpr_workgroup_id_z 0
		.amdhsa_system_sgpr_workgroup_info 0
		.amdhsa_system_vgpr_workitem_id 0
		.amdhsa_next_free_vgpr 33
		.amdhsa_next_free_sgpr 77
		.amdhsa_reserve_vcc 1
		.amdhsa_reserve_flat_scratch 0
		.amdhsa_float_round_mode_32 0
		.amdhsa_float_round_mode_16_64 0
		.amdhsa_float_denorm_mode_32 3
		.amdhsa_float_denorm_mode_16_64 3
		.amdhsa_dx10_clamp 1
		.amdhsa_ieee_mode 1
		.amdhsa_fp16_overflow 0
		.amdhsa_exception_fp_ieee_invalid_op 0
		.amdhsa_exception_fp_denorm_src 0
		.amdhsa_exception_fp_ieee_div_zero 0
		.amdhsa_exception_fp_ieee_overflow 0
		.amdhsa_exception_fp_ieee_underflow 0
		.amdhsa_exception_fp_ieee_inexact 0
		.amdhsa_exception_int_div_zero 0
	.end_amdhsa_kernel
	.section	.text._ZN9rocsparseL20bsrxmvn_17_32_kernelILj29Efll18rocsparse_bfloat16S1_fEEvT2_20rocsparse_direction_NS_24const_host_device_scalarIT0_EES2_PKS2_PKT1_SB_S8_PKT3_PKT4_S6_PT5_21rocsparse_index_base_b,"axG",@progbits,_ZN9rocsparseL20bsrxmvn_17_32_kernelILj29Efll18rocsparse_bfloat16S1_fEEvT2_20rocsparse_direction_NS_24const_host_device_scalarIT0_EES2_PKS2_PKT1_SB_S8_PKT3_PKT4_S6_PT5_21rocsparse_index_base_b,comdat
.Lfunc_end380:
	.size	_ZN9rocsparseL20bsrxmvn_17_32_kernelILj29Efll18rocsparse_bfloat16S1_fEEvT2_20rocsparse_direction_NS_24const_host_device_scalarIT0_EES2_PKS2_PKT1_SB_S8_PKT3_PKT4_S6_PT5_21rocsparse_index_base_b, .Lfunc_end380-_ZN9rocsparseL20bsrxmvn_17_32_kernelILj29Efll18rocsparse_bfloat16S1_fEEvT2_20rocsparse_direction_NS_24const_host_device_scalarIT0_EES2_PKS2_PKT1_SB_S8_PKT3_PKT4_S6_PT5_21rocsparse_index_base_b
                                        ; -- End function
	.set _ZN9rocsparseL20bsrxmvn_17_32_kernelILj29Efll18rocsparse_bfloat16S1_fEEvT2_20rocsparse_direction_NS_24const_host_device_scalarIT0_EES2_PKS2_PKT1_SB_S8_PKT3_PKT4_S6_PT5_21rocsparse_index_base_b.num_vgpr, 15
	.set _ZN9rocsparseL20bsrxmvn_17_32_kernelILj29Efll18rocsparse_bfloat16S1_fEEvT2_20rocsparse_direction_NS_24const_host_device_scalarIT0_EES2_PKS2_PKT1_SB_S8_PKT3_PKT4_S6_PT5_21rocsparse_index_base_b.num_agpr, 0
	.set _ZN9rocsparseL20bsrxmvn_17_32_kernelILj29Efll18rocsparse_bfloat16S1_fEEvT2_20rocsparse_direction_NS_24const_host_device_scalarIT0_EES2_PKS2_PKT1_SB_S8_PKT3_PKT4_S6_PT5_21rocsparse_index_base_b.numbered_sgpr, 26
	.set _ZN9rocsparseL20bsrxmvn_17_32_kernelILj29Efll18rocsparse_bfloat16S1_fEEvT2_20rocsparse_direction_NS_24const_host_device_scalarIT0_EES2_PKS2_PKT1_SB_S8_PKT3_PKT4_S6_PT5_21rocsparse_index_base_b.num_named_barrier, 0
	.set _ZN9rocsparseL20bsrxmvn_17_32_kernelILj29Efll18rocsparse_bfloat16S1_fEEvT2_20rocsparse_direction_NS_24const_host_device_scalarIT0_EES2_PKS2_PKT1_SB_S8_PKT3_PKT4_S6_PT5_21rocsparse_index_base_b.private_seg_size, 0
	.set _ZN9rocsparseL20bsrxmvn_17_32_kernelILj29Efll18rocsparse_bfloat16S1_fEEvT2_20rocsparse_direction_NS_24const_host_device_scalarIT0_EES2_PKS2_PKT1_SB_S8_PKT3_PKT4_S6_PT5_21rocsparse_index_base_b.uses_vcc, 1
	.set _ZN9rocsparseL20bsrxmvn_17_32_kernelILj29Efll18rocsparse_bfloat16S1_fEEvT2_20rocsparse_direction_NS_24const_host_device_scalarIT0_EES2_PKS2_PKT1_SB_S8_PKT3_PKT4_S6_PT5_21rocsparse_index_base_b.uses_flat_scratch, 0
	.set _ZN9rocsparseL20bsrxmvn_17_32_kernelILj29Efll18rocsparse_bfloat16S1_fEEvT2_20rocsparse_direction_NS_24const_host_device_scalarIT0_EES2_PKS2_PKT1_SB_S8_PKT3_PKT4_S6_PT5_21rocsparse_index_base_b.has_dyn_sized_stack, 0
	.set _ZN9rocsparseL20bsrxmvn_17_32_kernelILj29Efll18rocsparse_bfloat16S1_fEEvT2_20rocsparse_direction_NS_24const_host_device_scalarIT0_EES2_PKS2_PKT1_SB_S8_PKT3_PKT4_S6_PT5_21rocsparse_index_base_b.has_recursion, 0
	.set _ZN9rocsparseL20bsrxmvn_17_32_kernelILj29Efll18rocsparse_bfloat16S1_fEEvT2_20rocsparse_direction_NS_24const_host_device_scalarIT0_EES2_PKS2_PKT1_SB_S8_PKT3_PKT4_S6_PT5_21rocsparse_index_base_b.has_indirect_call, 0
	.section	.AMDGPU.csdata,"",@progbits
; Kernel info:
; codeLenInByte = 1324
; TotalNumSgprs: 30
; NumVgprs: 15
; ScratchSize: 0
; MemoryBound: 0
; FloatMode: 240
; IeeeMode: 1
; LDSByteSize: 3364 bytes/workgroup (compile time only)
; SGPRBlocks: 10
; VGPRBlocks: 8
; NumSGPRsForWavesPerEU: 81
; NumVGPRsForWavesPerEU: 33
; Occupancy: 7
; WaveLimiterHint : 1
; COMPUTE_PGM_RSRC2:SCRATCH_EN: 0
; COMPUTE_PGM_RSRC2:USER_SGPR: 6
; COMPUTE_PGM_RSRC2:TRAP_HANDLER: 0
; COMPUTE_PGM_RSRC2:TGID_X_EN: 1
; COMPUTE_PGM_RSRC2:TGID_Y_EN: 0
; COMPUTE_PGM_RSRC2:TGID_Z_EN: 0
; COMPUTE_PGM_RSRC2:TIDIG_COMP_CNT: 0
	.section	.text._ZN9rocsparseL20bsrxmvn_17_32_kernelILj30Efll18rocsparse_bfloat16S1_fEEvT2_20rocsparse_direction_NS_24const_host_device_scalarIT0_EES2_PKS2_PKT1_SB_S8_PKT3_PKT4_S6_PT5_21rocsparse_index_base_b,"axG",@progbits,_ZN9rocsparseL20bsrxmvn_17_32_kernelILj30Efll18rocsparse_bfloat16S1_fEEvT2_20rocsparse_direction_NS_24const_host_device_scalarIT0_EES2_PKS2_PKT1_SB_S8_PKT3_PKT4_S6_PT5_21rocsparse_index_base_b,comdat
	.globl	_ZN9rocsparseL20bsrxmvn_17_32_kernelILj30Efll18rocsparse_bfloat16S1_fEEvT2_20rocsparse_direction_NS_24const_host_device_scalarIT0_EES2_PKS2_PKT1_SB_S8_PKT3_PKT4_S6_PT5_21rocsparse_index_base_b ; -- Begin function _ZN9rocsparseL20bsrxmvn_17_32_kernelILj30Efll18rocsparse_bfloat16S1_fEEvT2_20rocsparse_direction_NS_24const_host_device_scalarIT0_EES2_PKS2_PKT1_SB_S8_PKT3_PKT4_S6_PT5_21rocsparse_index_base_b
	.p2align	8
	.type	_ZN9rocsparseL20bsrxmvn_17_32_kernelILj30Efll18rocsparse_bfloat16S1_fEEvT2_20rocsparse_direction_NS_24const_host_device_scalarIT0_EES2_PKS2_PKT1_SB_S8_PKT3_PKT4_S6_PT5_21rocsparse_index_base_b,@function
_ZN9rocsparseL20bsrxmvn_17_32_kernelILj30Efll18rocsparse_bfloat16S1_fEEvT2_20rocsparse_direction_NS_24const_host_device_scalarIT0_EES2_PKS2_PKT1_SB_S8_PKT3_PKT4_S6_PT5_21rocsparse_index_base_b: ; @_ZN9rocsparseL20bsrxmvn_17_32_kernelILj30Efll18rocsparse_bfloat16S1_fEEvT2_20rocsparse_direction_NS_24const_host_device_scalarIT0_EES2_PKS2_PKT1_SB_S8_PKT3_PKT4_S6_PT5_21rocsparse_index_base_b
; %bb.0:
	s_load_dwordx2 s[18:19], s[4:5], 0x60
	s_load_dwordx2 s[14:15], s[4:5], 0x10
	;; [unrolled: 1-line block ×3, first 2 shown]
	s_waitcnt lgkmcnt(0)
	s_bitcmp1_b32 s19, 0
	s_cselect_b64 s[2:3], -1, 0
	s_xor_b64 s[0:1], s[2:3], -1
	s_and_b64 vcc, exec, s[2:3]
	s_cbranch_vccnz .LBB381_2
; %bb.1:
	s_load_dword s14, s[14:15], 0x0
.LBB381_2:
	s_andn2_b64 vcc, exec, s[0:1]
	s_cbranch_vccnz .LBB381_4
; %bb.3:
	s_load_dword s12, s[12:13], 0x0
.LBB381_4:
	s_waitcnt lgkmcnt(0)
	v_cmp_neq_f32_e64 s[0:1], s14, 0
	v_cmp_neq_f32_e64 s[2:3], s12, 1.0
	s_or_b64 s[0:1], s[0:1], s[2:3]
	s_andn2_b64 vcc, exec, s[0:1]
	s_mov_b32 s7, 0
	s_cbranch_vccnz .LBB381_40
; %bb.5:
	s_load_dwordx4 s[0:3], s[4:5], 0x20
	s_load_dwordx2 s[8:9], s[4:5], 0x30
	s_waitcnt lgkmcnt(0)
	s_cmp_eq_u64 s[0:1], 0
	s_cbranch_scc1 .LBB381_7
; %bb.6:
	s_lshl_b64 s[6:7], s[6:7], 3
	s_add_u32 s0, s0, s6
	s_addc_u32 s1, s1, s7
	s_load_dwordx2 s[0:1], s[0:1], 0x0
	s_waitcnt lgkmcnt(0)
	s_sub_u32 s6, s0, s18
	s_subb_u32 s7, s1, 0
.LBB381_7:
	s_load_dword s10, s[4:5], 0x8
	s_load_dwordx2 s[16:17], s[4:5], 0x58
	v_mul_u32_u24_e32 v1, 0x889, v0
	v_mov_b32_e32 v2, 30
	v_mul_lo_u16_sdwa v2, v1, v2 dst_sel:DWORD dst_unused:UNUSED_PAD src0_sel:WORD_1 src1_sel:DWORD
	s_waitcnt lgkmcnt(0)
	s_cmp_eq_u32 s10, 1
	s_cselect_b64 s[0:1], -1, 0
	s_cmp_lg_u32 s10, 1
	s_cselect_b64 s[20:21], -1, 0
	s_lshl_b64 s[10:11], s[6:7], 3
	s_add_u32 s24, s2, s10
	s_addc_u32 s25, s3, s11
	s_add_u32 s2, s24, 8
	s_addc_u32 s3, s25, 0
	;; [unrolled: 2-line block ×3, first 2 shown]
	s_cmp_eq_u64 s[8:9], 0
	s_cselect_b32 s9, s3, s11
	s_cselect_b32 s8, s2, s10
	s_load_dwordx2 s[2:3], s[8:9], 0x0
	s_load_dwordx2 s[22:23], s[24:25], 0x0
	v_sub_u16_e32 v11, v0, v2
	s_waitcnt lgkmcnt(0)
	v_mov_b32_e32 v2, s2
	v_mov_b32_e32 v3, s3
	v_cmp_ge_i64_e32 vcc, s[22:23], v[2:3]
	v_mov_b32_e32 v2, 0
	s_cbranch_vccnz .LBB381_12
; %bb.8:
	s_load_dwordx4 s[8:11], s[4:5], 0x38
	s_load_dwordx2 s[24:25], s[4:5], 0x48
	s_mov_b32 s4, 0xffff
	s_movk_i32 s5, 0x384
	v_and_b32_sdwa v1, s4, v1 dst_sel:DWORD dst_unused:UNUSED_PAD src0_sel:DWORD src1_sel:WORD_1
	s_sub_u32 s2, s2, s18
	v_subrev_u32_e32 v2, 30, v1
	v_cmp_gt_u32_e32 vcc, s5, v0
	s_subb_u32 s3, s3, 0
	v_cndmask_b32_e32 v1, v2, v1, vcc
	s_sub_u32 s4, s22, s18
	v_cndmask_b32_e64 v1, v11, v1, s[0:1]
	v_mov_b32_e32 v2, 0
	s_subb_u32 s5, s23, 0
	v_lshlrev_b64 v[3:4], 1, v[1:2]
	s_mul_i32 s0, s5, 0x708
	s_mul_hi_u32 s1, s4, 0x708
	s_add_i32 s1, s1, s0
	s_mul_i32 s0, s4, 0x708
	s_waitcnt lgkmcnt(0)
	v_mov_b32_e32 v1, s25
	v_add_co_u32_e32 v3, vcc, s24, v3
	s_add_u32 s0, s10, s0
	v_addc_co_u32_e32 v4, vcc, v1, v4, vcc
	s_addc_u32 s1, s11, s1
	v_lshlrev_b32_e32 v1, 1, v0
	v_mov_b32_e32 v6, s1
	v_add_co_u32_e32 v5, vcc, s0, v1
	v_addc_co_u32_e32 v6, vcc, 0, v6, vcc
	s_movk_i32 s0, 0x383
	v_cmp_lt_u32_e32 vcc, s0, v0
	v_cndmask_b32_e64 v1, 0, 1, vcc
	v_mov_b32_e32 v7, s23
	v_add_co_u32_e32 v8, vcc, s22, v1
	v_addc_co_u32_e32 v9, vcc, 0, v7, vcc
	v_subrev_co_u32_e32 v7, vcc, s18, v8
	v_subbrev_co_u32_e32 v8, vcc, 0, v9, vcc
	v_lshlrev_b64 v[7:8], 3, v[7:8]
	v_mov_b32_e32 v9, s9
	v_add_co_u32_e32 v7, vcc, s8, v7
	v_addc_co_u32_e32 v8, vcc, v9, v8, vcc
	v_mov_b32_e32 v10, s3
	v_mov_b32_e32 v9, s2
	s_branch .LBB381_10
.LBB381_9:                              ;   in Loop: Header=BB381_10 Depth=1
	s_or_b64 exec, exec, s[0:1]
	s_add_u32 s4, s4, 1
	s_addc_u32 s5, s5, 0
	v_cmp_lt_i64_e32 vcc, s[4:5], v[9:10]
	v_add_co_u32_e64 v7, s[0:1], 8, v7
	v_addc_co_u32_e64 v8, s[0:1], 0, v8, s[0:1]
	s_cbranch_vccz .LBB381_12
.LBB381_10:                             ; =>This Inner Loop Header: Depth=1
	v_mov_b32_e32 v13, s5
	v_add_co_u32_e32 v12, vcc, s4, v1
	v_addc_co_u32_e32 v13, vcc, 0, v13, vcc
	v_cmp_gt_i64_e32 vcc, s[2:3], v[12:13]
	s_and_saveexec_b64 s[0:1], vcc
	s_cbranch_execz .LBB381_9
; %bb.11:                               ;   in Loop: Header=BB381_10 Depth=1
	global_load_dwordx2 v[12:13], v[7:8], off
	s_waitcnt vmcnt(0)
	v_subrev_co_u32_e32 v12, vcc, s18, v12
	v_subbrev_co_u32_e32 v14, vcc, 0, v13, vcc
	v_mad_u64_u32 v[12:13], s[8:9], v12, 60, v[3:4]
	v_mad_u64_u32 v[13:14], s[8:9], v14, 60, v[13:14]
	global_load_ushort v14, v[5:6], off
	s_nop 0
	global_load_ushort v12, v[12:13], off
	v_add_co_u32_e32 v5, vcc, 0x708, v5
	v_addc_co_u32_e32 v6, vcc, 0, v6, vcc
	s_waitcnt vmcnt(1)
	v_lshlrev_b32_e32 v13, 16, v14
	s_waitcnt vmcnt(0)
	v_lshlrev_b32_e32 v12, 16, v12
	v_fmac_f32_e32 v2, v13, v12
	s_branch .LBB381_9
.LBB381_12:
	v_lshlrev_b32_e32 v1, 2, v0
	s_and_b64 vcc, exec, s[20:21]
	ds_write_b32 v1, v2
	s_waitcnt lgkmcnt(0)
	s_barrier
	s_cbranch_vccz .LBB381_24
; %bb.13:
	v_cmp_gt_u16_e32 vcc, 14, v11
	s_and_saveexec_b64 s[0:1], vcc
	s_cbranch_execz .LBB381_15
; %bb.14:
	ds_read2_b32 v[3:4], v1 offset1:16
	s_waitcnt lgkmcnt(0)
	v_add_f32_e32 v3, v4, v3
	ds_write_b32 v1, v3
.LBB381_15:
	s_or_b64 exec, exec, s[0:1]
	v_cmp_gt_u16_e32 vcc, 8, v11
	s_waitcnt lgkmcnt(0)
	s_barrier
	s_and_saveexec_b64 s[0:1], vcc
	s_cbranch_execz .LBB381_17
; %bb.16:
	ds_read2_b32 v[3:4], v1 offset1:8
	s_waitcnt lgkmcnt(0)
	v_add_f32_e32 v3, v4, v3
	ds_write_b32 v1, v3
.LBB381_17:
	s_or_b64 exec, exec, s[0:1]
	v_cmp_gt_u16_e32 vcc, 4, v11
	s_waitcnt lgkmcnt(0)
	s_barrier
	;; [unrolled: 12-line block ×3, first 2 shown]
	s_and_saveexec_b64 s[0:1], vcc
	s_cbranch_execz .LBB381_21
; %bb.20:
	ds_read2_b32 v[3:4], v1 offset1:2
	s_waitcnt lgkmcnt(0)
	v_add_f32_e32 v3, v4, v3
	ds_write_b32 v1, v3
.LBB381_21:
	s_or_b64 exec, exec, s[0:1]
	v_cmp_gt_u32_e32 vcc, 30, v0
	v_mov_b32_e32 v3, v2
	s_waitcnt lgkmcnt(0)
	s_barrier
	s_and_saveexec_b64 s[0:1], vcc
	s_cbranch_execz .LBB381_23
; %bb.22:
	s_movk_i32 s2, 0x74
	v_mad_u32_u24 v3, v0, s2, v1
	ds_read_b64 v[3:4], v3
	s_waitcnt lgkmcnt(0)
	v_add_f32_e32 v3, v3, v4
.LBB381_23:
	s_or_b64 exec, exec, s[0:1]
	s_branch .LBB381_36
.LBB381_24:
                                        ; implicit-def: $vgpr3
	s_cbranch_execz .LBB381_36
; %bb.25:
	s_movk_i32 s0, 0x1a4
	v_cmp_gt_u32_e32 vcc, s0, v0
	s_and_saveexec_b64 s[0:1], vcc
	s_cbranch_execz .LBB381_27
; %bb.26:
	ds_read_b32 v3, v1 offset:1920
	ds_read_b32 v4, v1
	s_waitcnt lgkmcnt(0)
	v_add_f32_e32 v3, v3, v4
	ds_write_b32 v1, v3
.LBB381_27:
	s_or_b64 exec, exec, s[0:1]
	s_movk_i32 s0, 0xf0
	v_cmp_gt_u32_e32 vcc, s0, v0
	s_waitcnt lgkmcnt(0)
	s_barrier
	s_and_saveexec_b64 s[0:1], vcc
	s_cbranch_execz .LBB381_29
; %bb.28:
	ds_read2_b32 v[3:4], v1 offset1:240
	s_waitcnt lgkmcnt(0)
	v_add_f32_e32 v3, v4, v3
	ds_write_b32 v1, v3
.LBB381_29:
	s_or_b64 exec, exec, s[0:1]
	s_movk_i32 s0, 0x78
	v_cmp_gt_u32_e32 vcc, s0, v0
	s_waitcnt lgkmcnt(0)
	s_barrier
	s_and_saveexec_b64 s[0:1], vcc
	s_cbranch_execz .LBB381_31
; %bb.30:
	ds_read2_b32 v[3:4], v1 offset1:120
	s_waitcnt lgkmcnt(0)
	v_add_f32_e32 v3, v4, v3
	ds_write_b32 v1, v3
.LBB381_31:
	s_or_b64 exec, exec, s[0:1]
	v_cmp_gt_u32_e32 vcc, 60, v0
	s_waitcnt lgkmcnt(0)
	s_barrier
	s_and_saveexec_b64 s[0:1], vcc
	s_cbranch_execz .LBB381_33
; %bb.32:
	ds_read2_b32 v[3:4], v1 offset1:60
	s_waitcnt lgkmcnt(0)
	v_add_f32_e32 v3, v4, v3
	ds_write_b32 v1, v3
.LBB381_33:
	s_or_b64 exec, exec, s[0:1]
	v_cmp_gt_u32_e32 vcc, 30, v0
	s_waitcnt lgkmcnt(0)
	s_and_saveexec_b64 s[0:1], vcc
	s_cbranch_execz .LBB381_35
; %bb.34:
	ds_read2_b32 v[2:3], v1 offset1:30
	s_waitcnt lgkmcnt(0)
	v_add_f32_e32 v2, v2, v3
.LBB381_35:
	s_or_b64 exec, exec, s[0:1]
	v_mov_b32_e32 v3, v2
.LBB381_36:
	v_cmp_gt_u32_e32 vcc, 30, v0
	s_and_saveexec_b64 s[0:1], vcc
	s_cbranch_execz .LBB381_40
; %bb.37:
	v_cmp_eq_f32_e64 s[0:1], s12, 0
	s_and_b64 vcc, exec, s[0:1]
	v_mul_f32_e32 v0, s14, v3
	s_mul_i32 s2, s7, 0x78
	s_mul_hi_u32 s3, s6, 0x78
	s_mul_i32 s4, s6, 0x78
	s_cbranch_vccz .LBB381_41
; %bb.38:
	s_add_i32 s1, s3, s2
	s_add_u32 s0, s16, s4
	s_addc_u32 s1, s17, s1
	global_store_dword v1, v0, s[0:1]
	s_cbranch_execnz .LBB381_40
.LBB381_39:
	s_add_i32 s3, s3, s2
	s_add_u32 s0, s16, s4
	s_addc_u32 s1, s17, s3
	global_load_dword v2, v1, s[0:1]
	s_waitcnt vmcnt(0)
	v_fmac_f32_e32 v0, s12, v2
	global_store_dword v1, v0, s[0:1]
.LBB381_40:
	s_endpgm
.LBB381_41:
	s_branch .LBB381_39
	.section	.rodata,"a",@progbits
	.p2align	6, 0x0
	.amdhsa_kernel _ZN9rocsparseL20bsrxmvn_17_32_kernelILj30Efll18rocsparse_bfloat16S1_fEEvT2_20rocsparse_direction_NS_24const_host_device_scalarIT0_EES2_PKS2_PKT1_SB_S8_PKT3_PKT4_S6_PT5_21rocsparse_index_base_b
		.amdhsa_group_segment_fixed_size 3600
		.amdhsa_private_segment_fixed_size 0
		.amdhsa_kernarg_size 104
		.amdhsa_user_sgpr_count 6
		.amdhsa_user_sgpr_private_segment_buffer 1
		.amdhsa_user_sgpr_dispatch_ptr 0
		.amdhsa_user_sgpr_queue_ptr 0
		.amdhsa_user_sgpr_kernarg_segment_ptr 1
		.amdhsa_user_sgpr_dispatch_id 0
		.amdhsa_user_sgpr_flat_scratch_init 0
		.amdhsa_user_sgpr_private_segment_size 0
		.amdhsa_uses_dynamic_stack 0
		.amdhsa_system_sgpr_private_segment_wavefront_offset 0
		.amdhsa_system_sgpr_workgroup_id_x 1
		.amdhsa_system_sgpr_workgroup_id_y 0
		.amdhsa_system_sgpr_workgroup_id_z 0
		.amdhsa_system_sgpr_workgroup_info 0
		.amdhsa_system_vgpr_workitem_id 0
		.amdhsa_next_free_vgpr 29
		.amdhsa_next_free_sgpr 61
		.amdhsa_reserve_vcc 1
		.amdhsa_reserve_flat_scratch 0
		.amdhsa_float_round_mode_32 0
		.amdhsa_float_round_mode_16_64 0
		.amdhsa_float_denorm_mode_32 3
		.amdhsa_float_denorm_mode_16_64 3
		.amdhsa_dx10_clamp 1
		.amdhsa_ieee_mode 1
		.amdhsa_fp16_overflow 0
		.amdhsa_exception_fp_ieee_invalid_op 0
		.amdhsa_exception_fp_denorm_src 0
		.amdhsa_exception_fp_ieee_div_zero 0
		.amdhsa_exception_fp_ieee_overflow 0
		.amdhsa_exception_fp_ieee_underflow 0
		.amdhsa_exception_fp_ieee_inexact 0
		.amdhsa_exception_int_div_zero 0
	.end_amdhsa_kernel
	.section	.text._ZN9rocsparseL20bsrxmvn_17_32_kernelILj30Efll18rocsparse_bfloat16S1_fEEvT2_20rocsparse_direction_NS_24const_host_device_scalarIT0_EES2_PKS2_PKT1_SB_S8_PKT3_PKT4_S6_PT5_21rocsparse_index_base_b,"axG",@progbits,_ZN9rocsparseL20bsrxmvn_17_32_kernelILj30Efll18rocsparse_bfloat16S1_fEEvT2_20rocsparse_direction_NS_24const_host_device_scalarIT0_EES2_PKS2_PKT1_SB_S8_PKT3_PKT4_S6_PT5_21rocsparse_index_base_b,comdat
.Lfunc_end381:
	.size	_ZN9rocsparseL20bsrxmvn_17_32_kernelILj30Efll18rocsparse_bfloat16S1_fEEvT2_20rocsparse_direction_NS_24const_host_device_scalarIT0_EES2_PKS2_PKT1_SB_S8_PKT3_PKT4_S6_PT5_21rocsparse_index_base_b, .Lfunc_end381-_ZN9rocsparseL20bsrxmvn_17_32_kernelILj30Efll18rocsparse_bfloat16S1_fEEvT2_20rocsparse_direction_NS_24const_host_device_scalarIT0_EES2_PKS2_PKT1_SB_S8_PKT3_PKT4_S6_PT5_21rocsparse_index_base_b
                                        ; -- End function
	.set _ZN9rocsparseL20bsrxmvn_17_32_kernelILj30Efll18rocsparse_bfloat16S1_fEEvT2_20rocsparse_direction_NS_24const_host_device_scalarIT0_EES2_PKS2_PKT1_SB_S8_PKT3_PKT4_S6_PT5_21rocsparse_index_base_b.num_vgpr, 15
	.set _ZN9rocsparseL20bsrxmvn_17_32_kernelILj30Efll18rocsparse_bfloat16S1_fEEvT2_20rocsparse_direction_NS_24const_host_device_scalarIT0_EES2_PKS2_PKT1_SB_S8_PKT3_PKT4_S6_PT5_21rocsparse_index_base_b.num_agpr, 0
	.set _ZN9rocsparseL20bsrxmvn_17_32_kernelILj30Efll18rocsparse_bfloat16S1_fEEvT2_20rocsparse_direction_NS_24const_host_device_scalarIT0_EES2_PKS2_PKT1_SB_S8_PKT3_PKT4_S6_PT5_21rocsparse_index_base_b.numbered_sgpr, 26
	.set _ZN9rocsparseL20bsrxmvn_17_32_kernelILj30Efll18rocsparse_bfloat16S1_fEEvT2_20rocsparse_direction_NS_24const_host_device_scalarIT0_EES2_PKS2_PKT1_SB_S8_PKT3_PKT4_S6_PT5_21rocsparse_index_base_b.num_named_barrier, 0
	.set _ZN9rocsparseL20bsrxmvn_17_32_kernelILj30Efll18rocsparse_bfloat16S1_fEEvT2_20rocsparse_direction_NS_24const_host_device_scalarIT0_EES2_PKS2_PKT1_SB_S8_PKT3_PKT4_S6_PT5_21rocsparse_index_base_b.private_seg_size, 0
	.set _ZN9rocsparseL20bsrxmvn_17_32_kernelILj30Efll18rocsparse_bfloat16S1_fEEvT2_20rocsparse_direction_NS_24const_host_device_scalarIT0_EES2_PKS2_PKT1_SB_S8_PKT3_PKT4_S6_PT5_21rocsparse_index_base_b.uses_vcc, 1
	.set _ZN9rocsparseL20bsrxmvn_17_32_kernelILj30Efll18rocsparse_bfloat16S1_fEEvT2_20rocsparse_direction_NS_24const_host_device_scalarIT0_EES2_PKS2_PKT1_SB_S8_PKT3_PKT4_S6_PT5_21rocsparse_index_base_b.uses_flat_scratch, 0
	.set _ZN9rocsparseL20bsrxmvn_17_32_kernelILj30Efll18rocsparse_bfloat16S1_fEEvT2_20rocsparse_direction_NS_24const_host_device_scalarIT0_EES2_PKS2_PKT1_SB_S8_PKT3_PKT4_S6_PT5_21rocsparse_index_base_b.has_dyn_sized_stack, 0
	.set _ZN9rocsparseL20bsrxmvn_17_32_kernelILj30Efll18rocsparse_bfloat16S1_fEEvT2_20rocsparse_direction_NS_24const_host_device_scalarIT0_EES2_PKS2_PKT1_SB_S8_PKT3_PKT4_S6_PT5_21rocsparse_index_base_b.has_recursion, 0
	.set _ZN9rocsparseL20bsrxmvn_17_32_kernelILj30Efll18rocsparse_bfloat16S1_fEEvT2_20rocsparse_direction_NS_24const_host_device_scalarIT0_EES2_PKS2_PKT1_SB_S8_PKT3_PKT4_S6_PT5_21rocsparse_index_base_b.has_indirect_call, 0
	.section	.AMDGPU.csdata,"",@progbits
; Kernel info:
; codeLenInByte = 1324
; TotalNumSgprs: 30
; NumVgprs: 15
; ScratchSize: 0
; MemoryBound: 0
; FloatMode: 240
; IeeeMode: 1
; LDSByteSize: 3600 bytes/workgroup (compile time only)
; SGPRBlocks: 8
; VGPRBlocks: 7
; NumSGPRsForWavesPerEU: 65
; NumVGPRsForWavesPerEU: 29
; Occupancy: 8
; WaveLimiterHint : 1
; COMPUTE_PGM_RSRC2:SCRATCH_EN: 0
; COMPUTE_PGM_RSRC2:USER_SGPR: 6
; COMPUTE_PGM_RSRC2:TRAP_HANDLER: 0
; COMPUTE_PGM_RSRC2:TGID_X_EN: 1
; COMPUTE_PGM_RSRC2:TGID_Y_EN: 0
; COMPUTE_PGM_RSRC2:TGID_Z_EN: 0
; COMPUTE_PGM_RSRC2:TIDIG_COMP_CNT: 0
	.section	.text._ZN9rocsparseL20bsrxmvn_17_32_kernelILj31Efll18rocsparse_bfloat16S1_fEEvT2_20rocsparse_direction_NS_24const_host_device_scalarIT0_EES2_PKS2_PKT1_SB_S8_PKT3_PKT4_S6_PT5_21rocsparse_index_base_b,"axG",@progbits,_ZN9rocsparseL20bsrxmvn_17_32_kernelILj31Efll18rocsparse_bfloat16S1_fEEvT2_20rocsparse_direction_NS_24const_host_device_scalarIT0_EES2_PKS2_PKT1_SB_S8_PKT3_PKT4_S6_PT5_21rocsparse_index_base_b,comdat
	.globl	_ZN9rocsparseL20bsrxmvn_17_32_kernelILj31Efll18rocsparse_bfloat16S1_fEEvT2_20rocsparse_direction_NS_24const_host_device_scalarIT0_EES2_PKS2_PKT1_SB_S8_PKT3_PKT4_S6_PT5_21rocsparse_index_base_b ; -- Begin function _ZN9rocsparseL20bsrxmvn_17_32_kernelILj31Efll18rocsparse_bfloat16S1_fEEvT2_20rocsparse_direction_NS_24const_host_device_scalarIT0_EES2_PKS2_PKT1_SB_S8_PKT3_PKT4_S6_PT5_21rocsparse_index_base_b
	.p2align	8
	.type	_ZN9rocsparseL20bsrxmvn_17_32_kernelILj31Efll18rocsparse_bfloat16S1_fEEvT2_20rocsparse_direction_NS_24const_host_device_scalarIT0_EES2_PKS2_PKT1_SB_S8_PKT3_PKT4_S6_PT5_21rocsparse_index_base_b,@function
_ZN9rocsparseL20bsrxmvn_17_32_kernelILj31Efll18rocsparse_bfloat16S1_fEEvT2_20rocsparse_direction_NS_24const_host_device_scalarIT0_EES2_PKS2_PKT1_SB_S8_PKT3_PKT4_S6_PT5_21rocsparse_index_base_b: ; @_ZN9rocsparseL20bsrxmvn_17_32_kernelILj31Efll18rocsparse_bfloat16S1_fEEvT2_20rocsparse_direction_NS_24const_host_device_scalarIT0_EES2_PKS2_PKT1_SB_S8_PKT3_PKT4_S6_PT5_21rocsparse_index_base_b
; %bb.0:
	s_load_dwordx2 s[18:19], s[4:5], 0x60
	s_load_dwordx2 s[14:15], s[4:5], 0x10
	;; [unrolled: 1-line block ×3, first 2 shown]
	s_waitcnt lgkmcnt(0)
	s_bitcmp1_b32 s19, 0
	s_cselect_b64 s[2:3], -1, 0
	s_xor_b64 s[0:1], s[2:3], -1
	s_and_b64 vcc, exec, s[2:3]
	s_cbranch_vccnz .LBB382_2
; %bb.1:
	s_load_dword s14, s[14:15], 0x0
.LBB382_2:
	s_andn2_b64 vcc, exec, s[0:1]
	s_cbranch_vccnz .LBB382_4
; %bb.3:
	s_load_dword s12, s[12:13], 0x0
.LBB382_4:
	s_waitcnt lgkmcnt(0)
	v_cmp_neq_f32_e64 s[0:1], s14, 0
	v_cmp_neq_f32_e64 s[2:3], s12, 1.0
	s_or_b64 s[0:1], s[0:1], s[2:3]
	s_andn2_b64 vcc, exec, s[0:1]
	s_mov_b32 s7, 0
	s_cbranch_vccnz .LBB382_40
; %bb.5:
	s_load_dwordx4 s[0:3], s[4:5], 0x20
	s_load_dwordx2 s[8:9], s[4:5], 0x30
	s_waitcnt lgkmcnt(0)
	s_cmp_eq_u64 s[0:1], 0
	s_cbranch_scc1 .LBB382_7
; %bb.6:
	s_lshl_b64 s[6:7], s[6:7], 3
	s_add_u32 s0, s0, s6
	s_addc_u32 s1, s1, s7
	s_load_dwordx2 s[0:1], s[0:1], 0x0
	s_waitcnt lgkmcnt(0)
	s_sub_u32 s6, s0, s18
	s_subb_u32 s7, s1, 0
.LBB382_7:
	s_load_dword s10, s[4:5], 0x8
	s_load_dwordx2 s[16:17], s[4:5], 0x58
	v_mul_u32_u24_e32 v1, 0x843, v0
	v_mov_b32_e32 v2, 31
	v_mul_lo_u16_sdwa v2, v1, v2 dst_sel:DWORD dst_unused:UNUSED_PAD src0_sel:WORD_1 src1_sel:DWORD
	s_waitcnt lgkmcnt(0)
	s_cmp_eq_u32 s10, 1
	s_cselect_b64 s[0:1], -1, 0
	s_cmp_lg_u32 s10, 1
	s_cselect_b64 s[20:21], -1, 0
	s_lshl_b64 s[10:11], s[6:7], 3
	s_add_u32 s24, s2, s10
	s_addc_u32 s25, s3, s11
	s_add_u32 s2, s24, 8
	s_addc_u32 s3, s25, 0
	s_add_u32 s10, s8, s10
	s_addc_u32 s11, s9, s11
	s_cmp_eq_u64 s[8:9], 0
	s_cselect_b32 s9, s3, s11
	s_cselect_b32 s8, s2, s10
	s_load_dwordx2 s[2:3], s[8:9], 0x0
	s_load_dwordx2 s[22:23], s[24:25], 0x0
	v_sub_u16_e32 v11, v0, v2
	s_waitcnt lgkmcnt(0)
	v_mov_b32_e32 v2, s2
	v_mov_b32_e32 v3, s3
	v_cmp_ge_i64_e32 vcc, s[22:23], v[2:3]
	v_mov_b32_e32 v2, 0
	s_cbranch_vccnz .LBB382_12
; %bb.8:
	s_load_dwordx4 s[8:11], s[4:5], 0x38
	s_load_dwordx2 s[24:25], s[4:5], 0x48
	s_mov_b32 s4, 0xffff
	s_movk_i32 s5, 0x3c1
	v_and_b32_sdwa v1, s4, v1 dst_sel:DWORD dst_unused:UNUSED_PAD src0_sel:DWORD src1_sel:WORD_1
	s_sub_u32 s2, s2, s18
	v_subrev_u32_e32 v2, 31, v1
	v_cmp_gt_u32_e32 vcc, s5, v0
	s_subb_u32 s3, s3, 0
	v_cndmask_b32_e32 v1, v2, v1, vcc
	s_sub_u32 s4, s22, s18
	v_cndmask_b32_e64 v1, v11, v1, s[0:1]
	v_mov_b32_e32 v2, 0
	s_subb_u32 s5, s23, 0
	v_lshlrev_b64 v[3:4], 1, v[1:2]
	s_mul_i32 s0, s5, 0x782
	s_mul_hi_u32 s1, s4, 0x782
	s_add_i32 s1, s1, s0
	s_mul_i32 s0, s4, 0x782
	s_waitcnt lgkmcnt(0)
	v_mov_b32_e32 v1, s25
	v_add_co_u32_e32 v3, vcc, s24, v3
	s_add_u32 s0, s10, s0
	v_addc_co_u32_e32 v4, vcc, v1, v4, vcc
	s_addc_u32 s1, s11, s1
	v_lshlrev_b32_e32 v1, 1, v0
	v_mov_b32_e32 v6, s1
	v_add_co_u32_e32 v5, vcc, s0, v1
	v_addc_co_u32_e32 v6, vcc, 0, v6, vcc
	s_movk_i32 s0, 0x3c0
	v_cmp_lt_u32_e32 vcc, s0, v0
	v_cndmask_b32_e64 v1, 0, 1, vcc
	v_mov_b32_e32 v7, s23
	v_add_co_u32_e32 v8, vcc, s22, v1
	v_addc_co_u32_e32 v9, vcc, 0, v7, vcc
	v_subrev_co_u32_e32 v7, vcc, s18, v8
	v_subbrev_co_u32_e32 v8, vcc, 0, v9, vcc
	v_lshlrev_b64 v[7:8], 3, v[7:8]
	v_mov_b32_e32 v9, s9
	v_add_co_u32_e32 v7, vcc, s8, v7
	v_addc_co_u32_e32 v8, vcc, v9, v8, vcc
	v_mov_b32_e32 v10, s3
	v_mov_b32_e32 v9, s2
	s_branch .LBB382_10
.LBB382_9:                              ;   in Loop: Header=BB382_10 Depth=1
	s_or_b64 exec, exec, s[0:1]
	s_add_u32 s4, s4, 1
	s_addc_u32 s5, s5, 0
	v_cmp_lt_i64_e32 vcc, s[4:5], v[9:10]
	v_add_co_u32_e64 v7, s[0:1], 8, v7
	v_addc_co_u32_e64 v8, s[0:1], 0, v8, s[0:1]
	s_cbranch_vccz .LBB382_12
.LBB382_10:                             ; =>This Inner Loop Header: Depth=1
	v_mov_b32_e32 v13, s5
	v_add_co_u32_e32 v12, vcc, s4, v1
	v_addc_co_u32_e32 v13, vcc, 0, v13, vcc
	v_cmp_gt_i64_e32 vcc, s[2:3], v[12:13]
	s_and_saveexec_b64 s[0:1], vcc
	s_cbranch_execz .LBB382_9
; %bb.11:                               ;   in Loop: Header=BB382_10 Depth=1
	global_load_dwordx2 v[12:13], v[7:8], off
	s_waitcnt vmcnt(0)
	v_subrev_co_u32_e32 v12, vcc, s18, v12
	v_subbrev_co_u32_e32 v14, vcc, 0, v13, vcc
	v_mad_u64_u32 v[12:13], s[8:9], v12, 62, v[3:4]
	v_mad_u64_u32 v[13:14], s[8:9], v14, 62, v[13:14]
	global_load_ushort v14, v[5:6], off
	s_nop 0
	global_load_ushort v12, v[12:13], off
	v_add_co_u32_e32 v5, vcc, 0x782, v5
	v_addc_co_u32_e32 v6, vcc, 0, v6, vcc
	s_waitcnt vmcnt(1)
	v_lshlrev_b32_e32 v13, 16, v14
	s_waitcnt vmcnt(0)
	v_lshlrev_b32_e32 v12, 16, v12
	v_fmac_f32_e32 v2, v13, v12
	s_branch .LBB382_9
.LBB382_12:
	v_lshlrev_b32_e32 v1, 2, v0
	s_and_b64 vcc, exec, s[20:21]
	ds_write_b32 v1, v2
	s_waitcnt lgkmcnt(0)
	s_barrier
	s_cbranch_vccz .LBB382_24
; %bb.13:
	v_cmp_gt_u16_e32 vcc, 15, v11
	s_and_saveexec_b64 s[0:1], vcc
	s_cbranch_execz .LBB382_15
; %bb.14:
	ds_read2_b32 v[3:4], v1 offset1:16
	s_waitcnt lgkmcnt(0)
	v_add_f32_e32 v3, v4, v3
	ds_write_b32 v1, v3
.LBB382_15:
	s_or_b64 exec, exec, s[0:1]
	v_cmp_gt_u16_e32 vcc, 8, v11
	s_waitcnt lgkmcnt(0)
	s_barrier
	s_and_saveexec_b64 s[0:1], vcc
	s_cbranch_execz .LBB382_17
; %bb.16:
	ds_read2_b32 v[3:4], v1 offset1:8
	s_waitcnt lgkmcnt(0)
	v_add_f32_e32 v3, v4, v3
	ds_write_b32 v1, v3
.LBB382_17:
	s_or_b64 exec, exec, s[0:1]
	v_cmp_gt_u16_e32 vcc, 4, v11
	s_waitcnt lgkmcnt(0)
	s_barrier
	;; [unrolled: 12-line block ×3, first 2 shown]
	s_and_saveexec_b64 s[0:1], vcc
	s_cbranch_execz .LBB382_21
; %bb.20:
	ds_read2_b32 v[3:4], v1 offset1:2
	s_waitcnt lgkmcnt(0)
	v_add_f32_e32 v3, v4, v3
	ds_write_b32 v1, v3
.LBB382_21:
	s_or_b64 exec, exec, s[0:1]
	v_cmp_gt_u32_e32 vcc, 31, v0
	v_mov_b32_e32 v3, v2
	s_waitcnt lgkmcnt(0)
	s_barrier
	s_and_saveexec_b64 s[0:1], vcc
	s_cbranch_execz .LBB382_23
; %bb.22:
	s_movk_i32 s2, 0x78
	v_mad_u32_u24 v3, v0, s2, v1
	ds_read2_b32 v[3:4], v3 offset1:1
	s_waitcnt lgkmcnt(0)
	v_add_f32_e32 v3, v3, v4
.LBB382_23:
	s_or_b64 exec, exec, s[0:1]
	s_branch .LBB382_36
.LBB382_24:
                                        ; implicit-def: $vgpr3
	s_cbranch_execz .LBB382_36
; %bb.25:
	s_movk_i32 s0, 0x1d1
	v_cmp_gt_u32_e32 vcc, s0, v0
	s_and_saveexec_b64 s[0:1], vcc
	s_cbranch_execz .LBB382_27
; %bb.26:
	ds_read_b32 v3, v1 offset:1984
	ds_read_b32 v4, v1
	s_waitcnt lgkmcnt(0)
	v_add_f32_e32 v3, v3, v4
	ds_write_b32 v1, v3
.LBB382_27:
	s_or_b64 exec, exec, s[0:1]
	s_movk_i32 s0, 0xf8
	v_cmp_gt_u32_e32 vcc, s0, v0
	s_waitcnt lgkmcnt(0)
	s_barrier
	s_and_saveexec_b64 s[0:1], vcc
	s_cbranch_execz .LBB382_29
; %bb.28:
	ds_read2_b32 v[3:4], v1 offset1:248
	s_waitcnt lgkmcnt(0)
	v_add_f32_e32 v3, v4, v3
	ds_write_b32 v1, v3
.LBB382_29:
	s_or_b64 exec, exec, s[0:1]
	s_movk_i32 s0, 0x7c
	v_cmp_gt_u32_e32 vcc, s0, v0
	s_waitcnt lgkmcnt(0)
	s_barrier
	s_and_saveexec_b64 s[0:1], vcc
	s_cbranch_execz .LBB382_31
; %bb.30:
	ds_read2_b32 v[3:4], v1 offset1:124
	s_waitcnt lgkmcnt(0)
	v_add_f32_e32 v3, v4, v3
	ds_write_b32 v1, v3
.LBB382_31:
	s_or_b64 exec, exec, s[0:1]
	v_cmp_gt_u32_e32 vcc, 62, v0
	s_waitcnt lgkmcnt(0)
	s_barrier
	s_and_saveexec_b64 s[0:1], vcc
	s_cbranch_execz .LBB382_33
; %bb.32:
	ds_read2_b32 v[3:4], v1 offset1:62
	s_waitcnt lgkmcnt(0)
	v_add_f32_e32 v3, v4, v3
	ds_write_b32 v1, v3
.LBB382_33:
	s_or_b64 exec, exec, s[0:1]
	v_cmp_gt_u32_e32 vcc, 31, v0
	s_waitcnt lgkmcnt(0)
	s_and_saveexec_b64 s[0:1], vcc
	s_cbranch_execz .LBB382_35
; %bb.34:
	ds_read2_b32 v[2:3], v1 offset1:31
	s_waitcnt lgkmcnt(0)
	v_add_f32_e32 v2, v2, v3
.LBB382_35:
	s_or_b64 exec, exec, s[0:1]
	v_mov_b32_e32 v3, v2
.LBB382_36:
	v_cmp_gt_u32_e32 vcc, 31, v0
	s_and_saveexec_b64 s[0:1], vcc
	s_cbranch_execz .LBB382_40
; %bb.37:
	v_cmp_eq_f32_e64 s[0:1], s12, 0
	s_and_b64 vcc, exec, s[0:1]
	v_mul_f32_e32 v0, s14, v3
	s_mul_i32 s2, s7, 0x7c
	s_mul_hi_u32 s3, s6, 0x7c
	s_mul_i32 s4, s6, 0x7c
	s_cbranch_vccz .LBB382_41
; %bb.38:
	s_add_i32 s1, s3, s2
	s_add_u32 s0, s16, s4
	s_addc_u32 s1, s17, s1
	global_store_dword v1, v0, s[0:1]
	s_cbranch_execnz .LBB382_40
.LBB382_39:
	s_add_i32 s3, s3, s2
	s_add_u32 s0, s16, s4
	s_addc_u32 s1, s17, s3
	global_load_dword v2, v1, s[0:1]
	s_waitcnt vmcnt(0)
	v_fmac_f32_e32 v0, s12, v2
	global_store_dword v1, v0, s[0:1]
.LBB382_40:
	s_endpgm
.LBB382_41:
	s_branch .LBB382_39
	.section	.rodata,"a",@progbits
	.p2align	6, 0x0
	.amdhsa_kernel _ZN9rocsparseL20bsrxmvn_17_32_kernelILj31Efll18rocsparse_bfloat16S1_fEEvT2_20rocsparse_direction_NS_24const_host_device_scalarIT0_EES2_PKS2_PKT1_SB_S8_PKT3_PKT4_S6_PT5_21rocsparse_index_base_b
		.amdhsa_group_segment_fixed_size 3844
		.amdhsa_private_segment_fixed_size 0
		.amdhsa_kernarg_size 104
		.amdhsa_user_sgpr_count 6
		.amdhsa_user_sgpr_private_segment_buffer 1
		.amdhsa_user_sgpr_dispatch_ptr 0
		.amdhsa_user_sgpr_queue_ptr 0
		.amdhsa_user_sgpr_kernarg_segment_ptr 1
		.amdhsa_user_sgpr_dispatch_id 0
		.amdhsa_user_sgpr_flat_scratch_init 0
		.amdhsa_user_sgpr_private_segment_size 0
		.amdhsa_uses_dynamic_stack 0
		.amdhsa_system_sgpr_private_segment_wavefront_offset 0
		.amdhsa_system_sgpr_workgroup_id_x 1
		.amdhsa_system_sgpr_workgroup_id_y 0
		.amdhsa_system_sgpr_workgroup_id_z 0
		.amdhsa_system_sgpr_workgroup_info 0
		.amdhsa_system_vgpr_workitem_id 0
		.amdhsa_next_free_vgpr 29
		.amdhsa_next_free_sgpr 61
		.amdhsa_reserve_vcc 1
		.amdhsa_reserve_flat_scratch 0
		.amdhsa_float_round_mode_32 0
		.amdhsa_float_round_mode_16_64 0
		.amdhsa_float_denorm_mode_32 3
		.amdhsa_float_denorm_mode_16_64 3
		.amdhsa_dx10_clamp 1
		.amdhsa_ieee_mode 1
		.amdhsa_fp16_overflow 0
		.amdhsa_exception_fp_ieee_invalid_op 0
		.amdhsa_exception_fp_denorm_src 0
		.amdhsa_exception_fp_ieee_div_zero 0
		.amdhsa_exception_fp_ieee_overflow 0
		.amdhsa_exception_fp_ieee_underflow 0
		.amdhsa_exception_fp_ieee_inexact 0
		.amdhsa_exception_int_div_zero 0
	.end_amdhsa_kernel
	.section	.text._ZN9rocsparseL20bsrxmvn_17_32_kernelILj31Efll18rocsparse_bfloat16S1_fEEvT2_20rocsparse_direction_NS_24const_host_device_scalarIT0_EES2_PKS2_PKT1_SB_S8_PKT3_PKT4_S6_PT5_21rocsparse_index_base_b,"axG",@progbits,_ZN9rocsparseL20bsrxmvn_17_32_kernelILj31Efll18rocsparse_bfloat16S1_fEEvT2_20rocsparse_direction_NS_24const_host_device_scalarIT0_EES2_PKS2_PKT1_SB_S8_PKT3_PKT4_S6_PT5_21rocsparse_index_base_b,comdat
.Lfunc_end382:
	.size	_ZN9rocsparseL20bsrxmvn_17_32_kernelILj31Efll18rocsparse_bfloat16S1_fEEvT2_20rocsparse_direction_NS_24const_host_device_scalarIT0_EES2_PKS2_PKT1_SB_S8_PKT3_PKT4_S6_PT5_21rocsparse_index_base_b, .Lfunc_end382-_ZN9rocsparseL20bsrxmvn_17_32_kernelILj31Efll18rocsparse_bfloat16S1_fEEvT2_20rocsparse_direction_NS_24const_host_device_scalarIT0_EES2_PKS2_PKT1_SB_S8_PKT3_PKT4_S6_PT5_21rocsparse_index_base_b
                                        ; -- End function
	.set _ZN9rocsparseL20bsrxmvn_17_32_kernelILj31Efll18rocsparse_bfloat16S1_fEEvT2_20rocsparse_direction_NS_24const_host_device_scalarIT0_EES2_PKS2_PKT1_SB_S8_PKT3_PKT4_S6_PT5_21rocsparse_index_base_b.num_vgpr, 15
	.set _ZN9rocsparseL20bsrxmvn_17_32_kernelILj31Efll18rocsparse_bfloat16S1_fEEvT2_20rocsparse_direction_NS_24const_host_device_scalarIT0_EES2_PKS2_PKT1_SB_S8_PKT3_PKT4_S6_PT5_21rocsparse_index_base_b.num_agpr, 0
	.set _ZN9rocsparseL20bsrxmvn_17_32_kernelILj31Efll18rocsparse_bfloat16S1_fEEvT2_20rocsparse_direction_NS_24const_host_device_scalarIT0_EES2_PKS2_PKT1_SB_S8_PKT3_PKT4_S6_PT5_21rocsparse_index_base_b.numbered_sgpr, 26
	.set _ZN9rocsparseL20bsrxmvn_17_32_kernelILj31Efll18rocsparse_bfloat16S1_fEEvT2_20rocsparse_direction_NS_24const_host_device_scalarIT0_EES2_PKS2_PKT1_SB_S8_PKT3_PKT4_S6_PT5_21rocsparse_index_base_b.num_named_barrier, 0
	.set _ZN9rocsparseL20bsrxmvn_17_32_kernelILj31Efll18rocsparse_bfloat16S1_fEEvT2_20rocsparse_direction_NS_24const_host_device_scalarIT0_EES2_PKS2_PKT1_SB_S8_PKT3_PKT4_S6_PT5_21rocsparse_index_base_b.private_seg_size, 0
	.set _ZN9rocsparseL20bsrxmvn_17_32_kernelILj31Efll18rocsparse_bfloat16S1_fEEvT2_20rocsparse_direction_NS_24const_host_device_scalarIT0_EES2_PKS2_PKT1_SB_S8_PKT3_PKT4_S6_PT5_21rocsparse_index_base_b.uses_vcc, 1
	.set _ZN9rocsparseL20bsrxmvn_17_32_kernelILj31Efll18rocsparse_bfloat16S1_fEEvT2_20rocsparse_direction_NS_24const_host_device_scalarIT0_EES2_PKS2_PKT1_SB_S8_PKT3_PKT4_S6_PT5_21rocsparse_index_base_b.uses_flat_scratch, 0
	.set _ZN9rocsparseL20bsrxmvn_17_32_kernelILj31Efll18rocsparse_bfloat16S1_fEEvT2_20rocsparse_direction_NS_24const_host_device_scalarIT0_EES2_PKS2_PKT1_SB_S8_PKT3_PKT4_S6_PT5_21rocsparse_index_base_b.has_dyn_sized_stack, 0
	.set _ZN9rocsparseL20bsrxmvn_17_32_kernelILj31Efll18rocsparse_bfloat16S1_fEEvT2_20rocsparse_direction_NS_24const_host_device_scalarIT0_EES2_PKS2_PKT1_SB_S8_PKT3_PKT4_S6_PT5_21rocsparse_index_base_b.has_recursion, 0
	.set _ZN9rocsparseL20bsrxmvn_17_32_kernelILj31Efll18rocsparse_bfloat16S1_fEEvT2_20rocsparse_direction_NS_24const_host_device_scalarIT0_EES2_PKS2_PKT1_SB_S8_PKT3_PKT4_S6_PT5_21rocsparse_index_base_b.has_indirect_call, 0
	.section	.AMDGPU.csdata,"",@progbits
; Kernel info:
; codeLenInByte = 1324
; TotalNumSgprs: 30
; NumVgprs: 15
; ScratchSize: 0
; MemoryBound: 0
; FloatMode: 240
; IeeeMode: 1
; LDSByteSize: 3844 bytes/workgroup (compile time only)
; SGPRBlocks: 8
; VGPRBlocks: 7
; NumSGPRsForWavesPerEU: 65
; NumVGPRsForWavesPerEU: 29
; Occupancy: 8
; WaveLimiterHint : 1
; COMPUTE_PGM_RSRC2:SCRATCH_EN: 0
; COMPUTE_PGM_RSRC2:USER_SGPR: 6
; COMPUTE_PGM_RSRC2:TRAP_HANDLER: 0
; COMPUTE_PGM_RSRC2:TGID_X_EN: 1
; COMPUTE_PGM_RSRC2:TGID_Y_EN: 0
; COMPUTE_PGM_RSRC2:TGID_Z_EN: 0
; COMPUTE_PGM_RSRC2:TIDIG_COMP_CNT: 0
	.section	.text._ZN9rocsparseL20bsrxmvn_17_32_kernelILj32Efll18rocsparse_bfloat16S1_fEEvT2_20rocsparse_direction_NS_24const_host_device_scalarIT0_EES2_PKS2_PKT1_SB_S8_PKT3_PKT4_S6_PT5_21rocsparse_index_base_b,"axG",@progbits,_ZN9rocsparseL20bsrxmvn_17_32_kernelILj32Efll18rocsparse_bfloat16S1_fEEvT2_20rocsparse_direction_NS_24const_host_device_scalarIT0_EES2_PKS2_PKT1_SB_S8_PKT3_PKT4_S6_PT5_21rocsparse_index_base_b,comdat
	.globl	_ZN9rocsparseL20bsrxmvn_17_32_kernelILj32Efll18rocsparse_bfloat16S1_fEEvT2_20rocsparse_direction_NS_24const_host_device_scalarIT0_EES2_PKS2_PKT1_SB_S8_PKT3_PKT4_S6_PT5_21rocsparse_index_base_b ; -- Begin function _ZN9rocsparseL20bsrxmvn_17_32_kernelILj32Efll18rocsparse_bfloat16S1_fEEvT2_20rocsparse_direction_NS_24const_host_device_scalarIT0_EES2_PKS2_PKT1_SB_S8_PKT3_PKT4_S6_PT5_21rocsparse_index_base_b
	.p2align	8
	.type	_ZN9rocsparseL20bsrxmvn_17_32_kernelILj32Efll18rocsparse_bfloat16S1_fEEvT2_20rocsparse_direction_NS_24const_host_device_scalarIT0_EES2_PKS2_PKT1_SB_S8_PKT3_PKT4_S6_PT5_21rocsparse_index_base_b,@function
_ZN9rocsparseL20bsrxmvn_17_32_kernelILj32Efll18rocsparse_bfloat16S1_fEEvT2_20rocsparse_direction_NS_24const_host_device_scalarIT0_EES2_PKS2_PKT1_SB_S8_PKT3_PKT4_S6_PT5_21rocsparse_index_base_b: ; @_ZN9rocsparseL20bsrxmvn_17_32_kernelILj32Efll18rocsparse_bfloat16S1_fEEvT2_20rocsparse_direction_NS_24const_host_device_scalarIT0_EES2_PKS2_PKT1_SB_S8_PKT3_PKT4_S6_PT5_21rocsparse_index_base_b
; %bb.0:
	s_load_dwordx2 s[12:13], s[4:5], 0x60
	s_load_dwordx2 s[10:11], s[4:5], 0x10
	;; [unrolled: 1-line block ×3, first 2 shown]
	s_waitcnt lgkmcnt(0)
	s_bitcmp1_b32 s13, 0
	s_cselect_b64 s[2:3], -1, 0
	s_xor_b64 s[0:1], s[2:3], -1
	s_and_b64 vcc, exec, s[2:3]
	s_cbranch_vccnz .LBB383_2
; %bb.1:
	s_load_dword s10, s[10:11], 0x0
.LBB383_2:
	s_andn2_b64 vcc, exec, s[0:1]
	s_cbranch_vccnz .LBB383_4
; %bb.3:
	s_load_dword s8, s[8:9], 0x0
.LBB383_4:
	s_waitcnt lgkmcnt(0)
	v_cmp_neq_f32_e64 s[0:1], s10, 0
	v_cmp_neq_f32_e64 s[2:3], s8, 1.0
	s_or_b64 s[0:1], s[0:1], s[2:3]
	s_andn2_b64 vcc, exec, s[0:1]
	s_mov_b32 s7, 0
	s_cbranch_vccnz .LBB383_38
; %bb.5:
	s_load_dwordx4 s[0:3], s[4:5], 0x20
	s_load_dwordx2 s[16:17], s[4:5], 0x30
	s_mov_b32 s13, s7
	s_waitcnt lgkmcnt(0)
	s_cmp_eq_u64 s[0:1], 0
	s_cbranch_scc1 .LBB383_7
; %bb.6:
	s_lshl_b64 s[6:7], s[6:7], 3
	s_add_u32 s0, s0, s6
	s_addc_u32 s1, s1, s7
	s_load_dwordx2 s[0:1], s[0:1], 0x0
	s_waitcnt lgkmcnt(0)
	s_sub_u32 s6, s0, s12
	s_subb_u32 s7, s1, 0
.LBB383_7:
	s_load_dword s9, s[4:5], 0x8
	v_and_b32_e32 v6, 31, v0
	v_mov_b32_e32 v5, 0
	s_waitcnt lgkmcnt(0)
	s_cmp_eq_u32 s9, 1
	s_cselect_b64 s[0:1], -1, 0
	s_cmp_lg_u32 s9, 1
	s_cselect_b64 s[14:15], -1, 0
	s_lshl_b64 s[18:19], s[6:7], 3
	s_add_u32 s20, s2, s18
	s_addc_u32 s21, s3, s19
	s_add_u32 s2, s20, 8
	s_addc_u32 s3, s21, 0
	;; [unrolled: 2-line block ×3, first 2 shown]
	s_cmp_eq_u64 s[16:17], 0
	s_cselect_b32 s23, s3, s11
	s_cselect_b32 s22, s2, s9
	s_load_dwordx2 s[18:19], s[22:23], 0x0
	s_load_dwordx2 s[16:17], s[20:21], 0x0
	;; [unrolled: 1-line block ×3, first 2 shown]
	s_waitcnt lgkmcnt(0)
	v_mov_b32_e32 v1, s18
	v_mov_b32_e32 v2, s19
	v_cmp_ge_i64_e32 vcc, s[16:17], v[1:2]
	s_cbranch_vccnz .LBB383_10
; %bb.8:
	s_load_dwordx4 s[20:23], s[4:5], 0x38
	s_load_dwordx2 s[24:25], s[4:5], 0x48
	s_sub_u32 s18, s18, s12
	v_lshrrev_b32_e32 v1, 5, v0
	s_subb_u32 s19, s19, 0
	v_cndmask_b32_e64 v1, v6, v1, s[0:1]
	s_sub_u32 s0, s16, s12
	s_subb_u32 s1, s17, 0
	v_lshlrev_b32_e32 v1, 1, v1
	s_lshl_b64 s[4:5], s[0:1], 11
	s_waitcnt lgkmcnt(0)
	v_mov_b32_e32 v2, s25
	v_add_co_u32_e32 v7, vcc, s24, v1
	s_add_u32 s4, s22, s4
	v_addc_co_u32_e32 v8, vcc, 0, v2, vcc
	s_addc_u32 s5, s23, s5
	v_lshlrev_b32_e32 v1, 1, v0
	v_mov_b32_e32 v2, s5
	v_add_co_u32_e32 v1, vcc, s4, v1
	s_lshl_b64 s[4:5], s[16:17], 3
	s_lshl_b64 s[16:17], s[12:13], 3
	s_sub_u32 s4, s4, s16
	s_subb_u32 s5, s5, s17
	s_add_u32 s4, s20, s4
	v_mov_b32_e32 v3, s18
	v_mov_b32_e32 v5, 0
	v_addc_co_u32_e32 v2, vcc, 0, v2, vcc
	s_addc_u32 s5, s21, s5
	v_mov_b32_e32 v4, s19
.LBB383_9:                              ; =>This Inner Loop Header: Depth=1
	s_load_dwordx2 s[16:17], s[4:5], 0x0
	global_load_ushort v11, v[1:2], off
	s_waitcnt lgkmcnt(0)
	s_sub_u32 s16, s16, s12
	s_subb_u32 s17, s17, 0
	s_lshl_b64 s[16:17], s[16:17], 6
	v_mov_b32_e32 v10, s17
	v_add_co_u32_e32 v9, vcc, s16, v7
	v_addc_co_u32_e32 v10, vcc, v8, v10, vcc
	global_load_ushort v9, v[9:10], off
	v_add_co_u32_e32 v1, vcc, 0x800, v1
	s_add_u32 s0, s0, 1
	v_addc_co_u32_e32 v2, vcc, 0, v2, vcc
	s_addc_u32 s1, s1, 0
	v_cmp_lt_i64_e32 vcc, s[0:1], v[3:4]
	s_add_u32 s4, s4, 8
	s_addc_u32 s5, s5, 0
	s_and_b64 vcc, exec, vcc
	s_waitcnt vmcnt(1)
	v_lshlrev_b32_e32 v10, 16, v11
	s_waitcnt vmcnt(0)
	v_lshlrev_b32_e32 v9, 16, v9
	v_fmac_f32_e32 v5, v10, v9
	s_cbranch_vccnz .LBB383_9
.LBB383_10:
	v_lshlrev_b32_e32 v1, 2, v0
	s_and_b64 vcc, exec, s[14:15]
	ds_write_b32 v1, v5
	s_waitcnt lgkmcnt(0)
	s_barrier
	s_cbranch_vccz .LBB383_22
; %bb.11:
	v_cmp_gt_u32_e32 vcc, 16, v6
	s_and_saveexec_b64 s[0:1], vcc
	s_cbranch_execz .LBB383_13
; %bb.12:
	ds_read2_b32 v[2:3], v1 offset1:16
	s_waitcnt lgkmcnt(0)
	v_add_f32_e32 v2, v3, v2
	ds_write_b32 v1, v2
.LBB383_13:
	s_or_b64 exec, exec, s[0:1]
	v_cmp_gt_u32_e32 vcc, 8, v6
	s_waitcnt lgkmcnt(0)
	s_barrier
	s_and_saveexec_b64 s[0:1], vcc
	s_cbranch_execz .LBB383_15
; %bb.14:
	ds_read2_b32 v[2:3], v1 offset1:8
	s_waitcnt lgkmcnt(0)
	v_add_f32_e32 v2, v3, v2
	ds_write_b32 v1, v2
.LBB383_15:
	s_or_b64 exec, exec, s[0:1]
	v_cmp_gt_u32_e32 vcc, 4, v6
	s_waitcnt lgkmcnt(0)
	s_barrier
	;; [unrolled: 12-line block ×3, first 2 shown]
	s_and_saveexec_b64 s[0:1], vcc
	s_cbranch_execz .LBB383_19
; %bb.18:
	ds_read2_b32 v[2:3], v1 offset1:2
	s_waitcnt lgkmcnt(0)
	v_add_f32_e32 v2, v3, v2
	ds_write_b32 v1, v2
.LBB383_19:
	s_or_b64 exec, exec, s[0:1]
	v_cmp_gt_u32_e32 vcc, 32, v0
	v_mov_b32_e32 v2, v5
	s_waitcnt lgkmcnt(0)
	s_barrier
	s_and_saveexec_b64 s[0:1], vcc
	s_cbranch_execz .LBB383_21
; %bb.20:
	s_movk_i32 s4, 0x7c
	v_mad_u32_u24 v2, v0, s4, v1
	ds_read_b64 v[2:3], v2
	s_waitcnt lgkmcnt(0)
	v_add_f32_e32 v2, v2, v3
.LBB383_21:
	s_or_b64 exec, exec, s[0:1]
	s_branch .LBB383_34
.LBB383_22:
                                        ; implicit-def: $vgpr2
	s_cbranch_execz .LBB383_34
; %bb.23:
	s_movk_i32 s0, 0x200
	v_cmp_gt_u32_e32 vcc, s0, v0
	s_and_saveexec_b64 s[0:1], vcc
	s_cbranch_execz .LBB383_25
; %bb.24:
	ds_read2st64_b32 v[2:3], v1 offset1:8
	s_waitcnt lgkmcnt(0)
	v_add_f32_e32 v2, v3, v2
	ds_write_b32 v1, v2
.LBB383_25:
	s_or_b64 exec, exec, s[0:1]
	s_movk_i32 s0, 0x100
	v_cmp_gt_u32_e32 vcc, s0, v0
	s_waitcnt lgkmcnt(0)
	s_barrier
	s_and_saveexec_b64 s[0:1], vcc
	s_cbranch_execz .LBB383_27
; %bb.26:
	ds_read2st64_b32 v[2:3], v1 offset1:4
	s_waitcnt lgkmcnt(0)
	v_add_f32_e32 v2, v3, v2
	ds_write_b32 v1, v2
.LBB383_27:
	s_or_b64 exec, exec, s[0:1]
	s_movk_i32 s0, 0x80
	v_cmp_gt_u32_e32 vcc, s0, v0
	s_waitcnt lgkmcnt(0)
	s_barrier
	s_and_saveexec_b64 s[0:1], vcc
	s_cbranch_execz .LBB383_29
; %bb.28:
	ds_read2st64_b32 v[2:3], v1 offset1:2
	s_waitcnt lgkmcnt(0)
	v_add_f32_e32 v2, v3, v2
	ds_write_b32 v1, v2
.LBB383_29:
	s_or_b64 exec, exec, s[0:1]
	v_cmp_gt_u32_e32 vcc, 64, v0
	s_waitcnt lgkmcnt(0)
	s_barrier
	s_and_saveexec_b64 s[0:1], vcc
	s_cbranch_execz .LBB383_31
; %bb.30:
	ds_read2st64_b32 v[2:3], v1 offset1:1
	s_waitcnt lgkmcnt(0)
	v_add_f32_e32 v2, v3, v2
	ds_write_b32 v1, v2
.LBB383_31:
	s_or_b64 exec, exec, s[0:1]
	v_cmp_gt_u32_e32 vcc, 32, v0
	s_waitcnt lgkmcnt(0)
	s_and_saveexec_b64 s[0:1], vcc
	s_cbranch_execz .LBB383_33
; %bb.32:
	ds_read2_b32 v[2:3], v1 offset1:32
	s_waitcnt lgkmcnt(0)
	v_add_f32_e32 v5, v2, v3
.LBB383_33:
	s_or_b64 exec, exec, s[0:1]
	v_mov_b32_e32 v2, v5
.LBB383_34:
	v_cmp_gt_u32_e32 vcc, 32, v0
	s_and_saveexec_b64 s[0:1], vcc
	s_cbranch_execz .LBB383_38
; %bb.35:
	v_cmp_eq_f32_e64 s[0:1], s8, 0
	s_and_b64 vcc, exec, s[0:1]
	v_mul_f32_e32 v0, s10, v2
	s_cbranch_vccz .LBB383_39
; %bb.36:
	s_lshl_b64 s[0:1], s[6:7], 7
	s_add_u32 s0, s2, s0
	s_addc_u32 s1, s3, s1
	global_store_dword v1, v0, s[0:1]
	s_cbranch_execnz .LBB383_38
.LBB383_37:
	s_lshl_b64 s[0:1], s[6:7], 7
	s_add_u32 s0, s2, s0
	s_addc_u32 s1, s3, s1
	global_load_dword v2, v1, s[0:1]
	s_waitcnt vmcnt(0)
	v_fmac_f32_e32 v0, s8, v2
	global_store_dword v1, v0, s[0:1]
.LBB383_38:
	s_endpgm
.LBB383_39:
	s_branch .LBB383_37
	.section	.rodata,"a",@progbits
	.p2align	6, 0x0
	.amdhsa_kernel _ZN9rocsparseL20bsrxmvn_17_32_kernelILj32Efll18rocsparse_bfloat16S1_fEEvT2_20rocsparse_direction_NS_24const_host_device_scalarIT0_EES2_PKS2_PKT1_SB_S8_PKT3_PKT4_S6_PT5_21rocsparse_index_base_b
		.amdhsa_group_segment_fixed_size 4096
		.amdhsa_private_segment_fixed_size 0
		.amdhsa_kernarg_size 104
		.amdhsa_user_sgpr_count 6
		.amdhsa_user_sgpr_private_segment_buffer 1
		.amdhsa_user_sgpr_dispatch_ptr 0
		.amdhsa_user_sgpr_queue_ptr 0
		.amdhsa_user_sgpr_kernarg_segment_ptr 1
		.amdhsa_user_sgpr_dispatch_id 0
		.amdhsa_user_sgpr_flat_scratch_init 0
		.amdhsa_user_sgpr_private_segment_size 0
		.amdhsa_uses_dynamic_stack 0
		.amdhsa_system_sgpr_private_segment_wavefront_offset 0
		.amdhsa_system_sgpr_workgroup_id_x 1
		.amdhsa_system_sgpr_workgroup_id_y 0
		.amdhsa_system_sgpr_workgroup_id_z 0
		.amdhsa_system_sgpr_workgroup_info 0
		.amdhsa_system_vgpr_workitem_id 0
		.amdhsa_next_free_vgpr 29
		.amdhsa_next_free_sgpr 61
		.amdhsa_reserve_vcc 1
		.amdhsa_reserve_flat_scratch 0
		.amdhsa_float_round_mode_32 0
		.amdhsa_float_round_mode_16_64 0
		.amdhsa_float_denorm_mode_32 3
		.amdhsa_float_denorm_mode_16_64 3
		.amdhsa_dx10_clamp 1
		.amdhsa_ieee_mode 1
		.amdhsa_fp16_overflow 0
		.amdhsa_exception_fp_ieee_invalid_op 0
		.amdhsa_exception_fp_denorm_src 0
		.amdhsa_exception_fp_ieee_div_zero 0
		.amdhsa_exception_fp_ieee_overflow 0
		.amdhsa_exception_fp_ieee_underflow 0
		.amdhsa_exception_fp_ieee_inexact 0
		.amdhsa_exception_int_div_zero 0
	.end_amdhsa_kernel
	.section	.text._ZN9rocsparseL20bsrxmvn_17_32_kernelILj32Efll18rocsparse_bfloat16S1_fEEvT2_20rocsparse_direction_NS_24const_host_device_scalarIT0_EES2_PKS2_PKT1_SB_S8_PKT3_PKT4_S6_PT5_21rocsparse_index_base_b,"axG",@progbits,_ZN9rocsparseL20bsrxmvn_17_32_kernelILj32Efll18rocsparse_bfloat16S1_fEEvT2_20rocsparse_direction_NS_24const_host_device_scalarIT0_EES2_PKS2_PKT1_SB_S8_PKT3_PKT4_S6_PT5_21rocsparse_index_base_b,comdat
.Lfunc_end383:
	.size	_ZN9rocsparseL20bsrxmvn_17_32_kernelILj32Efll18rocsparse_bfloat16S1_fEEvT2_20rocsparse_direction_NS_24const_host_device_scalarIT0_EES2_PKS2_PKT1_SB_S8_PKT3_PKT4_S6_PT5_21rocsparse_index_base_b, .Lfunc_end383-_ZN9rocsparseL20bsrxmvn_17_32_kernelILj32Efll18rocsparse_bfloat16S1_fEEvT2_20rocsparse_direction_NS_24const_host_device_scalarIT0_EES2_PKS2_PKT1_SB_S8_PKT3_PKT4_S6_PT5_21rocsparse_index_base_b
                                        ; -- End function
	.set _ZN9rocsparseL20bsrxmvn_17_32_kernelILj32Efll18rocsparse_bfloat16S1_fEEvT2_20rocsparse_direction_NS_24const_host_device_scalarIT0_EES2_PKS2_PKT1_SB_S8_PKT3_PKT4_S6_PT5_21rocsparse_index_base_b.num_vgpr, 12
	.set _ZN9rocsparseL20bsrxmvn_17_32_kernelILj32Efll18rocsparse_bfloat16S1_fEEvT2_20rocsparse_direction_NS_24const_host_device_scalarIT0_EES2_PKS2_PKT1_SB_S8_PKT3_PKT4_S6_PT5_21rocsparse_index_base_b.num_agpr, 0
	.set _ZN9rocsparseL20bsrxmvn_17_32_kernelILj32Efll18rocsparse_bfloat16S1_fEEvT2_20rocsparse_direction_NS_24const_host_device_scalarIT0_EES2_PKS2_PKT1_SB_S8_PKT3_PKT4_S6_PT5_21rocsparse_index_base_b.numbered_sgpr, 26
	.set _ZN9rocsparseL20bsrxmvn_17_32_kernelILj32Efll18rocsparse_bfloat16S1_fEEvT2_20rocsparse_direction_NS_24const_host_device_scalarIT0_EES2_PKS2_PKT1_SB_S8_PKT3_PKT4_S6_PT5_21rocsparse_index_base_b.num_named_barrier, 0
	.set _ZN9rocsparseL20bsrxmvn_17_32_kernelILj32Efll18rocsparse_bfloat16S1_fEEvT2_20rocsparse_direction_NS_24const_host_device_scalarIT0_EES2_PKS2_PKT1_SB_S8_PKT3_PKT4_S6_PT5_21rocsparse_index_base_b.private_seg_size, 0
	.set _ZN9rocsparseL20bsrxmvn_17_32_kernelILj32Efll18rocsparse_bfloat16S1_fEEvT2_20rocsparse_direction_NS_24const_host_device_scalarIT0_EES2_PKS2_PKT1_SB_S8_PKT3_PKT4_S6_PT5_21rocsparse_index_base_b.uses_vcc, 1
	.set _ZN9rocsparseL20bsrxmvn_17_32_kernelILj32Efll18rocsparse_bfloat16S1_fEEvT2_20rocsparse_direction_NS_24const_host_device_scalarIT0_EES2_PKS2_PKT1_SB_S8_PKT3_PKT4_S6_PT5_21rocsparse_index_base_b.uses_flat_scratch, 0
	.set _ZN9rocsparseL20bsrxmvn_17_32_kernelILj32Efll18rocsparse_bfloat16S1_fEEvT2_20rocsparse_direction_NS_24const_host_device_scalarIT0_EES2_PKS2_PKT1_SB_S8_PKT3_PKT4_S6_PT5_21rocsparse_index_base_b.has_dyn_sized_stack, 0
	.set _ZN9rocsparseL20bsrxmvn_17_32_kernelILj32Efll18rocsparse_bfloat16S1_fEEvT2_20rocsparse_direction_NS_24const_host_device_scalarIT0_EES2_PKS2_PKT1_SB_S8_PKT3_PKT4_S6_PT5_21rocsparse_index_base_b.has_recursion, 0
	.set _ZN9rocsparseL20bsrxmvn_17_32_kernelILj32Efll18rocsparse_bfloat16S1_fEEvT2_20rocsparse_direction_NS_24const_host_device_scalarIT0_EES2_PKS2_PKT1_SB_S8_PKT3_PKT4_S6_PT5_21rocsparse_index_base_b.has_indirect_call, 0
	.section	.AMDGPU.csdata,"",@progbits
; Kernel info:
; codeLenInByte = 1144
; TotalNumSgprs: 30
; NumVgprs: 12
; ScratchSize: 0
; MemoryBound: 0
; FloatMode: 240
; IeeeMode: 1
; LDSByteSize: 4096 bytes/workgroup (compile time only)
; SGPRBlocks: 8
; VGPRBlocks: 7
; NumSGPRsForWavesPerEU: 65
; NumVGPRsForWavesPerEU: 29
; Occupancy: 8
; WaveLimiterHint : 1
; COMPUTE_PGM_RSRC2:SCRATCH_EN: 0
; COMPUTE_PGM_RSRC2:USER_SGPR: 6
; COMPUTE_PGM_RSRC2:TRAP_HANDLER: 0
; COMPUTE_PGM_RSRC2:TGID_X_EN: 1
; COMPUTE_PGM_RSRC2:TGID_Y_EN: 0
; COMPUTE_PGM_RSRC2:TGID_Z_EN: 0
; COMPUTE_PGM_RSRC2:TIDIG_COMP_CNT: 0
	.section	.text._ZN9rocsparseL20bsrxmvn_17_32_kernelILj17E21rocsparse_complex_numIfEiifS2_S2_EEvT2_20rocsparse_direction_NS_24const_host_device_scalarIT0_EES3_PKS3_PKT1_SC_S9_PKT3_PKT4_S7_PT5_21rocsparse_index_base_b,"axG",@progbits,_ZN9rocsparseL20bsrxmvn_17_32_kernelILj17E21rocsparse_complex_numIfEiifS2_S2_EEvT2_20rocsparse_direction_NS_24const_host_device_scalarIT0_EES3_PKS3_PKT1_SC_S9_PKT3_PKT4_S7_PT5_21rocsparse_index_base_b,comdat
	.globl	_ZN9rocsparseL20bsrxmvn_17_32_kernelILj17E21rocsparse_complex_numIfEiifS2_S2_EEvT2_20rocsparse_direction_NS_24const_host_device_scalarIT0_EES3_PKS3_PKT1_SC_S9_PKT3_PKT4_S7_PT5_21rocsparse_index_base_b ; -- Begin function _ZN9rocsparseL20bsrxmvn_17_32_kernelILj17E21rocsparse_complex_numIfEiifS2_S2_EEvT2_20rocsparse_direction_NS_24const_host_device_scalarIT0_EES3_PKS3_PKT1_SC_S9_PKT3_PKT4_S7_PT5_21rocsparse_index_base_b
	.p2align	8
	.type	_ZN9rocsparseL20bsrxmvn_17_32_kernelILj17E21rocsparse_complex_numIfEiifS2_S2_EEvT2_20rocsparse_direction_NS_24const_host_device_scalarIT0_EES3_PKS3_PKT1_SC_S9_PKT3_PKT4_S7_PT5_21rocsparse_index_base_b,@function
_ZN9rocsparseL20bsrxmvn_17_32_kernelILj17E21rocsparse_complex_numIfEiifS2_S2_EEvT2_20rocsparse_direction_NS_24const_host_device_scalarIT0_EES3_PKS3_PKT1_SC_S9_PKT3_PKT4_S7_PT5_21rocsparse_index_base_b: ; @_ZN9rocsparseL20bsrxmvn_17_32_kernelILj17E21rocsparse_complex_numIfEiifS2_S2_EEvT2_20rocsparse_direction_NS_24const_host_device_scalarIT0_EES3_PKS3_PKT1_SC_S9_PKT3_PKT4_S7_PT5_21rocsparse_index_base_b
; %bb.0:
	s_load_dwordx2 s[0:1], s[4:5], 0x8
	s_load_dwordx2 s[10:11], s[4:5], 0x58
	s_add_u32 s7, s4, 8
	s_addc_u32 s8, s5, 0
	s_add_u32 s9, s4, 0x48
	s_load_dwordx2 s[2:3], s[4:5], 0x48
	s_addc_u32 s12, s5, 0
	s_waitcnt lgkmcnt(0)
	s_bitcmp1_b32 s11, 0
	s_cselect_b32 s1, s8, s1
	s_cselect_b32 s0, s7, s0
	v_mov_b32_e32 v1, s0
	v_mov_b32_e32 v2, s1
	flat_load_dwordx2 v[3:4], v[1:2]
	s_cselect_b32 s0, s12, s3
	s_cselect_b32 s1, s9, s2
	v_mov_b32_e32 v1, s1
	v_mov_b32_e32 v2, s0
	flat_load_dwordx2 v[1:2], v[1:2]
	s_waitcnt vmcnt(0) lgkmcnt(0)
	v_cmp_eq_f32_e32 vcc, 0, v3
	v_cmp_eq_f32_e64 s[0:1], 0, v4
	s_and_b64 s[8:9], vcc, s[0:1]
	s_mov_b64 s[0:1], -1
	s_and_saveexec_b64 s[2:3], s[8:9]
; %bb.1:
	v_cmp_neq_f32_e32 vcc, 1.0, v1
	v_cmp_neq_f32_e64 s[0:1], 0, v2
	s_or_b64 s[0:1], vcc, s[0:1]
	s_orn2_b64 s[0:1], s[0:1], exec
; %bb.2:
	s_or_b64 exec, exec, s[2:3]
	s_and_saveexec_b64 s[2:3], s[0:1]
	s_cbranch_execz .LBB384_39
; %bb.3:
	s_load_dwordx4 s[0:3], s[4:5], 0x18
	s_load_dwordx2 s[14:15], s[4:5], 0x28
	s_waitcnt lgkmcnt(0)
	s_cmp_eq_u64 s[0:1], 0
	s_cbranch_scc1 .LBB384_5
; %bb.4:
	s_ashr_i32 s7, s6, 31
	s_lshl_b64 s[6:7], s[6:7], 2
	s_add_u32 s0, s0, s6
	s_addc_u32 s1, s1, s7
	s_load_dword s0, s[0:1], 0x0
	s_waitcnt lgkmcnt(0)
	s_sub_i32 s6, s0, s10
.LBB384_5:
	s_load_dword s0, s[4:5], 0x4
	s_load_dwordx2 s[8:9], s[4:5], 0x50
	v_mul_u32_u24_e32 v7, 0xf10, v0
	v_mov_b32_e32 v5, 17
	v_mul_lo_u16_sdwa v5, v7, v5 dst_sel:DWORD dst_unused:UNUSED_PAD src0_sel:WORD_1 src1_sel:DWORD
	s_waitcnt lgkmcnt(0)
	s_cmp_eq_u32 s0, 1
	s_cselect_b64 vcc, -1, 0
	s_cmp_lg_u32 s0, 1
	s_cselect_b64 s[12:13], -1, 0
	s_ashr_i32 s7, s6, 31
	s_lshl_b64 s[0:1], s[6:7], 2
	s_add_u32 s2, s2, s0
	s_addc_u32 s3, s3, s1
	s_load_dword s7, s[2:3], 0x0
	s_add_u32 s2, s2, 4
	s_addc_u32 s3, s3, 0
	s_add_u32 s0, s14, s0
	s_addc_u32 s1, s15, s1
	s_cmp_eq_u64 s[14:15], 0
	s_cselect_b32 s1, s3, s1
	s_cselect_b32 s0, s2, s0
	s_load_dword s11, s[0:1], 0x0
	v_sub_u16_e32 v12, v0, v5
	v_mov_b32_e32 v6, 0
	v_mov_b32_e32 v5, 0
	s_waitcnt lgkmcnt(0)
	s_cmp_ge_i32 s7, s11
	s_cbranch_scc1 .LBB384_10
; %bb.6:
	v_mov_b32_e32 v5, 31
	s_load_dwordx4 s[0:3], s[4:5], 0x30
	s_load_dwordx2 s[14:15], s[4:5], 0x40
	v_mul_lo_u16_sdwa v5, v7, v5 dst_sel:DWORD dst_unused:UNUSED_PAD src0_sel:WORD_1 src1_sel:DWORD
	v_lshrrev_b16_e32 v5, 9, v5
	v_mul_lo_u16_e32 v5, 17, v5
	s_sub_i32 s5, s7, s10
	s_sub_i32 s4, s11, s10
	v_sub_u16_sdwa v5, v7, v5 dst_sel:DWORD dst_unused:UNUSED_PAD src0_sel:WORD_1 src1_sel:DWORD
	s_mul_i32 s11, s5, 0x484
	v_and_b32_e32 v5, 0xff, v5
	s_mul_hi_i32 s7, s5, 0x484
	s_waitcnt lgkmcnt(0)
	s_add_u32 s2, s2, s11
	v_cndmask_b32_e32 v7, v12, v5, vcc
	s_addc_u32 s3, s3, s7
	v_lshlrev_b32_e32 v5, 2, v0
	v_mov_b32_e32 v6, 0
	v_mov_b32_e32 v9, s3
	v_add_co_u32_e32 v8, vcc, s2, v5
	s_movk_i32 s2, 0xe3
	v_addc_co_u32_e32 v9, vcc, 0, v9, vcc
	v_mul_u32_u24_sdwa v13, v0, s2 dst_sel:DWORD dst_unused:UNUSED_PAD src0_sel:WORD_0 src1_sel:DWORD
	v_mov_b32_e32 v5, v6
	s_branch .LBB384_8
.LBB384_7:                              ;   in Loop: Header=BB384_8 Depth=1
	s_or_b64 exec, exec, s[2:3]
	s_add_i32 s5, s5, 1
	s_cmp_lt_i32 s5, s4
	s_cbranch_scc0 .LBB384_10
.LBB384_8:                              ; =>This Inner Loop Header: Depth=1
	v_add_u32_sdwa v10, v13, s5 dst_sel:DWORD dst_unused:UNUSED_PAD src0_sel:WORD_1 src1_sel:DWORD
	v_cmp_gt_i32_e32 vcc, s4, v10
	s_and_saveexec_b64 s[2:3], vcc
	s_cbranch_execz .LBB384_7
; %bb.9:                                ;   in Loop: Header=BB384_8 Depth=1
	v_ashrrev_i32_e32 v11, 31, v10
	v_lshlrev_b64 v[10:11], 2, v[10:11]
	v_mov_b32_e32 v14, s1
	v_add_co_u32_e32 v10, vcc, s0, v10
	v_addc_co_u32_e32 v11, vcc, v14, v11, vcc
	global_load_dword v10, v[10:11], off
	v_mov_b32_e32 v15, s15
	global_load_dword v14, v[8:9], off
	s_waitcnt vmcnt(1)
	v_subrev_u32_e32 v10, s10, v10
	v_mad_u64_u32 v[10:11], s[16:17], v10, 17, v[7:8]
	v_ashrrev_i32_e32 v11, 31, v10
	v_lshlrev_b64 v[10:11], 3, v[10:11]
	v_add_co_u32_e32 v10, vcc, s14, v10
	v_addc_co_u32_e32 v11, vcc, v15, v11, vcc
	global_load_dwordx2 v[10:11], v[10:11], off
	v_add_co_u32_e32 v8, vcc, 0x484, v8
	v_addc_co_u32_e32 v9, vcc, 0, v9, vcc
	s_waitcnt vmcnt(0)
	v_fmac_f32_e32 v5, v14, v10
	v_fmac_f32_e32 v6, 0, v10
	v_fmac_f32_e32 v5, 0x80000000, v11
	v_fmac_f32_e32 v6, v14, v11
	s_branch .LBB384_7
.LBB384_10:
	v_lshlrev_b32_e32 v7, 3, v0
	s_and_b64 vcc, exec, s[12:13]
	ds_write_b64 v7, v[5:6]
	s_waitcnt lgkmcnt(0)
	s_barrier
	s_cbranch_vccz .LBB384_22
; %bb.11:
	v_cmp_eq_u16_e32 vcc, 0, v12
	s_and_saveexec_b64 s[0:1], vcc
	s_cbranch_execz .LBB384_13
; %bb.12:
	ds_read2_b64 v[8:11], v7 offset1:16
	s_waitcnt lgkmcnt(0)
	v_add_f32_e32 v8, v10, v8
	v_add_f32_e32 v9, v11, v9
	ds_write_b64 v7, v[8:9]
.LBB384_13:
	s_or_b64 exec, exec, s[0:1]
	v_cmp_gt_u16_e32 vcc, 8, v12
	s_waitcnt lgkmcnt(0)
	s_barrier
	s_and_saveexec_b64 s[0:1], vcc
	s_cbranch_execz .LBB384_15
; %bb.14:
	ds_read2_b64 v[8:11], v7 offset1:8
	s_waitcnt lgkmcnt(0)
	v_add_f32_e32 v8, v10, v8
	v_add_f32_e32 v9, v11, v9
	ds_write_b64 v7, v[8:9]
.LBB384_15:
	s_or_b64 exec, exec, s[0:1]
	v_cmp_gt_u16_e32 vcc, 4, v12
	s_waitcnt lgkmcnt(0)
	s_barrier
	;; [unrolled: 13-line block ×3, first 2 shown]
	s_and_saveexec_b64 s[0:1], vcc
	s_cbranch_execz .LBB384_19
; %bb.18:
	ds_read2_b64 v[8:11], v7 offset1:2
	s_waitcnt lgkmcnt(0)
	v_add_f32_e32 v8, v10, v8
	v_add_f32_e32 v9, v11, v9
	ds_write_b64 v7, v[8:9]
.LBB384_19:
	s_or_b64 exec, exec, s[0:1]
	v_cmp_gt_u32_e32 vcc, 17, v0
	v_mov_b32_e32 v9, v6
	v_mov_b32_e32 v8, v5
	s_waitcnt lgkmcnt(0)
	s_barrier
	s_and_saveexec_b64 s[0:1], vcc
	s_cbranch_execz .LBB384_21
; %bb.20:
	v_lshl_add_u32 v8, v0, 7, v7
	ds_read2_b64 v[8:11], v8 offset1:1
	s_waitcnt lgkmcnt(0)
	v_add_f32_e32 v8, v10, v8
	v_add_f32_e32 v9, v11, v9
.LBB384_21:
	s_or_b64 exec, exec, s[0:1]
	v_cmp_gt_u32_e64 s[0:1], 17, v0
	s_branch .LBB384_34
.LBB384_22:
                                        ; implicit-def: $vgpr9
                                        ; implicit-def: $vgpr8
	v_cmp_gt_u32_e64 s[0:1], 17, v0
	s_cbranch_execz .LBB384_34
; %bb.23:
	s_and_saveexec_b64 s[2:3], s[0:1]
	s_cbranch_execz .LBB384_25
; %bb.24:
	ds_read_b64 v[8:9], v7 offset:2176
	ds_read_b64 v[10:11], v7
	s_waitcnt lgkmcnt(0)
	v_add_f32_e32 v8, v8, v10
	v_add_f32_e32 v9, v9, v11
	ds_write_b64 v7, v[8:9]
.LBB384_25:
	s_or_b64 exec, exec, s[2:3]
	s_movk_i32 s2, 0x88
	v_cmp_gt_u32_e32 vcc, s2, v0
	s_waitcnt lgkmcnt(0)
	s_barrier
	s_and_saveexec_b64 s[2:3], vcc
	s_cbranch_execz .LBB384_27
; %bb.26:
	ds_read2_b64 v[8:11], v7 offset1:136
	s_waitcnt lgkmcnt(0)
	v_add_f32_e32 v8, v10, v8
	v_add_f32_e32 v9, v11, v9
	ds_write_b64 v7, v[8:9]
.LBB384_27:
	s_or_b64 exec, exec, s[2:3]
	s_movk_i32 s2, 0x44
	v_cmp_gt_u32_e32 vcc, s2, v0
	s_waitcnt lgkmcnt(0)
	s_barrier
	s_and_saveexec_b64 s[2:3], vcc
	s_cbranch_execz .LBB384_29
; %bb.28:
	ds_read2_b64 v[8:11], v7 offset1:68
	s_waitcnt lgkmcnt(0)
	v_add_f32_e32 v8, v10, v8
	v_add_f32_e32 v9, v11, v9
	ds_write_b64 v7, v[8:9]
.LBB384_29:
	s_or_b64 exec, exec, s[2:3]
	v_cmp_gt_u32_e32 vcc, 34, v0
	s_waitcnt lgkmcnt(0)
	s_barrier
	s_and_saveexec_b64 s[2:3], vcc
	s_cbranch_execz .LBB384_31
; %bb.30:
	ds_read2_b64 v[8:11], v7 offset1:34
	s_waitcnt lgkmcnt(0)
	v_add_f32_e32 v8, v10, v8
	v_add_f32_e32 v9, v11, v9
	ds_write_b64 v7, v[8:9]
.LBB384_31:
	s_or_b64 exec, exec, s[2:3]
	s_waitcnt lgkmcnt(0)
	s_and_saveexec_b64 s[2:3], s[0:1]
	s_cbranch_execz .LBB384_33
; %bb.32:
	ds_read2_b64 v[5:8], v7 offset1:17
	s_waitcnt lgkmcnt(0)
	v_add_f32_e32 v5, v7, v5
	v_add_f32_e32 v6, v8, v6
.LBB384_33:
	s_or_b64 exec, exec, s[2:3]
	v_mov_b32_e32 v9, v6
	v_mov_b32_e32 v8, v5
.LBB384_34:
	v_cmp_gt_u32_e32 vcc, 17, v0
	s_and_b64 exec, exec, vcc
	s_cbranch_execz .LBB384_39
; %bb.35:
	v_cmp_eq_f32_e32 vcc, 0, v1
	v_cmp_eq_f32_e64 s[0:1], 0, v2
	v_mul_f32_e64 v5, v9, -v4
	v_mul_f32_e32 v6, v3, v9
	s_and_b64 s[0:1], vcc, s[0:1]
	v_fmac_f32_e32 v5, v3, v8
	v_fmac_f32_e32 v6, v4, v8
	s_and_saveexec_b64 s[2:3], s[0:1]
	s_xor_b64 s[0:1], exec, s[2:3]
	s_cbranch_execz .LBB384_37
; %bb.36:
	v_mad_u64_u32 v[0:1], s[2:3], s6, 17, v[0:1]
	v_mov_b32_e32 v1, 0
	v_mov_b32_e32 v2, s9
	v_lshlrev_b64 v[0:1], 3, v[0:1]
	v_add_co_u32_e32 v0, vcc, s8, v0
	v_addc_co_u32_e32 v1, vcc, v2, v1, vcc
	global_store_dwordx2 v[0:1], v[5:6], off
                                        ; implicit-def: $vgpr0
                                        ; implicit-def: $vgpr1_vgpr2
                                        ; implicit-def: $vgpr5
.LBB384_37:
	s_andn2_saveexec_b64 s[0:1], s[0:1]
	s_cbranch_execz .LBB384_39
; %bb.38:
	v_mad_u64_u32 v[3:4], s[0:1], s6, 17, v[0:1]
	v_mov_b32_e32 v4, 0
	v_mov_b32_e32 v0, s9
	v_lshlrev_b64 v[3:4], 3, v[3:4]
	v_add_co_u32_e32 v3, vcc, s8, v3
	v_addc_co_u32_e32 v4, vcc, v0, v4, vcc
	global_load_dwordx2 v[7:8], v[3:4], off
	s_waitcnt vmcnt(0)
	v_fmac_f32_e32 v5, v1, v7
	v_fmac_f32_e32 v6, v2, v7
	v_fma_f32 v5, -v2, v8, v5
	v_fmac_f32_e32 v6, v1, v8
	global_store_dwordx2 v[3:4], v[5:6], off
.LBB384_39:
	s_endpgm
	.section	.rodata,"a",@progbits
	.p2align	6, 0x0
	.amdhsa_kernel _ZN9rocsparseL20bsrxmvn_17_32_kernelILj17E21rocsparse_complex_numIfEiifS2_S2_EEvT2_20rocsparse_direction_NS_24const_host_device_scalarIT0_EES3_PKS3_PKT1_SC_S9_PKT3_PKT4_S7_PT5_21rocsparse_index_base_b
		.amdhsa_group_segment_fixed_size 2312
		.amdhsa_private_segment_fixed_size 0
		.amdhsa_kernarg_size 96
		.amdhsa_user_sgpr_count 6
		.amdhsa_user_sgpr_private_segment_buffer 1
		.amdhsa_user_sgpr_dispatch_ptr 0
		.amdhsa_user_sgpr_queue_ptr 0
		.amdhsa_user_sgpr_kernarg_segment_ptr 1
		.amdhsa_user_sgpr_dispatch_id 0
		.amdhsa_user_sgpr_flat_scratch_init 0
		.amdhsa_user_sgpr_private_segment_size 0
		.amdhsa_uses_dynamic_stack 0
		.amdhsa_system_sgpr_private_segment_wavefront_offset 0
		.amdhsa_system_sgpr_workgroup_id_x 1
		.amdhsa_system_sgpr_workgroup_id_y 0
		.amdhsa_system_sgpr_workgroup_id_z 0
		.amdhsa_system_sgpr_workgroup_info 0
		.amdhsa_system_vgpr_workitem_id 0
		.amdhsa_next_free_vgpr 16
		.amdhsa_next_free_sgpr 18
		.amdhsa_reserve_vcc 1
		.amdhsa_reserve_flat_scratch 0
		.amdhsa_float_round_mode_32 0
		.amdhsa_float_round_mode_16_64 0
		.amdhsa_float_denorm_mode_32 3
		.amdhsa_float_denorm_mode_16_64 3
		.amdhsa_dx10_clamp 1
		.amdhsa_ieee_mode 1
		.amdhsa_fp16_overflow 0
		.amdhsa_exception_fp_ieee_invalid_op 0
		.amdhsa_exception_fp_denorm_src 0
		.amdhsa_exception_fp_ieee_div_zero 0
		.amdhsa_exception_fp_ieee_overflow 0
		.amdhsa_exception_fp_ieee_underflow 0
		.amdhsa_exception_fp_ieee_inexact 0
		.amdhsa_exception_int_div_zero 0
	.end_amdhsa_kernel
	.section	.text._ZN9rocsparseL20bsrxmvn_17_32_kernelILj17E21rocsparse_complex_numIfEiifS2_S2_EEvT2_20rocsparse_direction_NS_24const_host_device_scalarIT0_EES3_PKS3_PKT1_SC_S9_PKT3_PKT4_S7_PT5_21rocsparse_index_base_b,"axG",@progbits,_ZN9rocsparseL20bsrxmvn_17_32_kernelILj17E21rocsparse_complex_numIfEiifS2_S2_EEvT2_20rocsparse_direction_NS_24const_host_device_scalarIT0_EES3_PKS3_PKT1_SC_S9_PKT3_PKT4_S7_PT5_21rocsparse_index_base_b,comdat
.Lfunc_end384:
	.size	_ZN9rocsparseL20bsrxmvn_17_32_kernelILj17E21rocsparse_complex_numIfEiifS2_S2_EEvT2_20rocsparse_direction_NS_24const_host_device_scalarIT0_EES3_PKS3_PKT1_SC_S9_PKT3_PKT4_S7_PT5_21rocsparse_index_base_b, .Lfunc_end384-_ZN9rocsparseL20bsrxmvn_17_32_kernelILj17E21rocsparse_complex_numIfEiifS2_S2_EEvT2_20rocsparse_direction_NS_24const_host_device_scalarIT0_EES3_PKS3_PKT1_SC_S9_PKT3_PKT4_S7_PT5_21rocsparse_index_base_b
                                        ; -- End function
	.set _ZN9rocsparseL20bsrxmvn_17_32_kernelILj17E21rocsparse_complex_numIfEiifS2_S2_EEvT2_20rocsparse_direction_NS_24const_host_device_scalarIT0_EES3_PKS3_PKT1_SC_S9_PKT3_PKT4_S7_PT5_21rocsparse_index_base_b.num_vgpr, 16
	.set _ZN9rocsparseL20bsrxmvn_17_32_kernelILj17E21rocsparse_complex_numIfEiifS2_S2_EEvT2_20rocsparse_direction_NS_24const_host_device_scalarIT0_EES3_PKS3_PKT1_SC_S9_PKT3_PKT4_S7_PT5_21rocsparse_index_base_b.num_agpr, 0
	.set _ZN9rocsparseL20bsrxmvn_17_32_kernelILj17E21rocsparse_complex_numIfEiifS2_S2_EEvT2_20rocsparse_direction_NS_24const_host_device_scalarIT0_EES3_PKS3_PKT1_SC_S9_PKT3_PKT4_S7_PT5_21rocsparse_index_base_b.numbered_sgpr, 18
	.set _ZN9rocsparseL20bsrxmvn_17_32_kernelILj17E21rocsparse_complex_numIfEiifS2_S2_EEvT2_20rocsparse_direction_NS_24const_host_device_scalarIT0_EES3_PKS3_PKT1_SC_S9_PKT3_PKT4_S7_PT5_21rocsparse_index_base_b.num_named_barrier, 0
	.set _ZN9rocsparseL20bsrxmvn_17_32_kernelILj17E21rocsparse_complex_numIfEiifS2_S2_EEvT2_20rocsparse_direction_NS_24const_host_device_scalarIT0_EES3_PKS3_PKT1_SC_S9_PKT3_PKT4_S7_PT5_21rocsparse_index_base_b.private_seg_size, 0
	.set _ZN9rocsparseL20bsrxmvn_17_32_kernelILj17E21rocsparse_complex_numIfEiifS2_S2_EEvT2_20rocsparse_direction_NS_24const_host_device_scalarIT0_EES3_PKS3_PKT1_SC_S9_PKT3_PKT4_S7_PT5_21rocsparse_index_base_b.uses_vcc, 1
	.set _ZN9rocsparseL20bsrxmvn_17_32_kernelILj17E21rocsparse_complex_numIfEiifS2_S2_EEvT2_20rocsparse_direction_NS_24const_host_device_scalarIT0_EES3_PKS3_PKT1_SC_S9_PKT3_PKT4_S7_PT5_21rocsparse_index_base_b.uses_flat_scratch, 0
	.set _ZN9rocsparseL20bsrxmvn_17_32_kernelILj17E21rocsparse_complex_numIfEiifS2_S2_EEvT2_20rocsparse_direction_NS_24const_host_device_scalarIT0_EES3_PKS3_PKT1_SC_S9_PKT3_PKT4_S7_PT5_21rocsparse_index_base_b.has_dyn_sized_stack, 0
	.set _ZN9rocsparseL20bsrxmvn_17_32_kernelILj17E21rocsparse_complex_numIfEiifS2_S2_EEvT2_20rocsparse_direction_NS_24const_host_device_scalarIT0_EES3_PKS3_PKT1_SC_S9_PKT3_PKT4_S7_PT5_21rocsparse_index_base_b.has_recursion, 0
	.set _ZN9rocsparseL20bsrxmvn_17_32_kernelILj17E21rocsparse_complex_numIfEiifS2_S2_EEvT2_20rocsparse_direction_NS_24const_host_device_scalarIT0_EES3_PKS3_PKT1_SC_S9_PKT3_PKT4_S7_PT5_21rocsparse_index_base_b.has_indirect_call, 0
	.section	.AMDGPU.csdata,"",@progbits
; Kernel info:
; codeLenInByte = 1408
; TotalNumSgprs: 22
; NumVgprs: 16
; ScratchSize: 0
; MemoryBound: 0
; FloatMode: 240
; IeeeMode: 1
; LDSByteSize: 2312 bytes/workgroup (compile time only)
; SGPRBlocks: 2
; VGPRBlocks: 3
; NumSGPRsForWavesPerEU: 22
; NumVGPRsForWavesPerEU: 16
; Occupancy: 10
; WaveLimiterHint : 1
; COMPUTE_PGM_RSRC2:SCRATCH_EN: 0
; COMPUTE_PGM_RSRC2:USER_SGPR: 6
; COMPUTE_PGM_RSRC2:TRAP_HANDLER: 0
; COMPUTE_PGM_RSRC2:TGID_X_EN: 1
; COMPUTE_PGM_RSRC2:TGID_Y_EN: 0
; COMPUTE_PGM_RSRC2:TGID_Z_EN: 0
; COMPUTE_PGM_RSRC2:TIDIG_COMP_CNT: 0
	.section	.text._ZN9rocsparseL20bsrxmvn_17_32_kernelILj18E21rocsparse_complex_numIfEiifS2_S2_EEvT2_20rocsparse_direction_NS_24const_host_device_scalarIT0_EES3_PKS3_PKT1_SC_S9_PKT3_PKT4_S7_PT5_21rocsparse_index_base_b,"axG",@progbits,_ZN9rocsparseL20bsrxmvn_17_32_kernelILj18E21rocsparse_complex_numIfEiifS2_S2_EEvT2_20rocsparse_direction_NS_24const_host_device_scalarIT0_EES3_PKS3_PKT1_SC_S9_PKT3_PKT4_S7_PT5_21rocsparse_index_base_b,comdat
	.globl	_ZN9rocsparseL20bsrxmvn_17_32_kernelILj18E21rocsparse_complex_numIfEiifS2_S2_EEvT2_20rocsparse_direction_NS_24const_host_device_scalarIT0_EES3_PKS3_PKT1_SC_S9_PKT3_PKT4_S7_PT5_21rocsparse_index_base_b ; -- Begin function _ZN9rocsparseL20bsrxmvn_17_32_kernelILj18E21rocsparse_complex_numIfEiifS2_S2_EEvT2_20rocsparse_direction_NS_24const_host_device_scalarIT0_EES3_PKS3_PKT1_SC_S9_PKT3_PKT4_S7_PT5_21rocsparse_index_base_b
	.p2align	8
	.type	_ZN9rocsparseL20bsrxmvn_17_32_kernelILj18E21rocsparse_complex_numIfEiifS2_S2_EEvT2_20rocsparse_direction_NS_24const_host_device_scalarIT0_EES3_PKS3_PKT1_SC_S9_PKT3_PKT4_S7_PT5_21rocsparse_index_base_b,@function
_ZN9rocsparseL20bsrxmvn_17_32_kernelILj18E21rocsparse_complex_numIfEiifS2_S2_EEvT2_20rocsparse_direction_NS_24const_host_device_scalarIT0_EES3_PKS3_PKT1_SC_S9_PKT3_PKT4_S7_PT5_21rocsparse_index_base_b: ; @_ZN9rocsparseL20bsrxmvn_17_32_kernelILj18E21rocsparse_complex_numIfEiifS2_S2_EEvT2_20rocsparse_direction_NS_24const_host_device_scalarIT0_EES3_PKS3_PKT1_SC_S9_PKT3_PKT4_S7_PT5_21rocsparse_index_base_b
; %bb.0:
	s_load_dwordx2 s[0:1], s[4:5], 0x8
	s_load_dwordx2 s[10:11], s[4:5], 0x58
	s_add_u32 s7, s4, 8
	s_addc_u32 s8, s5, 0
	s_add_u32 s9, s4, 0x48
	s_load_dwordx2 s[2:3], s[4:5], 0x48
	s_addc_u32 s12, s5, 0
	s_waitcnt lgkmcnt(0)
	s_bitcmp1_b32 s11, 0
	s_cselect_b32 s1, s8, s1
	s_cselect_b32 s0, s7, s0
	v_mov_b32_e32 v1, s0
	v_mov_b32_e32 v2, s1
	flat_load_dwordx2 v[3:4], v[1:2]
	s_cselect_b32 s0, s12, s3
	s_cselect_b32 s1, s9, s2
	v_mov_b32_e32 v1, s1
	v_mov_b32_e32 v2, s0
	flat_load_dwordx2 v[1:2], v[1:2]
	s_waitcnt vmcnt(0) lgkmcnt(0)
	v_cmp_eq_f32_e32 vcc, 0, v3
	v_cmp_eq_f32_e64 s[0:1], 0, v4
	s_and_b64 s[8:9], vcc, s[0:1]
	s_mov_b64 s[0:1], -1
	s_and_saveexec_b64 s[2:3], s[8:9]
; %bb.1:
	v_cmp_neq_f32_e32 vcc, 1.0, v1
	v_cmp_neq_f32_e64 s[0:1], 0, v2
	s_or_b64 s[0:1], vcc, s[0:1]
	s_orn2_b64 s[0:1], s[0:1], exec
; %bb.2:
	s_or_b64 exec, exec, s[2:3]
	s_and_saveexec_b64 s[2:3], s[0:1]
	s_cbranch_execz .LBB385_39
; %bb.3:
	s_load_dwordx4 s[0:3], s[4:5], 0x18
	s_load_dwordx2 s[14:15], s[4:5], 0x28
	s_waitcnt lgkmcnt(0)
	s_cmp_eq_u64 s[0:1], 0
	s_cbranch_scc1 .LBB385_5
; %bb.4:
	s_ashr_i32 s7, s6, 31
	s_lshl_b64 s[6:7], s[6:7], 2
	s_add_u32 s0, s0, s6
	s_addc_u32 s1, s1, s7
	s_load_dword s0, s[0:1], 0x0
	s_waitcnt lgkmcnt(0)
	s_sub_i32 s6, s0, s10
.LBB385_5:
	s_load_dword s0, s[4:5], 0x4
	s_load_dwordx2 s[8:9], s[4:5], 0x50
	v_mul_u32_u24_e32 v7, 0xe39, v0
	v_mov_b32_e32 v8, 18
	v_mul_lo_u16_sdwa v5, v7, v8 dst_sel:DWORD dst_unused:UNUSED_PAD src0_sel:WORD_1 src1_sel:DWORD
	s_waitcnt lgkmcnt(0)
	s_cmp_eq_u32 s0, 1
	s_cselect_b64 vcc, -1, 0
	s_cmp_lg_u32 s0, 1
	s_cselect_b64 s[12:13], -1, 0
	s_ashr_i32 s7, s6, 31
	s_lshl_b64 s[0:1], s[6:7], 2
	s_add_u32 s2, s2, s0
	s_addc_u32 s3, s3, s1
	s_load_dword s7, s[2:3], 0x0
	s_add_u32 s2, s2, 4
	s_addc_u32 s3, s3, 0
	s_add_u32 s0, s14, s0
	s_addc_u32 s1, s15, s1
	s_cmp_eq_u64 s[14:15], 0
	s_cselect_b32 s1, s3, s1
	s_cselect_b32 s0, s2, s0
	s_load_dword s11, s[0:1], 0x0
	v_sub_u16_e32 v12, v0, v5
	v_mov_b32_e32 v6, 0
	v_mov_b32_e32 v5, 0
	s_waitcnt lgkmcnt(0)
	s_cmp_ge_i32 s7, s11
	s_cbranch_scc1 .LBB385_10
; %bb.6:
	v_mov_b32_e32 v5, 15
	s_load_dwordx4 s[0:3], s[4:5], 0x30
	s_load_dwordx2 s[14:15], s[4:5], 0x40
	v_mul_lo_u16_sdwa v5, v7, v5 dst_sel:DWORD dst_unused:UNUSED_PAD src0_sel:WORD_1 src1_sel:DWORD
	v_mul_lo_u16_sdwa v5, v5, v8 dst_sel:DWORD dst_unused:UNUSED_PAD src0_sel:BYTE_1 src1_sel:DWORD
	v_sub_u16_sdwa v5, v7, v5 dst_sel:DWORD dst_unused:UNUSED_PAD src0_sel:WORD_1 src1_sel:DWORD
	s_sub_i32 s5, s7, s10
	s_sub_i32 s4, s11, s10
	v_and_b32_e32 v5, 0xff, v5
	s_mul_i32 s11, s5, 0x510
	v_cndmask_b32_e32 v7, v12, v5, vcc
	s_mul_hi_i32 s7, s5, 0x510
	s_waitcnt lgkmcnt(0)
	s_add_u32 s2, s2, s11
	v_lshlrev_b32_e32 v5, 2, v0
	s_addc_u32 s3, s3, s7
	v_add_co_u32_e32 v8, vcc, s2, v5
	s_movk_i32 s2, 0x195
	v_mov_b32_e32 v6, 0
	v_mov_b32_e32 v9, s3
	v_mul_u32_u24_sdwa v5, v0, s2 dst_sel:DWORD dst_unused:UNUSED_PAD src0_sel:WORD_0 src1_sel:DWORD
	v_addc_co_u32_e32 v9, vcc, 0, v9, vcc
	v_lshrrev_b32_e32 v13, 17, v5
	v_mov_b32_e32 v5, v6
	s_branch .LBB385_8
.LBB385_7:                              ;   in Loop: Header=BB385_8 Depth=1
	s_or_b64 exec, exec, s[2:3]
	s_add_i32 s5, s5, 1
	s_cmp_lt_i32 s5, s4
	s_cbranch_scc0 .LBB385_10
.LBB385_8:                              ; =>This Inner Loop Header: Depth=1
	v_add_u32_e32 v10, s5, v13
	v_cmp_gt_i32_e32 vcc, s4, v10
	s_and_saveexec_b64 s[2:3], vcc
	s_cbranch_execz .LBB385_7
; %bb.9:                                ;   in Loop: Header=BB385_8 Depth=1
	v_ashrrev_i32_e32 v11, 31, v10
	v_lshlrev_b64 v[10:11], 2, v[10:11]
	v_mov_b32_e32 v14, s1
	v_add_co_u32_e32 v10, vcc, s0, v10
	v_addc_co_u32_e32 v11, vcc, v14, v11, vcc
	global_load_dword v10, v[10:11], off
	v_mov_b32_e32 v15, s15
	global_load_dword v14, v[8:9], off
	s_waitcnt vmcnt(1)
	v_subrev_u32_e32 v10, s10, v10
	v_mad_u64_u32 v[10:11], s[16:17], v10, 18, v[7:8]
	v_ashrrev_i32_e32 v11, 31, v10
	v_lshlrev_b64 v[10:11], 3, v[10:11]
	v_add_co_u32_e32 v10, vcc, s14, v10
	v_addc_co_u32_e32 v11, vcc, v15, v11, vcc
	global_load_dwordx2 v[10:11], v[10:11], off
	v_add_co_u32_e32 v8, vcc, 0x510, v8
	v_addc_co_u32_e32 v9, vcc, 0, v9, vcc
	s_waitcnt vmcnt(0)
	v_fmac_f32_e32 v5, v14, v10
	v_fmac_f32_e32 v6, 0, v10
	;; [unrolled: 1-line block ×4, first 2 shown]
	s_branch .LBB385_7
.LBB385_10:
	v_lshlrev_b32_e32 v7, 3, v0
	s_and_b64 vcc, exec, s[12:13]
	ds_write_b64 v7, v[5:6]
	s_waitcnt lgkmcnt(0)
	s_barrier
	s_cbranch_vccz .LBB385_22
; %bb.11:
	v_cmp_gt_u16_e32 vcc, 2, v12
	s_and_saveexec_b64 s[0:1], vcc
	s_cbranch_execz .LBB385_13
; %bb.12:
	ds_read2_b64 v[8:11], v7 offset1:16
	s_waitcnt lgkmcnt(0)
	v_add_f32_e32 v8, v10, v8
	v_add_f32_e32 v9, v11, v9
	ds_write_b64 v7, v[8:9]
.LBB385_13:
	s_or_b64 exec, exec, s[0:1]
	v_cmp_gt_u16_e64 s[0:1], 8, v12
	s_waitcnt lgkmcnt(0)
	s_barrier
	s_and_saveexec_b64 s[2:3], s[0:1]
	s_cbranch_execz .LBB385_15
; %bb.14:
	ds_read2_b64 v[8:11], v7 offset1:8
	s_waitcnt lgkmcnt(0)
	v_add_f32_e32 v8, v10, v8
	v_add_f32_e32 v9, v11, v9
	ds_write_b64 v7, v[8:9]
.LBB385_15:
	s_or_b64 exec, exec, s[2:3]
	v_cmp_gt_u16_e64 s[0:1], 4, v12
	s_waitcnt lgkmcnt(0)
	s_barrier
	s_and_saveexec_b64 s[2:3], s[0:1]
	s_cbranch_execz .LBB385_17
; %bb.16:
	ds_read2_b64 v[8:11], v7 offset1:4
	s_waitcnt lgkmcnt(0)
	v_add_f32_e32 v8, v10, v8
	v_add_f32_e32 v9, v11, v9
	ds_write_b64 v7, v[8:9]
.LBB385_17:
	s_or_b64 exec, exec, s[2:3]
	s_waitcnt lgkmcnt(0)
	s_barrier
	s_and_saveexec_b64 s[0:1], vcc
	s_cbranch_execz .LBB385_19
; %bb.18:
	ds_read2_b64 v[8:11], v7 offset1:2
	s_waitcnt lgkmcnt(0)
	v_add_f32_e32 v8, v10, v8
	v_add_f32_e32 v9, v11, v9
	ds_write_b64 v7, v[8:9]
.LBB385_19:
	s_or_b64 exec, exec, s[0:1]
	v_cmp_gt_u32_e32 vcc, 18, v0
	v_mov_b32_e32 v9, v6
	v_mov_b32_e32 v8, v5
	s_waitcnt lgkmcnt(0)
	s_barrier
	s_and_saveexec_b64 s[0:1], vcc
	s_cbranch_execz .LBB385_21
; %bb.20:
	s_movk_i32 s2, 0x88
	v_mad_u32_u24 v8, v0, s2, v7
	ds_read2_b64 v[8:11], v8 offset1:1
	s_waitcnt lgkmcnt(0)
	v_add_f32_e32 v8, v10, v8
	v_add_f32_e32 v9, v11, v9
.LBB385_21:
	s_or_b64 exec, exec, s[0:1]
	s_branch .LBB385_34
.LBB385_22:
                                        ; implicit-def: $vgpr9
                                        ; implicit-def: $vgpr8
	s_cbranch_execz .LBB385_34
; %bb.23:
	v_cmp_gt_u32_e32 vcc, 36, v0
	s_and_saveexec_b64 s[0:1], vcc
	s_cbranch_execz .LBB385_25
; %bb.24:
	ds_read_b64 v[8:9], v7 offset:2304
	ds_read_b64 v[10:11], v7
	s_waitcnt lgkmcnt(0)
	v_add_f32_e32 v8, v8, v10
	v_add_f32_e32 v9, v9, v11
	ds_write_b64 v7, v[8:9]
.LBB385_25:
	s_or_b64 exec, exec, s[0:1]
	s_movk_i32 s0, 0x90
	v_cmp_gt_u32_e64 s[0:1], s0, v0
	s_waitcnt lgkmcnt(0)
	s_barrier
	s_and_saveexec_b64 s[2:3], s[0:1]
	s_cbranch_execz .LBB385_27
; %bb.26:
	ds_read2_b64 v[8:11], v7 offset1:144
	s_waitcnt lgkmcnt(0)
	v_add_f32_e32 v8, v10, v8
	v_add_f32_e32 v9, v11, v9
	ds_write_b64 v7, v[8:9]
.LBB385_27:
	s_or_b64 exec, exec, s[2:3]
	s_movk_i32 s0, 0x48
	v_cmp_gt_u32_e64 s[0:1], s0, v0
	s_waitcnt lgkmcnt(0)
	s_barrier
	s_and_saveexec_b64 s[2:3], s[0:1]
	s_cbranch_execz .LBB385_29
; %bb.28:
	ds_read2_b64 v[8:11], v7 offset1:72
	s_waitcnt lgkmcnt(0)
	v_add_f32_e32 v8, v10, v8
	v_add_f32_e32 v9, v11, v9
	ds_write_b64 v7, v[8:9]
.LBB385_29:
	s_or_b64 exec, exec, s[2:3]
	s_waitcnt lgkmcnt(0)
	s_barrier
	s_and_saveexec_b64 s[0:1], vcc
	s_cbranch_execz .LBB385_31
; %bb.30:
	ds_read2_b64 v[8:11], v7 offset1:36
	s_waitcnt lgkmcnt(0)
	v_add_f32_e32 v8, v10, v8
	v_add_f32_e32 v9, v11, v9
	ds_write_b64 v7, v[8:9]
.LBB385_31:
	s_or_b64 exec, exec, s[0:1]
	v_cmp_gt_u32_e32 vcc, 18, v0
	s_waitcnt lgkmcnt(0)
	s_and_saveexec_b64 s[0:1], vcc
	s_cbranch_execz .LBB385_33
; %bb.32:
	ds_read2_b64 v[5:8], v7 offset1:18
	s_waitcnt lgkmcnt(0)
	v_add_f32_e32 v5, v7, v5
	v_add_f32_e32 v6, v8, v6
.LBB385_33:
	s_or_b64 exec, exec, s[0:1]
	v_mov_b32_e32 v9, v6
	v_mov_b32_e32 v8, v5
.LBB385_34:
	v_cmp_gt_u32_e32 vcc, 18, v0
	s_and_b64 exec, exec, vcc
	s_cbranch_execz .LBB385_39
; %bb.35:
	v_cmp_eq_f32_e32 vcc, 0, v1
	v_cmp_eq_f32_e64 s[0:1], 0, v2
	v_mul_f32_e64 v5, v9, -v4
	v_mul_f32_e32 v6, v3, v9
	s_and_b64 s[0:1], vcc, s[0:1]
	v_fmac_f32_e32 v5, v3, v8
	v_fmac_f32_e32 v6, v4, v8
	s_and_saveexec_b64 s[2:3], s[0:1]
	s_xor_b64 s[0:1], exec, s[2:3]
	s_cbranch_execz .LBB385_37
; %bb.36:
	v_mad_u64_u32 v[0:1], s[2:3], s6, 18, v[0:1]
	v_mov_b32_e32 v1, 0
	v_mov_b32_e32 v2, s9
	v_lshlrev_b64 v[0:1], 3, v[0:1]
	v_add_co_u32_e32 v0, vcc, s8, v0
	v_addc_co_u32_e32 v1, vcc, v2, v1, vcc
	global_store_dwordx2 v[0:1], v[5:6], off
                                        ; implicit-def: $vgpr0
                                        ; implicit-def: $vgpr1_vgpr2
                                        ; implicit-def: $vgpr5
.LBB385_37:
	s_andn2_saveexec_b64 s[0:1], s[0:1]
	s_cbranch_execz .LBB385_39
; %bb.38:
	v_mad_u64_u32 v[3:4], s[0:1], s6, 18, v[0:1]
	v_mov_b32_e32 v4, 0
	v_mov_b32_e32 v0, s9
	v_lshlrev_b64 v[3:4], 3, v[3:4]
	v_add_co_u32_e32 v3, vcc, s8, v3
	v_addc_co_u32_e32 v4, vcc, v0, v4, vcc
	global_load_dwordx2 v[7:8], v[3:4], off
	s_waitcnt vmcnt(0)
	v_fmac_f32_e32 v5, v1, v7
	v_fmac_f32_e32 v6, v2, v7
	v_fma_f32 v5, -v2, v8, v5
	v_fmac_f32_e32 v6, v1, v8
	global_store_dwordx2 v[3:4], v[5:6], off
.LBB385_39:
	s_endpgm
	.section	.rodata,"a",@progbits
	.p2align	6, 0x0
	.amdhsa_kernel _ZN9rocsparseL20bsrxmvn_17_32_kernelILj18E21rocsparse_complex_numIfEiifS2_S2_EEvT2_20rocsparse_direction_NS_24const_host_device_scalarIT0_EES3_PKS3_PKT1_SC_S9_PKT3_PKT4_S7_PT5_21rocsparse_index_base_b
		.amdhsa_group_segment_fixed_size 2592
		.amdhsa_private_segment_fixed_size 0
		.amdhsa_kernarg_size 96
		.amdhsa_user_sgpr_count 6
		.amdhsa_user_sgpr_private_segment_buffer 1
		.amdhsa_user_sgpr_dispatch_ptr 0
		.amdhsa_user_sgpr_queue_ptr 0
		.amdhsa_user_sgpr_kernarg_segment_ptr 1
		.amdhsa_user_sgpr_dispatch_id 0
		.amdhsa_user_sgpr_flat_scratch_init 0
		.amdhsa_user_sgpr_private_segment_size 0
		.amdhsa_uses_dynamic_stack 0
		.amdhsa_system_sgpr_private_segment_wavefront_offset 0
		.amdhsa_system_sgpr_workgroup_id_x 1
		.amdhsa_system_sgpr_workgroup_id_y 0
		.amdhsa_system_sgpr_workgroup_id_z 0
		.amdhsa_system_sgpr_workgroup_info 0
		.amdhsa_system_vgpr_workitem_id 0
		.amdhsa_next_free_vgpr 25
		.amdhsa_next_free_sgpr 61
		.amdhsa_reserve_vcc 1
		.amdhsa_reserve_flat_scratch 0
		.amdhsa_float_round_mode_32 0
		.amdhsa_float_round_mode_16_64 0
		.amdhsa_float_denorm_mode_32 3
		.amdhsa_float_denorm_mode_16_64 3
		.amdhsa_dx10_clamp 1
		.amdhsa_ieee_mode 1
		.amdhsa_fp16_overflow 0
		.amdhsa_exception_fp_ieee_invalid_op 0
		.amdhsa_exception_fp_denorm_src 0
		.amdhsa_exception_fp_ieee_div_zero 0
		.amdhsa_exception_fp_ieee_overflow 0
		.amdhsa_exception_fp_ieee_underflow 0
		.amdhsa_exception_fp_ieee_inexact 0
		.amdhsa_exception_int_div_zero 0
	.end_amdhsa_kernel
	.section	.text._ZN9rocsparseL20bsrxmvn_17_32_kernelILj18E21rocsparse_complex_numIfEiifS2_S2_EEvT2_20rocsparse_direction_NS_24const_host_device_scalarIT0_EES3_PKS3_PKT1_SC_S9_PKT3_PKT4_S7_PT5_21rocsparse_index_base_b,"axG",@progbits,_ZN9rocsparseL20bsrxmvn_17_32_kernelILj18E21rocsparse_complex_numIfEiifS2_S2_EEvT2_20rocsparse_direction_NS_24const_host_device_scalarIT0_EES3_PKS3_PKT1_SC_S9_PKT3_PKT4_S7_PT5_21rocsparse_index_base_b,comdat
.Lfunc_end385:
	.size	_ZN9rocsparseL20bsrxmvn_17_32_kernelILj18E21rocsparse_complex_numIfEiifS2_S2_EEvT2_20rocsparse_direction_NS_24const_host_device_scalarIT0_EES3_PKS3_PKT1_SC_S9_PKT3_PKT4_S7_PT5_21rocsparse_index_base_b, .Lfunc_end385-_ZN9rocsparseL20bsrxmvn_17_32_kernelILj18E21rocsparse_complex_numIfEiifS2_S2_EEvT2_20rocsparse_direction_NS_24const_host_device_scalarIT0_EES3_PKS3_PKT1_SC_S9_PKT3_PKT4_S7_PT5_21rocsparse_index_base_b
                                        ; -- End function
	.set _ZN9rocsparseL20bsrxmvn_17_32_kernelILj18E21rocsparse_complex_numIfEiifS2_S2_EEvT2_20rocsparse_direction_NS_24const_host_device_scalarIT0_EES3_PKS3_PKT1_SC_S9_PKT3_PKT4_S7_PT5_21rocsparse_index_base_b.num_vgpr, 16
	.set _ZN9rocsparseL20bsrxmvn_17_32_kernelILj18E21rocsparse_complex_numIfEiifS2_S2_EEvT2_20rocsparse_direction_NS_24const_host_device_scalarIT0_EES3_PKS3_PKT1_SC_S9_PKT3_PKT4_S7_PT5_21rocsparse_index_base_b.num_agpr, 0
	.set _ZN9rocsparseL20bsrxmvn_17_32_kernelILj18E21rocsparse_complex_numIfEiifS2_S2_EEvT2_20rocsparse_direction_NS_24const_host_device_scalarIT0_EES3_PKS3_PKT1_SC_S9_PKT3_PKT4_S7_PT5_21rocsparse_index_base_b.numbered_sgpr, 18
	.set _ZN9rocsparseL20bsrxmvn_17_32_kernelILj18E21rocsparse_complex_numIfEiifS2_S2_EEvT2_20rocsparse_direction_NS_24const_host_device_scalarIT0_EES3_PKS3_PKT1_SC_S9_PKT3_PKT4_S7_PT5_21rocsparse_index_base_b.num_named_barrier, 0
	.set _ZN9rocsparseL20bsrxmvn_17_32_kernelILj18E21rocsparse_complex_numIfEiifS2_S2_EEvT2_20rocsparse_direction_NS_24const_host_device_scalarIT0_EES3_PKS3_PKT1_SC_S9_PKT3_PKT4_S7_PT5_21rocsparse_index_base_b.private_seg_size, 0
	.set _ZN9rocsparseL20bsrxmvn_17_32_kernelILj18E21rocsparse_complex_numIfEiifS2_S2_EEvT2_20rocsparse_direction_NS_24const_host_device_scalarIT0_EES3_PKS3_PKT1_SC_S9_PKT3_PKT4_S7_PT5_21rocsparse_index_base_b.uses_vcc, 1
	.set _ZN9rocsparseL20bsrxmvn_17_32_kernelILj18E21rocsparse_complex_numIfEiifS2_S2_EEvT2_20rocsparse_direction_NS_24const_host_device_scalarIT0_EES3_PKS3_PKT1_SC_S9_PKT3_PKT4_S7_PT5_21rocsparse_index_base_b.uses_flat_scratch, 0
	.set _ZN9rocsparseL20bsrxmvn_17_32_kernelILj18E21rocsparse_complex_numIfEiifS2_S2_EEvT2_20rocsparse_direction_NS_24const_host_device_scalarIT0_EES3_PKS3_PKT1_SC_S9_PKT3_PKT4_S7_PT5_21rocsparse_index_base_b.has_dyn_sized_stack, 0
	.set _ZN9rocsparseL20bsrxmvn_17_32_kernelILj18E21rocsparse_complex_numIfEiifS2_S2_EEvT2_20rocsparse_direction_NS_24const_host_device_scalarIT0_EES3_PKS3_PKT1_SC_S9_PKT3_PKT4_S7_PT5_21rocsparse_index_base_b.has_recursion, 0
	.set _ZN9rocsparseL20bsrxmvn_17_32_kernelILj18E21rocsparse_complex_numIfEiifS2_S2_EEvT2_20rocsparse_direction_NS_24const_host_device_scalarIT0_EES3_PKS3_PKT1_SC_S9_PKT3_PKT4_S7_PT5_21rocsparse_index_base_b.has_indirect_call, 0
	.section	.AMDGPU.csdata,"",@progbits
; Kernel info:
; codeLenInByte = 1412
; TotalNumSgprs: 22
; NumVgprs: 16
; ScratchSize: 0
; MemoryBound: 0
; FloatMode: 240
; IeeeMode: 1
; LDSByteSize: 2592 bytes/workgroup (compile time only)
; SGPRBlocks: 8
; VGPRBlocks: 6
; NumSGPRsForWavesPerEU: 65
; NumVGPRsForWavesPerEU: 25
; Occupancy: 9
; WaveLimiterHint : 1
; COMPUTE_PGM_RSRC2:SCRATCH_EN: 0
; COMPUTE_PGM_RSRC2:USER_SGPR: 6
; COMPUTE_PGM_RSRC2:TRAP_HANDLER: 0
; COMPUTE_PGM_RSRC2:TGID_X_EN: 1
; COMPUTE_PGM_RSRC2:TGID_Y_EN: 0
; COMPUTE_PGM_RSRC2:TGID_Z_EN: 0
; COMPUTE_PGM_RSRC2:TIDIG_COMP_CNT: 0
	.section	.text._ZN9rocsparseL20bsrxmvn_17_32_kernelILj19E21rocsparse_complex_numIfEiifS2_S2_EEvT2_20rocsparse_direction_NS_24const_host_device_scalarIT0_EES3_PKS3_PKT1_SC_S9_PKT3_PKT4_S7_PT5_21rocsparse_index_base_b,"axG",@progbits,_ZN9rocsparseL20bsrxmvn_17_32_kernelILj19E21rocsparse_complex_numIfEiifS2_S2_EEvT2_20rocsparse_direction_NS_24const_host_device_scalarIT0_EES3_PKS3_PKT1_SC_S9_PKT3_PKT4_S7_PT5_21rocsparse_index_base_b,comdat
	.globl	_ZN9rocsparseL20bsrxmvn_17_32_kernelILj19E21rocsparse_complex_numIfEiifS2_S2_EEvT2_20rocsparse_direction_NS_24const_host_device_scalarIT0_EES3_PKS3_PKT1_SC_S9_PKT3_PKT4_S7_PT5_21rocsparse_index_base_b ; -- Begin function _ZN9rocsparseL20bsrxmvn_17_32_kernelILj19E21rocsparse_complex_numIfEiifS2_S2_EEvT2_20rocsparse_direction_NS_24const_host_device_scalarIT0_EES3_PKS3_PKT1_SC_S9_PKT3_PKT4_S7_PT5_21rocsparse_index_base_b
	.p2align	8
	.type	_ZN9rocsparseL20bsrxmvn_17_32_kernelILj19E21rocsparse_complex_numIfEiifS2_S2_EEvT2_20rocsparse_direction_NS_24const_host_device_scalarIT0_EES3_PKS3_PKT1_SC_S9_PKT3_PKT4_S7_PT5_21rocsparse_index_base_b,@function
_ZN9rocsparseL20bsrxmvn_17_32_kernelILj19E21rocsparse_complex_numIfEiifS2_S2_EEvT2_20rocsparse_direction_NS_24const_host_device_scalarIT0_EES3_PKS3_PKT1_SC_S9_PKT3_PKT4_S7_PT5_21rocsparse_index_base_b: ; @_ZN9rocsparseL20bsrxmvn_17_32_kernelILj19E21rocsparse_complex_numIfEiifS2_S2_EEvT2_20rocsparse_direction_NS_24const_host_device_scalarIT0_EES3_PKS3_PKT1_SC_S9_PKT3_PKT4_S7_PT5_21rocsparse_index_base_b
; %bb.0:
	s_load_dwordx2 s[0:1], s[4:5], 0x8
	s_load_dwordx2 s[10:11], s[4:5], 0x58
	s_add_u32 s7, s4, 8
	s_addc_u32 s8, s5, 0
	s_add_u32 s9, s4, 0x48
	s_load_dwordx2 s[2:3], s[4:5], 0x48
	s_addc_u32 s12, s5, 0
	s_waitcnt lgkmcnt(0)
	s_bitcmp1_b32 s11, 0
	s_cselect_b32 s1, s8, s1
	s_cselect_b32 s0, s7, s0
	v_mov_b32_e32 v1, s0
	v_mov_b32_e32 v2, s1
	flat_load_dwordx2 v[3:4], v[1:2]
	s_cselect_b32 s0, s12, s3
	s_cselect_b32 s1, s9, s2
	v_mov_b32_e32 v1, s1
	v_mov_b32_e32 v2, s0
	flat_load_dwordx2 v[1:2], v[1:2]
	s_waitcnt vmcnt(0) lgkmcnt(0)
	v_cmp_eq_f32_e32 vcc, 0, v3
	v_cmp_eq_f32_e64 s[0:1], 0, v4
	s_and_b64 s[8:9], vcc, s[0:1]
	s_mov_b64 s[0:1], -1
	s_and_saveexec_b64 s[2:3], s[8:9]
; %bb.1:
	v_cmp_neq_f32_e32 vcc, 1.0, v1
	v_cmp_neq_f32_e64 s[0:1], 0, v2
	s_or_b64 s[0:1], vcc, s[0:1]
	s_orn2_b64 s[0:1], s[0:1], exec
; %bb.2:
	s_or_b64 exec, exec, s[2:3]
	s_and_saveexec_b64 s[2:3], s[0:1]
	s_cbranch_execz .LBB386_39
; %bb.3:
	s_load_dwordx4 s[0:3], s[4:5], 0x18
	s_load_dwordx2 s[14:15], s[4:5], 0x28
	s_waitcnt lgkmcnt(0)
	s_cmp_eq_u64 s[0:1], 0
	s_cbranch_scc1 .LBB386_5
; %bb.4:
	s_ashr_i32 s7, s6, 31
	s_lshl_b64 s[6:7], s[6:7], 2
	s_add_u32 s0, s0, s6
	s_addc_u32 s1, s1, s7
	s_load_dword s0, s[0:1], 0x0
	s_waitcnt lgkmcnt(0)
	s_sub_i32 s6, s0, s10
.LBB386_5:
	s_load_dword s0, s[4:5], 0x4
	s_load_dwordx2 s[8:9], s[4:5], 0x50
	v_mul_u32_u24_e32 v7, 0xd7a, v0
	v_mov_b32_e32 v8, 19
	v_mul_lo_u16_sdwa v5, v7, v8 dst_sel:DWORD dst_unused:UNUSED_PAD src0_sel:WORD_1 src1_sel:DWORD
	s_waitcnt lgkmcnt(0)
	s_cmp_eq_u32 s0, 1
	s_cselect_b64 vcc, -1, 0
	s_cmp_lg_u32 s0, 1
	s_cselect_b64 s[12:13], -1, 0
	s_ashr_i32 s7, s6, 31
	s_lshl_b64 s[0:1], s[6:7], 2
	s_add_u32 s2, s2, s0
	s_addc_u32 s3, s3, s1
	s_load_dword s7, s[2:3], 0x0
	s_add_u32 s2, s2, 4
	s_addc_u32 s3, s3, 0
	s_add_u32 s0, s14, s0
	s_addc_u32 s1, s15, s1
	s_cmp_eq_u64 s[14:15], 0
	s_cselect_b32 s1, s3, s1
	s_cselect_b32 s0, s2, s0
	s_load_dword s11, s[0:1], 0x0
	v_sub_u16_e32 v12, v0, v5
	v_mov_b32_e32 v6, 0
	v_mov_b32_e32 v5, 0
	s_waitcnt lgkmcnt(0)
	s_cmp_ge_i32 s7, s11
	s_cbranch_scc1 .LBB386_10
; %bb.6:
	s_load_dwordx4 s[0:3], s[4:5], 0x30
	s_load_dwordx2 s[14:15], s[4:5], 0x40
	v_mov_b32_e32 v5, 14
	v_mul_lo_u16_sdwa v5, v7, v5 dst_sel:DWORD dst_unused:UNUSED_PAD src0_sel:WORD_1 src1_sel:DWORD
	v_mul_lo_u16_sdwa v5, v5, v8 dst_sel:DWORD dst_unused:UNUSED_PAD src0_sel:BYTE_1 src1_sel:DWORD
	s_sub_i32 s5, s7, s10
	s_sub_i32 s4, s11, s10
	v_sub_u16_sdwa v5, v7, v5 dst_sel:DWORD dst_unused:UNUSED_PAD src0_sel:WORD_1 src1_sel:DWORD
	s_mul_i32 s11, s5, 0x5a4
	v_and_b32_e32 v5, 0xff, v5
	s_mul_hi_i32 s7, s5, 0x5a4
	s_waitcnt lgkmcnt(0)
	s_add_u32 s2, s2, s11
	v_cndmask_b32_e32 v7, v12, v5, vcc
	s_addc_u32 s3, s3, s7
	v_lshlrev_b32_e32 v5, 2, v0
	v_mov_b32_e32 v6, 0
	v_mov_b32_e32 v9, s3
	v_add_co_u32_e32 v8, vcc, s2, v5
	s_movk_i32 s2, 0xb6
	v_addc_co_u32_e32 v9, vcc, 0, v9, vcc
	v_mul_u32_u24_sdwa v13, v0, s2 dst_sel:DWORD dst_unused:UNUSED_PAD src0_sel:WORD_0 src1_sel:DWORD
	v_mov_b32_e32 v5, v6
	s_branch .LBB386_8
.LBB386_7:                              ;   in Loop: Header=BB386_8 Depth=1
	s_or_b64 exec, exec, s[2:3]
	s_add_i32 s5, s5, 1
	s_cmp_lt_i32 s5, s4
	s_cbranch_scc0 .LBB386_10
.LBB386_8:                              ; =>This Inner Loop Header: Depth=1
	v_add_u32_sdwa v10, v13, s5 dst_sel:DWORD dst_unused:UNUSED_PAD src0_sel:WORD_1 src1_sel:DWORD
	v_cmp_gt_i32_e32 vcc, s4, v10
	s_and_saveexec_b64 s[2:3], vcc
	s_cbranch_execz .LBB386_7
; %bb.9:                                ;   in Loop: Header=BB386_8 Depth=1
	v_ashrrev_i32_e32 v11, 31, v10
	v_lshlrev_b64 v[10:11], 2, v[10:11]
	v_mov_b32_e32 v14, s1
	v_add_co_u32_e32 v10, vcc, s0, v10
	v_addc_co_u32_e32 v11, vcc, v14, v11, vcc
	global_load_dword v10, v[10:11], off
	v_mov_b32_e32 v15, s15
	global_load_dword v14, v[8:9], off
	s_waitcnt vmcnt(1)
	v_subrev_u32_e32 v10, s10, v10
	v_mad_u64_u32 v[10:11], s[16:17], v10, 19, v[7:8]
	v_ashrrev_i32_e32 v11, 31, v10
	v_lshlrev_b64 v[10:11], 3, v[10:11]
	v_add_co_u32_e32 v10, vcc, s14, v10
	v_addc_co_u32_e32 v11, vcc, v15, v11, vcc
	global_load_dwordx2 v[10:11], v[10:11], off
	v_add_co_u32_e32 v8, vcc, 0x5a4, v8
	v_addc_co_u32_e32 v9, vcc, 0, v9, vcc
	s_waitcnt vmcnt(0)
	v_fmac_f32_e32 v5, v14, v10
	v_fmac_f32_e32 v6, 0, v10
	;; [unrolled: 1-line block ×4, first 2 shown]
	s_branch .LBB386_7
.LBB386_10:
	v_lshlrev_b32_e32 v7, 3, v0
	s_and_b64 vcc, exec, s[12:13]
	ds_write_b64 v7, v[5:6]
	s_waitcnt lgkmcnt(0)
	s_barrier
	s_cbranch_vccz .LBB386_22
; %bb.11:
	v_cmp_gt_u16_e32 vcc, 3, v12
	s_and_saveexec_b64 s[0:1], vcc
	s_cbranch_execz .LBB386_13
; %bb.12:
	ds_read2_b64 v[8:11], v7 offset1:16
	s_waitcnt lgkmcnt(0)
	v_add_f32_e32 v8, v10, v8
	v_add_f32_e32 v9, v11, v9
	ds_write_b64 v7, v[8:9]
.LBB386_13:
	s_or_b64 exec, exec, s[0:1]
	v_cmp_gt_u16_e32 vcc, 8, v12
	s_waitcnt lgkmcnt(0)
	s_barrier
	s_and_saveexec_b64 s[0:1], vcc
	s_cbranch_execz .LBB386_15
; %bb.14:
	ds_read2_b64 v[8:11], v7 offset1:8
	s_waitcnt lgkmcnt(0)
	v_add_f32_e32 v8, v10, v8
	v_add_f32_e32 v9, v11, v9
	ds_write_b64 v7, v[8:9]
.LBB386_15:
	s_or_b64 exec, exec, s[0:1]
	v_cmp_gt_u16_e32 vcc, 4, v12
	s_waitcnt lgkmcnt(0)
	s_barrier
	;; [unrolled: 13-line block ×3, first 2 shown]
	s_and_saveexec_b64 s[0:1], vcc
	s_cbranch_execz .LBB386_19
; %bb.18:
	ds_read2_b64 v[8:11], v7 offset1:2
	s_waitcnt lgkmcnt(0)
	v_add_f32_e32 v8, v10, v8
	v_add_f32_e32 v9, v11, v9
	ds_write_b64 v7, v[8:9]
.LBB386_19:
	s_or_b64 exec, exec, s[0:1]
	v_cmp_gt_u32_e32 vcc, 19, v0
	v_mov_b32_e32 v9, v6
	v_mov_b32_e32 v8, v5
	s_waitcnt lgkmcnt(0)
	s_barrier
	s_and_saveexec_b64 s[0:1], vcc
	s_cbranch_execz .LBB386_21
; %bb.20:
	s_movk_i32 s2, 0x90
	v_mad_u32_u24 v8, v0, s2, v7
	ds_read2_b64 v[8:11], v8 offset1:1
	s_waitcnt lgkmcnt(0)
	v_add_f32_e32 v8, v10, v8
	v_add_f32_e32 v9, v11, v9
.LBB386_21:
	s_or_b64 exec, exec, s[0:1]
	s_branch .LBB386_34
.LBB386_22:
                                        ; implicit-def: $vgpr9
                                        ; implicit-def: $vgpr8
	s_cbranch_execz .LBB386_34
; %bb.23:
	v_cmp_gt_u32_e32 vcc, 57, v0
	s_and_saveexec_b64 s[0:1], vcc
	s_cbranch_execz .LBB386_25
; %bb.24:
	ds_read_b64 v[8:9], v7 offset:2432
	ds_read_b64 v[10:11], v7
	s_waitcnt lgkmcnt(0)
	v_add_f32_e32 v8, v8, v10
	v_add_f32_e32 v9, v9, v11
	ds_write_b64 v7, v[8:9]
.LBB386_25:
	s_or_b64 exec, exec, s[0:1]
	s_movk_i32 s0, 0x98
	v_cmp_gt_u32_e32 vcc, s0, v0
	s_waitcnt lgkmcnt(0)
	s_barrier
	s_and_saveexec_b64 s[0:1], vcc
	s_cbranch_execz .LBB386_27
; %bb.26:
	ds_read2_b64 v[8:11], v7 offset1:152
	s_waitcnt lgkmcnt(0)
	v_add_f32_e32 v8, v10, v8
	v_add_f32_e32 v9, v11, v9
	ds_write_b64 v7, v[8:9]
.LBB386_27:
	s_or_b64 exec, exec, s[0:1]
	s_movk_i32 s0, 0x4c
	v_cmp_gt_u32_e32 vcc, s0, v0
	s_waitcnt lgkmcnt(0)
	s_barrier
	s_and_saveexec_b64 s[0:1], vcc
	s_cbranch_execz .LBB386_29
; %bb.28:
	ds_read2_b64 v[8:11], v7 offset1:76
	s_waitcnt lgkmcnt(0)
	v_add_f32_e32 v8, v10, v8
	v_add_f32_e32 v9, v11, v9
	ds_write_b64 v7, v[8:9]
.LBB386_29:
	s_or_b64 exec, exec, s[0:1]
	v_cmp_gt_u32_e32 vcc, 38, v0
	s_waitcnt lgkmcnt(0)
	s_barrier
	s_and_saveexec_b64 s[0:1], vcc
	s_cbranch_execz .LBB386_31
; %bb.30:
	ds_read2_b64 v[8:11], v7 offset1:38
	s_waitcnt lgkmcnt(0)
	v_add_f32_e32 v8, v10, v8
	v_add_f32_e32 v9, v11, v9
	ds_write_b64 v7, v[8:9]
.LBB386_31:
	s_or_b64 exec, exec, s[0:1]
	v_cmp_gt_u32_e32 vcc, 19, v0
	s_waitcnt lgkmcnt(0)
	s_and_saveexec_b64 s[0:1], vcc
	s_cbranch_execz .LBB386_33
; %bb.32:
	ds_read2_b64 v[5:8], v7 offset1:19
	s_waitcnt lgkmcnt(0)
	v_add_f32_e32 v5, v7, v5
	v_add_f32_e32 v6, v8, v6
.LBB386_33:
	s_or_b64 exec, exec, s[0:1]
	v_mov_b32_e32 v9, v6
	v_mov_b32_e32 v8, v5
.LBB386_34:
	v_cmp_gt_u32_e32 vcc, 19, v0
	s_and_b64 exec, exec, vcc
	s_cbranch_execz .LBB386_39
; %bb.35:
	v_cmp_eq_f32_e32 vcc, 0, v1
	v_cmp_eq_f32_e64 s[0:1], 0, v2
	v_mul_f32_e64 v5, v9, -v4
	v_mul_f32_e32 v6, v3, v9
	s_and_b64 s[0:1], vcc, s[0:1]
	v_fmac_f32_e32 v5, v3, v8
	v_fmac_f32_e32 v6, v4, v8
	s_and_saveexec_b64 s[2:3], s[0:1]
	s_xor_b64 s[0:1], exec, s[2:3]
	s_cbranch_execz .LBB386_37
; %bb.36:
	v_mad_u64_u32 v[0:1], s[2:3], s6, 19, v[0:1]
	v_mov_b32_e32 v1, 0
	v_mov_b32_e32 v2, s9
	v_lshlrev_b64 v[0:1], 3, v[0:1]
	v_add_co_u32_e32 v0, vcc, s8, v0
	v_addc_co_u32_e32 v1, vcc, v2, v1, vcc
	global_store_dwordx2 v[0:1], v[5:6], off
                                        ; implicit-def: $vgpr0
                                        ; implicit-def: $vgpr1_vgpr2
                                        ; implicit-def: $vgpr5
.LBB386_37:
	s_andn2_saveexec_b64 s[0:1], s[0:1]
	s_cbranch_execz .LBB386_39
; %bb.38:
	v_mad_u64_u32 v[3:4], s[0:1], s6, 19, v[0:1]
	v_mov_b32_e32 v4, 0
	v_mov_b32_e32 v0, s9
	v_lshlrev_b64 v[3:4], 3, v[3:4]
	v_add_co_u32_e32 v3, vcc, s8, v3
	v_addc_co_u32_e32 v4, vcc, v0, v4, vcc
	global_load_dwordx2 v[7:8], v[3:4], off
	s_waitcnt vmcnt(0)
	v_fmac_f32_e32 v5, v1, v7
	v_fmac_f32_e32 v6, v2, v7
	v_fma_f32 v5, -v2, v8, v5
	v_fmac_f32_e32 v6, v1, v8
	global_store_dwordx2 v[3:4], v[5:6], off
.LBB386_39:
	s_endpgm
	.section	.rodata,"a",@progbits
	.p2align	6, 0x0
	.amdhsa_kernel _ZN9rocsparseL20bsrxmvn_17_32_kernelILj19E21rocsparse_complex_numIfEiifS2_S2_EEvT2_20rocsparse_direction_NS_24const_host_device_scalarIT0_EES3_PKS3_PKT1_SC_S9_PKT3_PKT4_S7_PT5_21rocsparse_index_base_b
		.amdhsa_group_segment_fixed_size 2888
		.amdhsa_private_segment_fixed_size 0
		.amdhsa_kernarg_size 96
		.amdhsa_user_sgpr_count 6
		.amdhsa_user_sgpr_private_segment_buffer 1
		.amdhsa_user_sgpr_dispatch_ptr 0
		.amdhsa_user_sgpr_queue_ptr 0
		.amdhsa_user_sgpr_kernarg_segment_ptr 1
		.amdhsa_user_sgpr_dispatch_id 0
		.amdhsa_user_sgpr_flat_scratch_init 0
		.amdhsa_user_sgpr_private_segment_size 0
		.amdhsa_uses_dynamic_stack 0
		.amdhsa_system_sgpr_private_segment_wavefront_offset 0
		.amdhsa_system_sgpr_workgroup_id_x 1
		.amdhsa_system_sgpr_workgroup_id_y 0
		.amdhsa_system_sgpr_workgroup_id_z 0
		.amdhsa_system_sgpr_workgroup_info 0
		.amdhsa_system_vgpr_workitem_id 0
		.amdhsa_next_free_vgpr 25
		.amdhsa_next_free_sgpr 61
		.amdhsa_reserve_vcc 1
		.amdhsa_reserve_flat_scratch 0
		.amdhsa_float_round_mode_32 0
		.amdhsa_float_round_mode_16_64 0
		.amdhsa_float_denorm_mode_32 3
		.amdhsa_float_denorm_mode_16_64 3
		.amdhsa_dx10_clamp 1
		.amdhsa_ieee_mode 1
		.amdhsa_fp16_overflow 0
		.amdhsa_exception_fp_ieee_invalid_op 0
		.amdhsa_exception_fp_denorm_src 0
		.amdhsa_exception_fp_ieee_div_zero 0
		.amdhsa_exception_fp_ieee_overflow 0
		.amdhsa_exception_fp_ieee_underflow 0
		.amdhsa_exception_fp_ieee_inexact 0
		.amdhsa_exception_int_div_zero 0
	.end_amdhsa_kernel
	.section	.text._ZN9rocsparseL20bsrxmvn_17_32_kernelILj19E21rocsparse_complex_numIfEiifS2_S2_EEvT2_20rocsparse_direction_NS_24const_host_device_scalarIT0_EES3_PKS3_PKT1_SC_S9_PKT3_PKT4_S7_PT5_21rocsparse_index_base_b,"axG",@progbits,_ZN9rocsparseL20bsrxmvn_17_32_kernelILj19E21rocsparse_complex_numIfEiifS2_S2_EEvT2_20rocsparse_direction_NS_24const_host_device_scalarIT0_EES3_PKS3_PKT1_SC_S9_PKT3_PKT4_S7_PT5_21rocsparse_index_base_b,comdat
.Lfunc_end386:
	.size	_ZN9rocsparseL20bsrxmvn_17_32_kernelILj19E21rocsparse_complex_numIfEiifS2_S2_EEvT2_20rocsparse_direction_NS_24const_host_device_scalarIT0_EES3_PKS3_PKT1_SC_S9_PKT3_PKT4_S7_PT5_21rocsparse_index_base_b, .Lfunc_end386-_ZN9rocsparseL20bsrxmvn_17_32_kernelILj19E21rocsparse_complex_numIfEiifS2_S2_EEvT2_20rocsparse_direction_NS_24const_host_device_scalarIT0_EES3_PKS3_PKT1_SC_S9_PKT3_PKT4_S7_PT5_21rocsparse_index_base_b
                                        ; -- End function
	.set _ZN9rocsparseL20bsrxmvn_17_32_kernelILj19E21rocsparse_complex_numIfEiifS2_S2_EEvT2_20rocsparse_direction_NS_24const_host_device_scalarIT0_EES3_PKS3_PKT1_SC_S9_PKT3_PKT4_S7_PT5_21rocsparse_index_base_b.num_vgpr, 16
	.set _ZN9rocsparseL20bsrxmvn_17_32_kernelILj19E21rocsparse_complex_numIfEiifS2_S2_EEvT2_20rocsparse_direction_NS_24const_host_device_scalarIT0_EES3_PKS3_PKT1_SC_S9_PKT3_PKT4_S7_PT5_21rocsparse_index_base_b.num_agpr, 0
	.set _ZN9rocsparseL20bsrxmvn_17_32_kernelILj19E21rocsparse_complex_numIfEiifS2_S2_EEvT2_20rocsparse_direction_NS_24const_host_device_scalarIT0_EES3_PKS3_PKT1_SC_S9_PKT3_PKT4_S7_PT5_21rocsparse_index_base_b.numbered_sgpr, 18
	.set _ZN9rocsparseL20bsrxmvn_17_32_kernelILj19E21rocsparse_complex_numIfEiifS2_S2_EEvT2_20rocsparse_direction_NS_24const_host_device_scalarIT0_EES3_PKS3_PKT1_SC_S9_PKT3_PKT4_S7_PT5_21rocsparse_index_base_b.num_named_barrier, 0
	.set _ZN9rocsparseL20bsrxmvn_17_32_kernelILj19E21rocsparse_complex_numIfEiifS2_S2_EEvT2_20rocsparse_direction_NS_24const_host_device_scalarIT0_EES3_PKS3_PKT1_SC_S9_PKT3_PKT4_S7_PT5_21rocsparse_index_base_b.private_seg_size, 0
	.set _ZN9rocsparseL20bsrxmvn_17_32_kernelILj19E21rocsparse_complex_numIfEiifS2_S2_EEvT2_20rocsparse_direction_NS_24const_host_device_scalarIT0_EES3_PKS3_PKT1_SC_S9_PKT3_PKT4_S7_PT5_21rocsparse_index_base_b.uses_vcc, 1
	.set _ZN9rocsparseL20bsrxmvn_17_32_kernelILj19E21rocsparse_complex_numIfEiifS2_S2_EEvT2_20rocsparse_direction_NS_24const_host_device_scalarIT0_EES3_PKS3_PKT1_SC_S9_PKT3_PKT4_S7_PT5_21rocsparse_index_base_b.uses_flat_scratch, 0
	.set _ZN9rocsparseL20bsrxmvn_17_32_kernelILj19E21rocsparse_complex_numIfEiifS2_S2_EEvT2_20rocsparse_direction_NS_24const_host_device_scalarIT0_EES3_PKS3_PKT1_SC_S9_PKT3_PKT4_S7_PT5_21rocsparse_index_base_b.has_dyn_sized_stack, 0
	.set _ZN9rocsparseL20bsrxmvn_17_32_kernelILj19E21rocsparse_complex_numIfEiifS2_S2_EEvT2_20rocsparse_direction_NS_24const_host_device_scalarIT0_EES3_PKS3_PKT1_SC_S9_PKT3_PKT4_S7_PT5_21rocsparse_index_base_b.has_recursion, 0
	.set _ZN9rocsparseL20bsrxmvn_17_32_kernelILj19E21rocsparse_complex_numIfEiifS2_S2_EEvT2_20rocsparse_direction_NS_24const_host_device_scalarIT0_EES3_PKS3_PKT1_SC_S9_PKT3_PKT4_S7_PT5_21rocsparse_index_base_b.has_indirect_call, 0
	.section	.AMDGPU.csdata,"",@progbits
; Kernel info:
; codeLenInByte = 1404
; TotalNumSgprs: 22
; NumVgprs: 16
; ScratchSize: 0
; MemoryBound: 0
; FloatMode: 240
; IeeeMode: 1
; LDSByteSize: 2888 bytes/workgroup (compile time only)
; SGPRBlocks: 8
; VGPRBlocks: 6
; NumSGPRsForWavesPerEU: 65
; NumVGPRsForWavesPerEU: 25
; Occupancy: 9
; WaveLimiterHint : 1
; COMPUTE_PGM_RSRC2:SCRATCH_EN: 0
; COMPUTE_PGM_RSRC2:USER_SGPR: 6
; COMPUTE_PGM_RSRC2:TRAP_HANDLER: 0
; COMPUTE_PGM_RSRC2:TGID_X_EN: 1
; COMPUTE_PGM_RSRC2:TGID_Y_EN: 0
; COMPUTE_PGM_RSRC2:TGID_Z_EN: 0
; COMPUTE_PGM_RSRC2:TIDIG_COMP_CNT: 0
	.section	.text._ZN9rocsparseL20bsrxmvn_17_32_kernelILj20E21rocsparse_complex_numIfEiifS2_S2_EEvT2_20rocsparse_direction_NS_24const_host_device_scalarIT0_EES3_PKS3_PKT1_SC_S9_PKT3_PKT4_S7_PT5_21rocsparse_index_base_b,"axG",@progbits,_ZN9rocsparseL20bsrxmvn_17_32_kernelILj20E21rocsparse_complex_numIfEiifS2_S2_EEvT2_20rocsparse_direction_NS_24const_host_device_scalarIT0_EES3_PKS3_PKT1_SC_S9_PKT3_PKT4_S7_PT5_21rocsparse_index_base_b,comdat
	.globl	_ZN9rocsparseL20bsrxmvn_17_32_kernelILj20E21rocsparse_complex_numIfEiifS2_S2_EEvT2_20rocsparse_direction_NS_24const_host_device_scalarIT0_EES3_PKS3_PKT1_SC_S9_PKT3_PKT4_S7_PT5_21rocsparse_index_base_b ; -- Begin function _ZN9rocsparseL20bsrxmvn_17_32_kernelILj20E21rocsparse_complex_numIfEiifS2_S2_EEvT2_20rocsparse_direction_NS_24const_host_device_scalarIT0_EES3_PKS3_PKT1_SC_S9_PKT3_PKT4_S7_PT5_21rocsparse_index_base_b
	.p2align	8
	.type	_ZN9rocsparseL20bsrxmvn_17_32_kernelILj20E21rocsparse_complex_numIfEiifS2_S2_EEvT2_20rocsparse_direction_NS_24const_host_device_scalarIT0_EES3_PKS3_PKT1_SC_S9_PKT3_PKT4_S7_PT5_21rocsparse_index_base_b,@function
_ZN9rocsparseL20bsrxmvn_17_32_kernelILj20E21rocsparse_complex_numIfEiifS2_S2_EEvT2_20rocsparse_direction_NS_24const_host_device_scalarIT0_EES3_PKS3_PKT1_SC_S9_PKT3_PKT4_S7_PT5_21rocsparse_index_base_b: ; @_ZN9rocsparseL20bsrxmvn_17_32_kernelILj20E21rocsparse_complex_numIfEiifS2_S2_EEvT2_20rocsparse_direction_NS_24const_host_device_scalarIT0_EES3_PKS3_PKT1_SC_S9_PKT3_PKT4_S7_PT5_21rocsparse_index_base_b
; %bb.0:
	s_load_dwordx2 s[0:1], s[4:5], 0x8
	s_load_dwordx2 s[10:11], s[4:5], 0x58
	s_add_u32 s7, s4, 8
	s_addc_u32 s8, s5, 0
	s_add_u32 s9, s4, 0x48
	s_load_dwordx2 s[2:3], s[4:5], 0x48
	s_addc_u32 s12, s5, 0
	s_waitcnt lgkmcnt(0)
	s_bitcmp1_b32 s11, 0
	s_cselect_b32 s1, s8, s1
	s_cselect_b32 s0, s7, s0
	v_mov_b32_e32 v1, s0
	v_mov_b32_e32 v2, s1
	flat_load_dwordx2 v[3:4], v[1:2]
	s_cselect_b32 s0, s12, s3
	s_cselect_b32 s1, s9, s2
	v_mov_b32_e32 v1, s1
	v_mov_b32_e32 v2, s0
	flat_load_dwordx2 v[1:2], v[1:2]
	s_waitcnt vmcnt(0) lgkmcnt(0)
	v_cmp_eq_f32_e32 vcc, 0, v3
	v_cmp_eq_f32_e64 s[0:1], 0, v4
	s_and_b64 s[8:9], vcc, s[0:1]
	s_mov_b64 s[0:1], -1
	s_and_saveexec_b64 s[2:3], s[8:9]
; %bb.1:
	v_cmp_neq_f32_e32 vcc, 1.0, v1
	v_cmp_neq_f32_e64 s[0:1], 0, v2
	s_or_b64 s[0:1], vcc, s[0:1]
	s_orn2_b64 s[0:1], s[0:1], exec
; %bb.2:
	s_or_b64 exec, exec, s[2:3]
	s_and_saveexec_b64 s[2:3], s[0:1]
	s_cbranch_execz .LBB387_39
; %bb.3:
	s_load_dwordx4 s[0:3], s[4:5], 0x18
	s_load_dwordx2 s[14:15], s[4:5], 0x28
	s_waitcnt lgkmcnt(0)
	s_cmp_eq_u64 s[0:1], 0
	s_cbranch_scc1 .LBB387_5
; %bb.4:
	s_ashr_i32 s7, s6, 31
	s_lshl_b64 s[6:7], s[6:7], 2
	s_add_u32 s0, s0, s6
	s_addc_u32 s1, s1, s7
	s_load_dword s0, s[0:1], 0x0
	s_waitcnt lgkmcnt(0)
	s_sub_i32 s6, s0, s10
.LBB387_5:
	s_load_dword s0, s[4:5], 0x4
	s_load_dwordx2 s[8:9], s[4:5], 0x50
	v_mul_u32_u24_e32 v7, 0xccd, v0
	v_mov_b32_e32 v8, 20
	v_mul_lo_u16_sdwa v5, v7, v8 dst_sel:DWORD dst_unused:UNUSED_PAD src0_sel:WORD_1 src1_sel:DWORD
	s_waitcnt lgkmcnt(0)
	s_cmp_eq_u32 s0, 1
	s_cselect_b64 vcc, -1, 0
	s_cmp_lg_u32 s0, 1
	s_cselect_b64 s[12:13], -1, 0
	s_ashr_i32 s7, s6, 31
	s_lshl_b64 s[0:1], s[6:7], 2
	s_add_u32 s2, s2, s0
	s_addc_u32 s3, s3, s1
	s_load_dword s7, s[2:3], 0x0
	s_add_u32 s2, s2, 4
	s_addc_u32 s3, s3, 0
	s_add_u32 s0, s14, s0
	s_addc_u32 s1, s15, s1
	s_cmp_eq_u64 s[14:15], 0
	s_cselect_b32 s1, s3, s1
	s_cselect_b32 s0, s2, s0
	s_load_dword s11, s[0:1], 0x0
	v_sub_u16_e32 v12, v0, v5
	v_mov_b32_e32 v6, 0
	v_mov_b32_e32 v5, 0
	s_waitcnt lgkmcnt(0)
	s_cmp_ge_i32 s7, s11
	s_cbranch_scc1 .LBB387_10
; %bb.6:
	s_load_dwordx4 s[0:3], s[4:5], 0x30
	s_load_dwordx2 s[14:15], s[4:5], 0x40
	v_mov_b32_e32 v5, 13
	v_mul_lo_u16_sdwa v5, v7, v5 dst_sel:DWORD dst_unused:UNUSED_PAD src0_sel:WORD_1 src1_sel:DWORD
	v_mul_lo_u16_sdwa v5, v5, v8 dst_sel:DWORD dst_unused:UNUSED_PAD src0_sel:BYTE_1 src1_sel:DWORD
	s_sub_i32 s5, s7, s10
	s_sub_i32 s4, s11, s10
	v_sub_u16_sdwa v5, v7, v5 dst_sel:DWORD dst_unused:UNUSED_PAD src0_sel:WORD_1 src1_sel:DWORD
	s_mul_i32 s11, s5, 0x640
	v_and_b32_e32 v5, 0xff, v5
	s_mul_hi_i32 s7, s5, 0x640
	s_waitcnt lgkmcnt(0)
	s_add_u32 s2, s2, s11
	v_cndmask_b32_e32 v7, v12, v5, vcc
	s_addc_u32 s3, s3, s7
	v_lshlrev_b32_e32 v5, 2, v0
	v_mov_b32_e32 v6, 0
	v_mov_b32_e32 v9, s3
	v_add_co_u32_e32 v8, vcc, s2, v5
	s_movk_i32 s2, 0xa4
	v_addc_co_u32_e32 v9, vcc, 0, v9, vcc
	v_mul_u32_u24_sdwa v13, v0, s2 dst_sel:DWORD dst_unused:UNUSED_PAD src0_sel:WORD_0 src1_sel:DWORD
	v_mov_b32_e32 v5, v6
	s_branch .LBB387_8
.LBB387_7:                              ;   in Loop: Header=BB387_8 Depth=1
	s_or_b64 exec, exec, s[2:3]
	s_add_i32 s5, s5, 1
	s_cmp_lt_i32 s5, s4
	s_cbranch_scc0 .LBB387_10
.LBB387_8:                              ; =>This Inner Loop Header: Depth=1
	v_add_u32_sdwa v10, v13, s5 dst_sel:DWORD dst_unused:UNUSED_PAD src0_sel:WORD_1 src1_sel:DWORD
	v_cmp_gt_i32_e32 vcc, s4, v10
	s_and_saveexec_b64 s[2:3], vcc
	s_cbranch_execz .LBB387_7
; %bb.9:                                ;   in Loop: Header=BB387_8 Depth=1
	v_ashrrev_i32_e32 v11, 31, v10
	v_lshlrev_b64 v[10:11], 2, v[10:11]
	v_mov_b32_e32 v14, s1
	v_add_co_u32_e32 v10, vcc, s0, v10
	v_addc_co_u32_e32 v11, vcc, v14, v11, vcc
	global_load_dword v10, v[10:11], off
	v_mov_b32_e32 v15, s15
	global_load_dword v14, v[8:9], off
	s_waitcnt vmcnt(1)
	v_subrev_u32_e32 v10, s10, v10
	v_mad_u64_u32 v[10:11], s[16:17], v10, 20, v[7:8]
	v_ashrrev_i32_e32 v11, 31, v10
	v_lshlrev_b64 v[10:11], 3, v[10:11]
	v_add_co_u32_e32 v10, vcc, s14, v10
	v_addc_co_u32_e32 v11, vcc, v15, v11, vcc
	global_load_dwordx2 v[10:11], v[10:11], off
	v_add_co_u32_e32 v8, vcc, 0x640, v8
	v_addc_co_u32_e32 v9, vcc, 0, v9, vcc
	s_waitcnt vmcnt(0)
	v_fmac_f32_e32 v5, v14, v10
	v_fmac_f32_e32 v6, 0, v10
	;; [unrolled: 1-line block ×4, first 2 shown]
	s_branch .LBB387_7
.LBB387_10:
	v_lshlrev_b32_e32 v7, 3, v0
	s_and_b64 vcc, exec, s[12:13]
	ds_write_b64 v7, v[5:6]
	s_waitcnt lgkmcnt(0)
	s_barrier
	s_cbranch_vccz .LBB387_22
; %bb.11:
	v_cmp_gt_u16_e32 vcc, 4, v12
	s_and_saveexec_b64 s[0:1], vcc
	s_cbranch_execz .LBB387_13
; %bb.12:
	ds_read2_b64 v[8:11], v7 offset1:16
	s_waitcnt lgkmcnt(0)
	v_add_f32_e32 v8, v10, v8
	v_add_f32_e32 v9, v11, v9
	ds_write_b64 v7, v[8:9]
.LBB387_13:
	s_or_b64 exec, exec, s[0:1]
	v_cmp_gt_u16_e64 s[0:1], 8, v12
	s_waitcnt lgkmcnt(0)
	s_barrier
	s_and_saveexec_b64 s[2:3], s[0:1]
	s_cbranch_execz .LBB387_15
; %bb.14:
	ds_read2_b64 v[8:11], v7 offset1:8
	s_waitcnt lgkmcnt(0)
	v_add_f32_e32 v8, v10, v8
	v_add_f32_e32 v9, v11, v9
	ds_write_b64 v7, v[8:9]
.LBB387_15:
	s_or_b64 exec, exec, s[2:3]
	s_waitcnt lgkmcnt(0)
	s_barrier
	s_and_saveexec_b64 s[0:1], vcc
	s_cbranch_execz .LBB387_17
; %bb.16:
	ds_read2_b64 v[8:11], v7 offset1:4
	s_waitcnt lgkmcnt(0)
	v_add_f32_e32 v8, v10, v8
	v_add_f32_e32 v9, v11, v9
	ds_write_b64 v7, v[8:9]
.LBB387_17:
	s_or_b64 exec, exec, s[0:1]
	v_cmp_gt_u16_e32 vcc, 2, v12
	s_waitcnt lgkmcnt(0)
	s_barrier
	s_and_saveexec_b64 s[0:1], vcc
	s_cbranch_execz .LBB387_19
; %bb.18:
	ds_read2_b64 v[8:11], v7 offset1:2
	s_waitcnt lgkmcnt(0)
	v_add_f32_e32 v8, v10, v8
	v_add_f32_e32 v9, v11, v9
	ds_write_b64 v7, v[8:9]
.LBB387_19:
	s_or_b64 exec, exec, s[0:1]
	v_cmp_gt_u32_e32 vcc, 20, v0
	v_mov_b32_e32 v9, v6
	v_mov_b32_e32 v8, v5
	s_waitcnt lgkmcnt(0)
	s_barrier
	s_and_saveexec_b64 s[0:1], vcc
	s_cbranch_execz .LBB387_21
; %bb.20:
	s_movk_i32 s2, 0x98
	v_mad_u32_u24 v8, v0, s2, v7
	ds_read2_b64 v[8:11], v8 offset1:1
	s_waitcnt lgkmcnt(0)
	v_add_f32_e32 v8, v10, v8
	v_add_f32_e32 v9, v11, v9
.LBB387_21:
	s_or_b64 exec, exec, s[0:1]
	s_branch .LBB387_34
.LBB387_22:
                                        ; implicit-def: $vgpr9
                                        ; implicit-def: $vgpr8
	s_cbranch_execz .LBB387_34
; %bb.23:
	s_movk_i32 s0, 0x50
	v_cmp_gt_u32_e32 vcc, s0, v0
	s_and_saveexec_b64 s[0:1], vcc
	s_cbranch_execz .LBB387_25
; %bb.24:
	ds_read2st64_b64 v[8:11], v7 offset1:5
	s_waitcnt lgkmcnt(0)
	v_add_f32_e32 v8, v10, v8
	v_add_f32_e32 v9, v11, v9
	ds_write_b64 v7, v[8:9]
.LBB387_25:
	s_or_b64 exec, exec, s[0:1]
	s_movk_i32 s0, 0xa0
	v_cmp_gt_u32_e64 s[0:1], s0, v0
	s_waitcnt lgkmcnt(0)
	s_barrier
	s_and_saveexec_b64 s[2:3], s[0:1]
	s_cbranch_execz .LBB387_27
; %bb.26:
	ds_read2_b64 v[8:11], v7 offset1:160
	s_waitcnt lgkmcnt(0)
	v_add_f32_e32 v8, v10, v8
	v_add_f32_e32 v9, v11, v9
	ds_write_b64 v7, v[8:9]
.LBB387_27:
	s_or_b64 exec, exec, s[2:3]
	s_waitcnt lgkmcnt(0)
	s_barrier
	s_and_saveexec_b64 s[0:1], vcc
	s_cbranch_execz .LBB387_29
; %bb.28:
	ds_read2_b64 v[8:11], v7 offset1:80
	s_waitcnt lgkmcnt(0)
	v_add_f32_e32 v8, v10, v8
	v_add_f32_e32 v9, v11, v9
	ds_write_b64 v7, v[8:9]
.LBB387_29:
	s_or_b64 exec, exec, s[0:1]
	v_cmp_gt_u32_e32 vcc, 40, v0
	s_waitcnt lgkmcnt(0)
	s_barrier
	s_and_saveexec_b64 s[0:1], vcc
	s_cbranch_execz .LBB387_31
; %bb.30:
	ds_read2_b64 v[8:11], v7 offset1:40
	s_waitcnt lgkmcnt(0)
	v_add_f32_e32 v8, v10, v8
	v_add_f32_e32 v9, v11, v9
	ds_write_b64 v7, v[8:9]
.LBB387_31:
	s_or_b64 exec, exec, s[0:1]
	v_cmp_gt_u32_e32 vcc, 20, v0
	s_waitcnt lgkmcnt(0)
	s_and_saveexec_b64 s[0:1], vcc
	s_cbranch_execz .LBB387_33
; %bb.32:
	ds_read2_b64 v[5:8], v7 offset1:20
	s_waitcnt lgkmcnt(0)
	v_add_f32_e32 v5, v7, v5
	v_add_f32_e32 v6, v8, v6
.LBB387_33:
	s_or_b64 exec, exec, s[0:1]
	v_mov_b32_e32 v9, v6
	v_mov_b32_e32 v8, v5
.LBB387_34:
	v_cmp_gt_u32_e32 vcc, 20, v0
	s_and_b64 exec, exec, vcc
	s_cbranch_execz .LBB387_39
; %bb.35:
	v_cmp_eq_f32_e32 vcc, 0, v1
	v_cmp_eq_f32_e64 s[0:1], 0, v2
	v_mul_f32_e64 v5, v9, -v4
	v_mul_f32_e32 v6, v3, v9
	s_and_b64 s[0:1], vcc, s[0:1]
	v_fmac_f32_e32 v5, v3, v8
	v_fmac_f32_e32 v6, v4, v8
	s_and_saveexec_b64 s[2:3], s[0:1]
	s_xor_b64 s[0:1], exec, s[2:3]
	s_cbranch_execz .LBB387_37
; %bb.36:
	v_mad_u64_u32 v[0:1], s[2:3], s6, 20, v[0:1]
	v_mov_b32_e32 v1, 0
	v_mov_b32_e32 v2, s9
	v_lshlrev_b64 v[0:1], 3, v[0:1]
	v_add_co_u32_e32 v0, vcc, s8, v0
	v_addc_co_u32_e32 v1, vcc, v2, v1, vcc
	global_store_dwordx2 v[0:1], v[5:6], off
                                        ; implicit-def: $vgpr0
                                        ; implicit-def: $vgpr1_vgpr2
                                        ; implicit-def: $vgpr5
.LBB387_37:
	s_andn2_saveexec_b64 s[0:1], s[0:1]
	s_cbranch_execz .LBB387_39
; %bb.38:
	v_mad_u64_u32 v[3:4], s[0:1], s6, 20, v[0:1]
	v_mov_b32_e32 v4, 0
	v_mov_b32_e32 v0, s9
	v_lshlrev_b64 v[3:4], 3, v[3:4]
	v_add_co_u32_e32 v3, vcc, s8, v3
	v_addc_co_u32_e32 v4, vcc, v0, v4, vcc
	global_load_dwordx2 v[7:8], v[3:4], off
	s_waitcnt vmcnt(0)
	v_fmac_f32_e32 v5, v1, v7
	v_fmac_f32_e32 v6, v2, v7
	v_fma_f32 v5, -v2, v8, v5
	v_fmac_f32_e32 v6, v1, v8
	global_store_dwordx2 v[3:4], v[5:6], off
.LBB387_39:
	s_endpgm
	.section	.rodata,"a",@progbits
	.p2align	6, 0x0
	.amdhsa_kernel _ZN9rocsparseL20bsrxmvn_17_32_kernelILj20E21rocsparse_complex_numIfEiifS2_S2_EEvT2_20rocsparse_direction_NS_24const_host_device_scalarIT0_EES3_PKS3_PKT1_SC_S9_PKT3_PKT4_S7_PT5_21rocsparse_index_base_b
		.amdhsa_group_segment_fixed_size 3200
		.amdhsa_private_segment_fixed_size 0
		.amdhsa_kernarg_size 96
		.amdhsa_user_sgpr_count 6
		.amdhsa_user_sgpr_private_segment_buffer 1
		.amdhsa_user_sgpr_dispatch_ptr 0
		.amdhsa_user_sgpr_queue_ptr 0
		.amdhsa_user_sgpr_kernarg_segment_ptr 1
		.amdhsa_user_sgpr_dispatch_id 0
		.amdhsa_user_sgpr_flat_scratch_init 0
		.amdhsa_user_sgpr_private_segment_size 0
		.amdhsa_uses_dynamic_stack 0
		.amdhsa_system_sgpr_private_segment_wavefront_offset 0
		.amdhsa_system_sgpr_workgroup_id_x 1
		.amdhsa_system_sgpr_workgroup_id_y 0
		.amdhsa_system_sgpr_workgroup_id_z 0
		.amdhsa_system_sgpr_workgroup_info 0
		.amdhsa_system_vgpr_workitem_id 0
		.amdhsa_next_free_vgpr 25
		.amdhsa_next_free_sgpr 61
		.amdhsa_reserve_vcc 1
		.amdhsa_reserve_flat_scratch 0
		.amdhsa_float_round_mode_32 0
		.amdhsa_float_round_mode_16_64 0
		.amdhsa_float_denorm_mode_32 3
		.amdhsa_float_denorm_mode_16_64 3
		.amdhsa_dx10_clamp 1
		.amdhsa_ieee_mode 1
		.amdhsa_fp16_overflow 0
		.amdhsa_exception_fp_ieee_invalid_op 0
		.amdhsa_exception_fp_denorm_src 0
		.amdhsa_exception_fp_ieee_div_zero 0
		.amdhsa_exception_fp_ieee_overflow 0
		.amdhsa_exception_fp_ieee_underflow 0
		.amdhsa_exception_fp_ieee_inexact 0
		.amdhsa_exception_int_div_zero 0
	.end_amdhsa_kernel
	.section	.text._ZN9rocsparseL20bsrxmvn_17_32_kernelILj20E21rocsparse_complex_numIfEiifS2_S2_EEvT2_20rocsparse_direction_NS_24const_host_device_scalarIT0_EES3_PKS3_PKT1_SC_S9_PKT3_PKT4_S7_PT5_21rocsparse_index_base_b,"axG",@progbits,_ZN9rocsparseL20bsrxmvn_17_32_kernelILj20E21rocsparse_complex_numIfEiifS2_S2_EEvT2_20rocsparse_direction_NS_24const_host_device_scalarIT0_EES3_PKS3_PKT1_SC_S9_PKT3_PKT4_S7_PT5_21rocsparse_index_base_b,comdat
.Lfunc_end387:
	.size	_ZN9rocsparseL20bsrxmvn_17_32_kernelILj20E21rocsparse_complex_numIfEiifS2_S2_EEvT2_20rocsparse_direction_NS_24const_host_device_scalarIT0_EES3_PKS3_PKT1_SC_S9_PKT3_PKT4_S7_PT5_21rocsparse_index_base_b, .Lfunc_end387-_ZN9rocsparseL20bsrxmvn_17_32_kernelILj20E21rocsparse_complex_numIfEiifS2_S2_EEvT2_20rocsparse_direction_NS_24const_host_device_scalarIT0_EES3_PKS3_PKT1_SC_S9_PKT3_PKT4_S7_PT5_21rocsparse_index_base_b
                                        ; -- End function
	.set _ZN9rocsparseL20bsrxmvn_17_32_kernelILj20E21rocsparse_complex_numIfEiifS2_S2_EEvT2_20rocsparse_direction_NS_24const_host_device_scalarIT0_EES3_PKS3_PKT1_SC_S9_PKT3_PKT4_S7_PT5_21rocsparse_index_base_b.num_vgpr, 16
	.set _ZN9rocsparseL20bsrxmvn_17_32_kernelILj20E21rocsparse_complex_numIfEiifS2_S2_EEvT2_20rocsparse_direction_NS_24const_host_device_scalarIT0_EES3_PKS3_PKT1_SC_S9_PKT3_PKT4_S7_PT5_21rocsparse_index_base_b.num_agpr, 0
	.set _ZN9rocsparseL20bsrxmvn_17_32_kernelILj20E21rocsparse_complex_numIfEiifS2_S2_EEvT2_20rocsparse_direction_NS_24const_host_device_scalarIT0_EES3_PKS3_PKT1_SC_S9_PKT3_PKT4_S7_PT5_21rocsparse_index_base_b.numbered_sgpr, 18
	.set _ZN9rocsparseL20bsrxmvn_17_32_kernelILj20E21rocsparse_complex_numIfEiifS2_S2_EEvT2_20rocsparse_direction_NS_24const_host_device_scalarIT0_EES3_PKS3_PKT1_SC_S9_PKT3_PKT4_S7_PT5_21rocsparse_index_base_b.num_named_barrier, 0
	.set _ZN9rocsparseL20bsrxmvn_17_32_kernelILj20E21rocsparse_complex_numIfEiifS2_S2_EEvT2_20rocsparse_direction_NS_24const_host_device_scalarIT0_EES3_PKS3_PKT1_SC_S9_PKT3_PKT4_S7_PT5_21rocsparse_index_base_b.private_seg_size, 0
	.set _ZN9rocsparseL20bsrxmvn_17_32_kernelILj20E21rocsparse_complex_numIfEiifS2_S2_EEvT2_20rocsparse_direction_NS_24const_host_device_scalarIT0_EES3_PKS3_PKT1_SC_S9_PKT3_PKT4_S7_PT5_21rocsparse_index_base_b.uses_vcc, 1
	.set _ZN9rocsparseL20bsrxmvn_17_32_kernelILj20E21rocsparse_complex_numIfEiifS2_S2_EEvT2_20rocsparse_direction_NS_24const_host_device_scalarIT0_EES3_PKS3_PKT1_SC_S9_PKT3_PKT4_S7_PT5_21rocsparse_index_base_b.uses_flat_scratch, 0
	.set _ZN9rocsparseL20bsrxmvn_17_32_kernelILj20E21rocsparse_complex_numIfEiifS2_S2_EEvT2_20rocsparse_direction_NS_24const_host_device_scalarIT0_EES3_PKS3_PKT1_SC_S9_PKT3_PKT4_S7_PT5_21rocsparse_index_base_b.has_dyn_sized_stack, 0
	.set _ZN9rocsparseL20bsrxmvn_17_32_kernelILj20E21rocsparse_complex_numIfEiifS2_S2_EEvT2_20rocsparse_direction_NS_24const_host_device_scalarIT0_EES3_PKS3_PKT1_SC_S9_PKT3_PKT4_S7_PT5_21rocsparse_index_base_b.has_recursion, 0
	.set _ZN9rocsparseL20bsrxmvn_17_32_kernelILj20E21rocsparse_complex_numIfEiifS2_S2_EEvT2_20rocsparse_direction_NS_24const_host_device_scalarIT0_EES3_PKS3_PKT1_SC_S9_PKT3_PKT4_S7_PT5_21rocsparse_index_base_b.has_indirect_call, 0
	.section	.AMDGPU.csdata,"",@progbits
; Kernel info:
; codeLenInByte = 1396
; TotalNumSgprs: 22
; NumVgprs: 16
; ScratchSize: 0
; MemoryBound: 0
; FloatMode: 240
; IeeeMode: 1
; LDSByteSize: 3200 bytes/workgroup (compile time only)
; SGPRBlocks: 8
; VGPRBlocks: 6
; NumSGPRsForWavesPerEU: 65
; NumVGPRsForWavesPerEU: 25
; Occupancy: 9
; WaveLimiterHint : 1
; COMPUTE_PGM_RSRC2:SCRATCH_EN: 0
; COMPUTE_PGM_RSRC2:USER_SGPR: 6
; COMPUTE_PGM_RSRC2:TRAP_HANDLER: 0
; COMPUTE_PGM_RSRC2:TGID_X_EN: 1
; COMPUTE_PGM_RSRC2:TGID_Y_EN: 0
; COMPUTE_PGM_RSRC2:TGID_Z_EN: 0
; COMPUTE_PGM_RSRC2:TIDIG_COMP_CNT: 0
	.section	.text._ZN9rocsparseL20bsrxmvn_17_32_kernelILj21E21rocsparse_complex_numIfEiifS2_S2_EEvT2_20rocsparse_direction_NS_24const_host_device_scalarIT0_EES3_PKS3_PKT1_SC_S9_PKT3_PKT4_S7_PT5_21rocsparse_index_base_b,"axG",@progbits,_ZN9rocsparseL20bsrxmvn_17_32_kernelILj21E21rocsparse_complex_numIfEiifS2_S2_EEvT2_20rocsparse_direction_NS_24const_host_device_scalarIT0_EES3_PKS3_PKT1_SC_S9_PKT3_PKT4_S7_PT5_21rocsparse_index_base_b,comdat
	.globl	_ZN9rocsparseL20bsrxmvn_17_32_kernelILj21E21rocsparse_complex_numIfEiifS2_S2_EEvT2_20rocsparse_direction_NS_24const_host_device_scalarIT0_EES3_PKS3_PKT1_SC_S9_PKT3_PKT4_S7_PT5_21rocsparse_index_base_b ; -- Begin function _ZN9rocsparseL20bsrxmvn_17_32_kernelILj21E21rocsparse_complex_numIfEiifS2_S2_EEvT2_20rocsparse_direction_NS_24const_host_device_scalarIT0_EES3_PKS3_PKT1_SC_S9_PKT3_PKT4_S7_PT5_21rocsparse_index_base_b
	.p2align	8
	.type	_ZN9rocsparseL20bsrxmvn_17_32_kernelILj21E21rocsparse_complex_numIfEiifS2_S2_EEvT2_20rocsparse_direction_NS_24const_host_device_scalarIT0_EES3_PKS3_PKT1_SC_S9_PKT3_PKT4_S7_PT5_21rocsparse_index_base_b,@function
_ZN9rocsparseL20bsrxmvn_17_32_kernelILj21E21rocsparse_complex_numIfEiifS2_S2_EEvT2_20rocsparse_direction_NS_24const_host_device_scalarIT0_EES3_PKS3_PKT1_SC_S9_PKT3_PKT4_S7_PT5_21rocsparse_index_base_b: ; @_ZN9rocsparseL20bsrxmvn_17_32_kernelILj21E21rocsparse_complex_numIfEiifS2_S2_EEvT2_20rocsparse_direction_NS_24const_host_device_scalarIT0_EES3_PKS3_PKT1_SC_S9_PKT3_PKT4_S7_PT5_21rocsparse_index_base_b
; %bb.0:
	s_load_dwordx2 s[0:1], s[4:5], 0x8
	s_load_dwordx2 s[10:11], s[4:5], 0x58
	s_add_u32 s7, s4, 8
	s_addc_u32 s8, s5, 0
	s_add_u32 s9, s4, 0x48
	s_load_dwordx2 s[2:3], s[4:5], 0x48
	s_addc_u32 s12, s5, 0
	s_waitcnt lgkmcnt(0)
	s_bitcmp1_b32 s11, 0
	s_cselect_b32 s1, s8, s1
	s_cselect_b32 s0, s7, s0
	v_mov_b32_e32 v1, s0
	v_mov_b32_e32 v2, s1
	flat_load_dwordx2 v[3:4], v[1:2]
	s_cselect_b32 s0, s12, s3
	s_cselect_b32 s1, s9, s2
	v_mov_b32_e32 v1, s1
	v_mov_b32_e32 v2, s0
	flat_load_dwordx2 v[1:2], v[1:2]
	s_waitcnt vmcnt(0) lgkmcnt(0)
	v_cmp_eq_f32_e32 vcc, 0, v3
	v_cmp_eq_f32_e64 s[0:1], 0, v4
	s_and_b64 s[8:9], vcc, s[0:1]
	s_mov_b64 s[0:1], -1
	s_and_saveexec_b64 s[2:3], s[8:9]
; %bb.1:
	v_cmp_neq_f32_e32 vcc, 1.0, v1
	v_cmp_neq_f32_e64 s[0:1], 0, v2
	s_or_b64 s[0:1], vcc, s[0:1]
	s_orn2_b64 s[0:1], s[0:1], exec
; %bb.2:
	s_or_b64 exec, exec, s[2:3]
	s_and_saveexec_b64 s[2:3], s[0:1]
	s_cbranch_execz .LBB388_39
; %bb.3:
	s_load_dwordx4 s[0:3], s[4:5], 0x18
	s_load_dwordx2 s[14:15], s[4:5], 0x28
	s_waitcnt lgkmcnt(0)
	s_cmp_eq_u64 s[0:1], 0
	s_cbranch_scc1 .LBB388_5
; %bb.4:
	s_ashr_i32 s7, s6, 31
	s_lshl_b64 s[6:7], s[6:7], 2
	s_add_u32 s0, s0, s6
	s_addc_u32 s1, s1, s7
	s_load_dword s0, s[0:1], 0x0
	s_waitcnt lgkmcnt(0)
	s_sub_i32 s6, s0, s10
.LBB388_5:
	s_load_dword s0, s[4:5], 0x4
	s_load_dwordx2 s[8:9], s[4:5], 0x50
	v_mul_u32_u24_e32 v7, 0xc31, v0
	v_mov_b32_e32 v5, 21
	v_mul_lo_u16_sdwa v5, v7, v5 dst_sel:DWORD dst_unused:UNUSED_PAD src0_sel:WORD_1 src1_sel:DWORD
	s_waitcnt lgkmcnt(0)
	s_cmp_eq_u32 s0, 1
	s_cselect_b64 vcc, -1, 0
	s_cmp_lg_u32 s0, 1
	s_cselect_b64 s[12:13], -1, 0
	s_ashr_i32 s7, s6, 31
	s_lshl_b64 s[0:1], s[6:7], 2
	s_add_u32 s2, s2, s0
	s_addc_u32 s3, s3, s1
	s_load_dword s7, s[2:3], 0x0
	s_add_u32 s2, s2, 4
	s_addc_u32 s3, s3, 0
	s_add_u32 s0, s14, s0
	s_addc_u32 s1, s15, s1
	s_cmp_eq_u64 s[14:15], 0
	s_cselect_b32 s1, s3, s1
	s_cselect_b32 s0, s2, s0
	s_load_dword s11, s[0:1], 0x0
	v_sub_u16_e32 v12, v0, v5
	v_mov_b32_e32 v6, 0
	v_mov_b32_e32 v5, 0
	s_waitcnt lgkmcnt(0)
	s_cmp_ge_i32 s7, s11
	s_cbranch_scc1 .LBB388_10
; %bb.6:
	v_mov_b32_e32 v5, 25
	v_mul_lo_u16_sdwa v5, v7, v5 dst_sel:DWORD dst_unused:UNUSED_PAD src0_sel:WORD_1 src1_sel:DWORD
	s_load_dwordx4 s[0:3], s[4:5], 0x30
	s_load_dwordx2 s[14:15], s[4:5], 0x40
	v_lshrrev_b16_e32 v5, 9, v5
	v_mul_lo_u16_e32 v5, 21, v5
	v_sub_u16_sdwa v5, v7, v5 dst_sel:DWORD dst_unused:UNUSED_PAD src0_sel:WORD_1 src1_sel:DWORD
	s_sub_i32 s5, s7, s10
	s_sub_i32 s4, s11, s10
	v_and_b32_e32 v5, 0xff, v5
	s_mul_i32 s11, s5, 0x6e4
	v_cndmask_b32_e32 v7, v12, v5, vcc
	s_mul_hi_i32 s7, s5, 0x6e4
	s_waitcnt lgkmcnt(0)
	s_add_u32 s2, s2, s11
	v_lshlrev_b32_e32 v5, 2, v0
	s_addc_u32 s3, s3, s7
	v_add_co_u32_e32 v8, vcc, s2, v5
	s_movk_i32 s2, 0x253
	v_mov_b32_e32 v6, 0
	v_mov_b32_e32 v9, s3
	v_mul_u32_u24_sdwa v5, v0, s2 dst_sel:DWORD dst_unused:UNUSED_PAD src0_sel:WORD_0 src1_sel:DWORD
	v_addc_co_u32_e32 v9, vcc, 0, v9, vcc
	v_lshrrev_b32_e32 v13, 18, v5
	v_mov_b32_e32 v5, v6
	s_branch .LBB388_8
.LBB388_7:                              ;   in Loop: Header=BB388_8 Depth=1
	s_or_b64 exec, exec, s[2:3]
	s_add_i32 s5, s5, 1
	s_cmp_lt_i32 s5, s4
	s_cbranch_scc0 .LBB388_10
.LBB388_8:                              ; =>This Inner Loop Header: Depth=1
	v_add_u32_e32 v10, s5, v13
	v_cmp_gt_i32_e32 vcc, s4, v10
	s_and_saveexec_b64 s[2:3], vcc
	s_cbranch_execz .LBB388_7
; %bb.9:                                ;   in Loop: Header=BB388_8 Depth=1
	v_ashrrev_i32_e32 v11, 31, v10
	v_lshlrev_b64 v[10:11], 2, v[10:11]
	v_mov_b32_e32 v14, s1
	v_add_co_u32_e32 v10, vcc, s0, v10
	v_addc_co_u32_e32 v11, vcc, v14, v11, vcc
	global_load_dword v10, v[10:11], off
	v_mov_b32_e32 v15, s15
	global_load_dword v14, v[8:9], off
	s_waitcnt vmcnt(1)
	v_subrev_u32_e32 v10, s10, v10
	v_mad_u64_u32 v[10:11], s[16:17], v10, 21, v[7:8]
	v_ashrrev_i32_e32 v11, 31, v10
	v_lshlrev_b64 v[10:11], 3, v[10:11]
	v_add_co_u32_e32 v10, vcc, s14, v10
	v_addc_co_u32_e32 v11, vcc, v15, v11, vcc
	global_load_dwordx2 v[10:11], v[10:11], off
	v_add_co_u32_e32 v8, vcc, 0x6e4, v8
	v_addc_co_u32_e32 v9, vcc, 0, v9, vcc
	s_waitcnt vmcnt(0)
	v_fmac_f32_e32 v5, v14, v10
	v_fmac_f32_e32 v6, 0, v10
	;; [unrolled: 1-line block ×4, first 2 shown]
	s_branch .LBB388_7
.LBB388_10:
	v_lshlrev_b32_e32 v7, 3, v0
	s_and_b64 vcc, exec, s[12:13]
	ds_write_b64 v7, v[5:6]
	s_waitcnt lgkmcnt(0)
	s_barrier
	s_cbranch_vccz .LBB388_22
; %bb.11:
	v_cmp_gt_u16_e32 vcc, 5, v12
	s_and_saveexec_b64 s[0:1], vcc
	s_cbranch_execz .LBB388_13
; %bb.12:
	ds_read2_b64 v[8:11], v7 offset1:16
	s_waitcnt lgkmcnt(0)
	v_add_f32_e32 v8, v10, v8
	v_add_f32_e32 v9, v11, v9
	ds_write_b64 v7, v[8:9]
.LBB388_13:
	s_or_b64 exec, exec, s[0:1]
	v_cmp_gt_u16_e32 vcc, 8, v12
	s_waitcnt lgkmcnt(0)
	s_barrier
	s_and_saveexec_b64 s[0:1], vcc
	s_cbranch_execz .LBB388_15
; %bb.14:
	ds_read2_b64 v[8:11], v7 offset1:8
	s_waitcnt lgkmcnt(0)
	v_add_f32_e32 v8, v10, v8
	v_add_f32_e32 v9, v11, v9
	ds_write_b64 v7, v[8:9]
.LBB388_15:
	s_or_b64 exec, exec, s[0:1]
	v_cmp_gt_u16_e32 vcc, 4, v12
	s_waitcnt lgkmcnt(0)
	s_barrier
	;; [unrolled: 13-line block ×3, first 2 shown]
	s_and_saveexec_b64 s[0:1], vcc
	s_cbranch_execz .LBB388_19
; %bb.18:
	ds_read2_b64 v[8:11], v7 offset1:2
	s_waitcnt lgkmcnt(0)
	v_add_f32_e32 v8, v10, v8
	v_add_f32_e32 v9, v11, v9
	ds_write_b64 v7, v[8:9]
.LBB388_19:
	s_or_b64 exec, exec, s[0:1]
	v_cmp_gt_u32_e32 vcc, 21, v0
	v_mov_b32_e32 v9, v6
	v_mov_b32_e32 v8, v5
	s_waitcnt lgkmcnt(0)
	s_barrier
	s_and_saveexec_b64 s[0:1], vcc
	s_cbranch_execz .LBB388_21
; %bb.20:
	s_movk_i32 s2, 0xa0
	v_mad_u32_u24 v8, v0, s2, v7
	ds_read2_b64 v[8:11], v8 offset1:1
	s_waitcnt lgkmcnt(0)
	v_add_f32_e32 v8, v10, v8
	v_add_f32_e32 v9, v11, v9
.LBB388_21:
	s_or_b64 exec, exec, s[0:1]
	s_branch .LBB388_34
.LBB388_22:
                                        ; implicit-def: $vgpr9
                                        ; implicit-def: $vgpr8
	s_cbranch_execz .LBB388_34
; %bb.23:
	s_movk_i32 s0, 0x69
	v_cmp_gt_u32_e32 vcc, s0, v0
	s_and_saveexec_b64 s[0:1], vcc
	s_cbranch_execz .LBB388_25
; %bb.24:
	ds_read_b64 v[8:9], v7 offset:2688
	ds_read_b64 v[10:11], v7
	s_waitcnt lgkmcnt(0)
	v_add_f32_e32 v8, v8, v10
	v_add_f32_e32 v9, v9, v11
	ds_write_b64 v7, v[8:9]
.LBB388_25:
	s_or_b64 exec, exec, s[0:1]
	s_movk_i32 s0, 0xa8
	v_cmp_gt_u32_e32 vcc, s0, v0
	s_waitcnt lgkmcnt(0)
	s_barrier
	s_and_saveexec_b64 s[0:1], vcc
	s_cbranch_execz .LBB388_27
; %bb.26:
	ds_read2_b64 v[8:11], v7 offset1:168
	s_waitcnt lgkmcnt(0)
	v_add_f32_e32 v8, v10, v8
	v_add_f32_e32 v9, v11, v9
	ds_write_b64 v7, v[8:9]
.LBB388_27:
	s_or_b64 exec, exec, s[0:1]
	s_movk_i32 s0, 0x54
	v_cmp_gt_u32_e32 vcc, s0, v0
	s_waitcnt lgkmcnt(0)
	s_barrier
	s_and_saveexec_b64 s[0:1], vcc
	s_cbranch_execz .LBB388_29
; %bb.28:
	ds_read2_b64 v[8:11], v7 offset1:84
	s_waitcnt lgkmcnt(0)
	v_add_f32_e32 v8, v10, v8
	v_add_f32_e32 v9, v11, v9
	ds_write_b64 v7, v[8:9]
.LBB388_29:
	s_or_b64 exec, exec, s[0:1]
	v_cmp_gt_u32_e32 vcc, 42, v0
	s_waitcnt lgkmcnt(0)
	s_barrier
	s_and_saveexec_b64 s[0:1], vcc
	s_cbranch_execz .LBB388_31
; %bb.30:
	ds_read2_b64 v[8:11], v7 offset1:42
	s_waitcnt lgkmcnt(0)
	v_add_f32_e32 v8, v10, v8
	v_add_f32_e32 v9, v11, v9
	ds_write_b64 v7, v[8:9]
.LBB388_31:
	s_or_b64 exec, exec, s[0:1]
	v_cmp_gt_u32_e32 vcc, 21, v0
	s_waitcnt lgkmcnt(0)
	s_and_saveexec_b64 s[0:1], vcc
	s_cbranch_execz .LBB388_33
; %bb.32:
	ds_read2_b64 v[5:8], v7 offset1:21
	s_waitcnt lgkmcnt(0)
	v_add_f32_e32 v5, v7, v5
	v_add_f32_e32 v6, v8, v6
.LBB388_33:
	s_or_b64 exec, exec, s[0:1]
	v_mov_b32_e32 v9, v6
	v_mov_b32_e32 v8, v5
.LBB388_34:
	v_cmp_gt_u32_e32 vcc, 21, v0
	s_and_b64 exec, exec, vcc
	s_cbranch_execz .LBB388_39
; %bb.35:
	v_cmp_eq_f32_e32 vcc, 0, v1
	v_cmp_eq_f32_e64 s[0:1], 0, v2
	v_mul_f32_e64 v5, v9, -v4
	v_mul_f32_e32 v6, v3, v9
	s_and_b64 s[0:1], vcc, s[0:1]
	v_fmac_f32_e32 v5, v3, v8
	v_fmac_f32_e32 v6, v4, v8
	s_and_saveexec_b64 s[2:3], s[0:1]
	s_xor_b64 s[0:1], exec, s[2:3]
	s_cbranch_execz .LBB388_37
; %bb.36:
	v_mad_u64_u32 v[0:1], s[2:3], s6, 21, v[0:1]
	v_mov_b32_e32 v1, 0
	v_mov_b32_e32 v2, s9
	v_lshlrev_b64 v[0:1], 3, v[0:1]
	v_add_co_u32_e32 v0, vcc, s8, v0
	v_addc_co_u32_e32 v1, vcc, v2, v1, vcc
	global_store_dwordx2 v[0:1], v[5:6], off
                                        ; implicit-def: $vgpr0
                                        ; implicit-def: $vgpr1_vgpr2
                                        ; implicit-def: $vgpr5
.LBB388_37:
	s_andn2_saveexec_b64 s[0:1], s[0:1]
	s_cbranch_execz .LBB388_39
; %bb.38:
	v_mad_u64_u32 v[3:4], s[0:1], s6, 21, v[0:1]
	v_mov_b32_e32 v4, 0
	v_mov_b32_e32 v0, s9
	v_lshlrev_b64 v[3:4], 3, v[3:4]
	v_add_co_u32_e32 v3, vcc, s8, v3
	v_addc_co_u32_e32 v4, vcc, v0, v4, vcc
	global_load_dwordx2 v[7:8], v[3:4], off
	s_waitcnt vmcnt(0)
	v_fmac_f32_e32 v5, v1, v7
	v_fmac_f32_e32 v6, v2, v7
	v_fma_f32 v5, -v2, v8, v5
	v_fmac_f32_e32 v6, v1, v8
	global_store_dwordx2 v[3:4], v[5:6], off
.LBB388_39:
	s_endpgm
	.section	.rodata,"a",@progbits
	.p2align	6, 0x0
	.amdhsa_kernel _ZN9rocsparseL20bsrxmvn_17_32_kernelILj21E21rocsparse_complex_numIfEiifS2_S2_EEvT2_20rocsparse_direction_NS_24const_host_device_scalarIT0_EES3_PKS3_PKT1_SC_S9_PKT3_PKT4_S7_PT5_21rocsparse_index_base_b
		.amdhsa_group_segment_fixed_size 3528
		.amdhsa_private_segment_fixed_size 0
		.amdhsa_kernarg_size 96
		.amdhsa_user_sgpr_count 6
		.amdhsa_user_sgpr_private_segment_buffer 1
		.amdhsa_user_sgpr_dispatch_ptr 0
		.amdhsa_user_sgpr_queue_ptr 0
		.amdhsa_user_sgpr_kernarg_segment_ptr 1
		.amdhsa_user_sgpr_dispatch_id 0
		.amdhsa_user_sgpr_flat_scratch_init 0
		.amdhsa_user_sgpr_private_segment_size 0
		.amdhsa_uses_dynamic_stack 0
		.amdhsa_system_sgpr_private_segment_wavefront_offset 0
		.amdhsa_system_sgpr_workgroup_id_x 1
		.amdhsa_system_sgpr_workgroup_id_y 0
		.amdhsa_system_sgpr_workgroup_id_z 0
		.amdhsa_system_sgpr_workgroup_info 0
		.amdhsa_system_vgpr_workitem_id 0
		.amdhsa_next_free_vgpr 25
		.amdhsa_next_free_sgpr 61
		.amdhsa_reserve_vcc 1
		.amdhsa_reserve_flat_scratch 0
		.amdhsa_float_round_mode_32 0
		.amdhsa_float_round_mode_16_64 0
		.amdhsa_float_denorm_mode_32 3
		.amdhsa_float_denorm_mode_16_64 3
		.amdhsa_dx10_clamp 1
		.amdhsa_ieee_mode 1
		.amdhsa_fp16_overflow 0
		.amdhsa_exception_fp_ieee_invalid_op 0
		.amdhsa_exception_fp_denorm_src 0
		.amdhsa_exception_fp_ieee_div_zero 0
		.amdhsa_exception_fp_ieee_overflow 0
		.amdhsa_exception_fp_ieee_underflow 0
		.amdhsa_exception_fp_ieee_inexact 0
		.amdhsa_exception_int_div_zero 0
	.end_amdhsa_kernel
	.section	.text._ZN9rocsparseL20bsrxmvn_17_32_kernelILj21E21rocsparse_complex_numIfEiifS2_S2_EEvT2_20rocsparse_direction_NS_24const_host_device_scalarIT0_EES3_PKS3_PKT1_SC_S9_PKT3_PKT4_S7_PT5_21rocsparse_index_base_b,"axG",@progbits,_ZN9rocsparseL20bsrxmvn_17_32_kernelILj21E21rocsparse_complex_numIfEiifS2_S2_EEvT2_20rocsparse_direction_NS_24const_host_device_scalarIT0_EES3_PKS3_PKT1_SC_S9_PKT3_PKT4_S7_PT5_21rocsparse_index_base_b,comdat
.Lfunc_end388:
	.size	_ZN9rocsparseL20bsrxmvn_17_32_kernelILj21E21rocsparse_complex_numIfEiifS2_S2_EEvT2_20rocsparse_direction_NS_24const_host_device_scalarIT0_EES3_PKS3_PKT1_SC_S9_PKT3_PKT4_S7_PT5_21rocsparse_index_base_b, .Lfunc_end388-_ZN9rocsparseL20bsrxmvn_17_32_kernelILj21E21rocsparse_complex_numIfEiifS2_S2_EEvT2_20rocsparse_direction_NS_24const_host_device_scalarIT0_EES3_PKS3_PKT1_SC_S9_PKT3_PKT4_S7_PT5_21rocsparse_index_base_b
                                        ; -- End function
	.set _ZN9rocsparseL20bsrxmvn_17_32_kernelILj21E21rocsparse_complex_numIfEiifS2_S2_EEvT2_20rocsparse_direction_NS_24const_host_device_scalarIT0_EES3_PKS3_PKT1_SC_S9_PKT3_PKT4_S7_PT5_21rocsparse_index_base_b.num_vgpr, 16
	.set _ZN9rocsparseL20bsrxmvn_17_32_kernelILj21E21rocsparse_complex_numIfEiifS2_S2_EEvT2_20rocsparse_direction_NS_24const_host_device_scalarIT0_EES3_PKS3_PKT1_SC_S9_PKT3_PKT4_S7_PT5_21rocsparse_index_base_b.num_agpr, 0
	.set _ZN9rocsparseL20bsrxmvn_17_32_kernelILj21E21rocsparse_complex_numIfEiifS2_S2_EEvT2_20rocsparse_direction_NS_24const_host_device_scalarIT0_EES3_PKS3_PKT1_SC_S9_PKT3_PKT4_S7_PT5_21rocsparse_index_base_b.numbered_sgpr, 18
	.set _ZN9rocsparseL20bsrxmvn_17_32_kernelILj21E21rocsparse_complex_numIfEiifS2_S2_EEvT2_20rocsparse_direction_NS_24const_host_device_scalarIT0_EES3_PKS3_PKT1_SC_S9_PKT3_PKT4_S7_PT5_21rocsparse_index_base_b.num_named_barrier, 0
	.set _ZN9rocsparseL20bsrxmvn_17_32_kernelILj21E21rocsparse_complex_numIfEiifS2_S2_EEvT2_20rocsparse_direction_NS_24const_host_device_scalarIT0_EES3_PKS3_PKT1_SC_S9_PKT3_PKT4_S7_PT5_21rocsparse_index_base_b.private_seg_size, 0
	.set _ZN9rocsparseL20bsrxmvn_17_32_kernelILj21E21rocsparse_complex_numIfEiifS2_S2_EEvT2_20rocsparse_direction_NS_24const_host_device_scalarIT0_EES3_PKS3_PKT1_SC_S9_PKT3_PKT4_S7_PT5_21rocsparse_index_base_b.uses_vcc, 1
	.set _ZN9rocsparseL20bsrxmvn_17_32_kernelILj21E21rocsparse_complex_numIfEiifS2_S2_EEvT2_20rocsparse_direction_NS_24const_host_device_scalarIT0_EES3_PKS3_PKT1_SC_S9_PKT3_PKT4_S7_PT5_21rocsparse_index_base_b.uses_flat_scratch, 0
	.set _ZN9rocsparseL20bsrxmvn_17_32_kernelILj21E21rocsparse_complex_numIfEiifS2_S2_EEvT2_20rocsparse_direction_NS_24const_host_device_scalarIT0_EES3_PKS3_PKT1_SC_S9_PKT3_PKT4_S7_PT5_21rocsparse_index_base_b.has_dyn_sized_stack, 0
	.set _ZN9rocsparseL20bsrxmvn_17_32_kernelILj21E21rocsparse_complex_numIfEiifS2_S2_EEvT2_20rocsparse_direction_NS_24const_host_device_scalarIT0_EES3_PKS3_PKT1_SC_S9_PKT3_PKT4_S7_PT5_21rocsparse_index_base_b.has_recursion, 0
	.set _ZN9rocsparseL20bsrxmvn_17_32_kernelILj21E21rocsparse_complex_numIfEiifS2_S2_EEvT2_20rocsparse_direction_NS_24const_host_device_scalarIT0_EES3_PKS3_PKT1_SC_S9_PKT3_PKT4_S7_PT5_21rocsparse_index_base_b.has_indirect_call, 0
	.section	.AMDGPU.csdata,"",@progbits
; Kernel info:
; codeLenInByte = 1408
; TotalNumSgprs: 22
; NumVgprs: 16
; ScratchSize: 0
; MemoryBound: 0
; FloatMode: 240
; IeeeMode: 1
; LDSByteSize: 3528 bytes/workgroup (compile time only)
; SGPRBlocks: 8
; VGPRBlocks: 6
; NumSGPRsForWavesPerEU: 65
; NumVGPRsForWavesPerEU: 25
; Occupancy: 9
; WaveLimiterHint : 1
; COMPUTE_PGM_RSRC2:SCRATCH_EN: 0
; COMPUTE_PGM_RSRC2:USER_SGPR: 6
; COMPUTE_PGM_RSRC2:TRAP_HANDLER: 0
; COMPUTE_PGM_RSRC2:TGID_X_EN: 1
; COMPUTE_PGM_RSRC2:TGID_Y_EN: 0
; COMPUTE_PGM_RSRC2:TGID_Z_EN: 0
; COMPUTE_PGM_RSRC2:TIDIG_COMP_CNT: 0
	.section	.text._ZN9rocsparseL20bsrxmvn_17_32_kernelILj22E21rocsparse_complex_numIfEiifS2_S2_EEvT2_20rocsparse_direction_NS_24const_host_device_scalarIT0_EES3_PKS3_PKT1_SC_S9_PKT3_PKT4_S7_PT5_21rocsparse_index_base_b,"axG",@progbits,_ZN9rocsparseL20bsrxmvn_17_32_kernelILj22E21rocsparse_complex_numIfEiifS2_S2_EEvT2_20rocsparse_direction_NS_24const_host_device_scalarIT0_EES3_PKS3_PKT1_SC_S9_PKT3_PKT4_S7_PT5_21rocsparse_index_base_b,comdat
	.globl	_ZN9rocsparseL20bsrxmvn_17_32_kernelILj22E21rocsparse_complex_numIfEiifS2_S2_EEvT2_20rocsparse_direction_NS_24const_host_device_scalarIT0_EES3_PKS3_PKT1_SC_S9_PKT3_PKT4_S7_PT5_21rocsparse_index_base_b ; -- Begin function _ZN9rocsparseL20bsrxmvn_17_32_kernelILj22E21rocsparse_complex_numIfEiifS2_S2_EEvT2_20rocsparse_direction_NS_24const_host_device_scalarIT0_EES3_PKS3_PKT1_SC_S9_PKT3_PKT4_S7_PT5_21rocsparse_index_base_b
	.p2align	8
	.type	_ZN9rocsparseL20bsrxmvn_17_32_kernelILj22E21rocsparse_complex_numIfEiifS2_S2_EEvT2_20rocsparse_direction_NS_24const_host_device_scalarIT0_EES3_PKS3_PKT1_SC_S9_PKT3_PKT4_S7_PT5_21rocsparse_index_base_b,@function
_ZN9rocsparseL20bsrxmvn_17_32_kernelILj22E21rocsparse_complex_numIfEiifS2_S2_EEvT2_20rocsparse_direction_NS_24const_host_device_scalarIT0_EES3_PKS3_PKT1_SC_S9_PKT3_PKT4_S7_PT5_21rocsparse_index_base_b: ; @_ZN9rocsparseL20bsrxmvn_17_32_kernelILj22E21rocsparse_complex_numIfEiifS2_S2_EEvT2_20rocsparse_direction_NS_24const_host_device_scalarIT0_EES3_PKS3_PKT1_SC_S9_PKT3_PKT4_S7_PT5_21rocsparse_index_base_b
; %bb.0:
	s_load_dwordx2 s[0:1], s[4:5], 0x8
	s_load_dwordx2 s[10:11], s[4:5], 0x58
	s_add_u32 s7, s4, 8
	s_addc_u32 s8, s5, 0
	s_add_u32 s9, s4, 0x48
	s_load_dwordx2 s[2:3], s[4:5], 0x48
	s_addc_u32 s12, s5, 0
	s_waitcnt lgkmcnt(0)
	s_bitcmp1_b32 s11, 0
	s_cselect_b32 s1, s8, s1
	s_cselect_b32 s0, s7, s0
	v_mov_b32_e32 v1, s0
	v_mov_b32_e32 v2, s1
	flat_load_dwordx2 v[3:4], v[1:2]
	s_cselect_b32 s0, s12, s3
	s_cselect_b32 s1, s9, s2
	v_mov_b32_e32 v1, s1
	v_mov_b32_e32 v2, s0
	flat_load_dwordx2 v[1:2], v[1:2]
	s_waitcnt vmcnt(0) lgkmcnt(0)
	v_cmp_eq_f32_e32 vcc, 0, v3
	v_cmp_eq_f32_e64 s[0:1], 0, v4
	s_and_b64 s[8:9], vcc, s[0:1]
	s_mov_b64 s[0:1], -1
	s_and_saveexec_b64 s[2:3], s[8:9]
; %bb.1:
	v_cmp_neq_f32_e32 vcc, 1.0, v1
	v_cmp_neq_f32_e64 s[0:1], 0, v2
	s_or_b64 s[0:1], vcc, s[0:1]
	s_orn2_b64 s[0:1], s[0:1], exec
; %bb.2:
	s_or_b64 exec, exec, s[2:3]
	s_and_saveexec_b64 s[2:3], s[0:1]
	s_cbranch_execz .LBB389_39
; %bb.3:
	s_load_dwordx4 s[0:3], s[4:5], 0x18
	s_load_dwordx2 s[14:15], s[4:5], 0x28
	s_waitcnt lgkmcnt(0)
	s_cmp_eq_u64 s[0:1], 0
	s_cbranch_scc1 .LBB389_5
; %bb.4:
	s_ashr_i32 s7, s6, 31
	s_lshl_b64 s[6:7], s[6:7], 2
	s_add_u32 s0, s0, s6
	s_addc_u32 s1, s1, s7
	s_load_dword s0, s[0:1], 0x0
	s_waitcnt lgkmcnt(0)
	s_sub_i32 s6, s0, s10
.LBB389_5:
	s_load_dword s0, s[4:5], 0x4
	s_load_dwordx2 s[8:9], s[4:5], 0x50
	v_mul_u32_u24_e32 v7, 0xba3, v0
	v_mov_b32_e32 v8, 22
	v_mul_lo_u16_sdwa v5, v7, v8 dst_sel:DWORD dst_unused:UNUSED_PAD src0_sel:WORD_1 src1_sel:DWORD
	s_waitcnt lgkmcnt(0)
	s_cmp_eq_u32 s0, 1
	s_cselect_b64 vcc, -1, 0
	s_cmp_lg_u32 s0, 1
	s_cselect_b64 s[12:13], -1, 0
	s_ashr_i32 s7, s6, 31
	s_lshl_b64 s[0:1], s[6:7], 2
	s_add_u32 s2, s2, s0
	s_addc_u32 s3, s3, s1
	s_load_dword s7, s[2:3], 0x0
	s_add_u32 s2, s2, 4
	s_addc_u32 s3, s3, 0
	s_add_u32 s0, s14, s0
	s_addc_u32 s1, s15, s1
	s_cmp_eq_u64 s[14:15], 0
	s_cselect_b32 s1, s3, s1
	s_cselect_b32 s0, s2, s0
	s_load_dword s11, s[0:1], 0x0
	v_sub_u16_e32 v12, v0, v5
	v_mov_b32_e32 v6, 0
	v_mov_b32_e32 v5, 0
	s_waitcnt lgkmcnt(0)
	s_cmp_ge_i32 s7, s11
	s_cbranch_scc1 .LBB389_10
; %bb.6:
	v_mov_b32_e32 v5, 12
	s_load_dwordx4 s[0:3], s[4:5], 0x30
	s_load_dwordx2 s[14:15], s[4:5], 0x40
	v_mul_lo_u16_sdwa v5, v7, v5 dst_sel:DWORD dst_unused:UNUSED_PAD src0_sel:WORD_1 src1_sel:DWORD
	v_mul_lo_u16_sdwa v5, v5, v8 dst_sel:DWORD dst_unused:UNUSED_PAD src0_sel:BYTE_1 src1_sel:DWORD
	v_sub_u16_sdwa v5, v7, v5 dst_sel:DWORD dst_unused:UNUSED_PAD src0_sel:WORD_1 src1_sel:DWORD
	s_sub_i32 s5, s7, s10
	s_sub_i32 s4, s11, s10
	v_and_b32_e32 v5, 0xff, v5
	s_mul_i32 s11, s5, 0x790
	v_cndmask_b32_e32 v7, v12, v5, vcc
	s_mul_hi_i32 s7, s5, 0x790
	s_waitcnt lgkmcnt(0)
	s_add_u32 s2, s2, s11
	v_lshlrev_b32_e32 v5, 2, v0
	s_addc_u32 s3, s3, s7
	v_add_co_u32_e32 v8, vcc, s2, v5
	s_movk_i32 s2, 0x10f
	v_mov_b32_e32 v6, 0
	v_mov_b32_e32 v9, s3
	v_mul_u32_u24_sdwa v5, v0, s2 dst_sel:DWORD dst_unused:UNUSED_PAD src0_sel:WORD_0 src1_sel:DWORD
	v_addc_co_u32_e32 v9, vcc, 0, v9, vcc
	v_lshrrev_b32_e32 v13, 17, v5
	v_mov_b32_e32 v5, v6
	s_branch .LBB389_8
.LBB389_7:                              ;   in Loop: Header=BB389_8 Depth=1
	s_or_b64 exec, exec, s[2:3]
	s_add_i32 s5, s5, 1
	s_cmp_lt_i32 s5, s4
	s_cbranch_scc0 .LBB389_10
.LBB389_8:                              ; =>This Inner Loop Header: Depth=1
	v_add_u32_e32 v10, s5, v13
	v_cmp_gt_i32_e32 vcc, s4, v10
	s_and_saveexec_b64 s[2:3], vcc
	s_cbranch_execz .LBB389_7
; %bb.9:                                ;   in Loop: Header=BB389_8 Depth=1
	v_ashrrev_i32_e32 v11, 31, v10
	v_lshlrev_b64 v[10:11], 2, v[10:11]
	v_mov_b32_e32 v14, s1
	v_add_co_u32_e32 v10, vcc, s0, v10
	v_addc_co_u32_e32 v11, vcc, v14, v11, vcc
	global_load_dword v10, v[10:11], off
	v_mov_b32_e32 v15, s15
	global_load_dword v14, v[8:9], off
	s_waitcnt vmcnt(1)
	v_subrev_u32_e32 v10, s10, v10
	v_mad_u64_u32 v[10:11], s[16:17], v10, 22, v[7:8]
	v_ashrrev_i32_e32 v11, 31, v10
	v_lshlrev_b64 v[10:11], 3, v[10:11]
	v_add_co_u32_e32 v10, vcc, s14, v10
	v_addc_co_u32_e32 v11, vcc, v15, v11, vcc
	global_load_dwordx2 v[10:11], v[10:11], off
	v_add_co_u32_e32 v8, vcc, 0x790, v8
	v_addc_co_u32_e32 v9, vcc, 0, v9, vcc
	s_waitcnt vmcnt(0)
	v_fmac_f32_e32 v5, v14, v10
	v_fmac_f32_e32 v6, 0, v10
	;; [unrolled: 1-line block ×4, first 2 shown]
	s_branch .LBB389_7
.LBB389_10:
	v_lshlrev_b32_e32 v7, 3, v0
	s_and_b64 vcc, exec, s[12:13]
	ds_write_b64 v7, v[5:6]
	s_waitcnt lgkmcnt(0)
	s_barrier
	s_cbranch_vccz .LBB389_22
; %bb.11:
	v_cmp_gt_u16_e32 vcc, 6, v12
	s_and_saveexec_b64 s[0:1], vcc
	s_cbranch_execz .LBB389_13
; %bb.12:
	ds_read2_b64 v[8:11], v7 offset1:16
	s_waitcnt lgkmcnt(0)
	v_add_f32_e32 v8, v10, v8
	v_add_f32_e32 v9, v11, v9
	ds_write_b64 v7, v[8:9]
.LBB389_13:
	s_or_b64 exec, exec, s[0:1]
	v_cmp_gt_u16_e32 vcc, 8, v12
	s_waitcnt lgkmcnt(0)
	s_barrier
	s_and_saveexec_b64 s[0:1], vcc
	s_cbranch_execz .LBB389_15
; %bb.14:
	ds_read2_b64 v[8:11], v7 offset1:8
	s_waitcnt lgkmcnt(0)
	v_add_f32_e32 v8, v10, v8
	v_add_f32_e32 v9, v11, v9
	ds_write_b64 v7, v[8:9]
.LBB389_15:
	s_or_b64 exec, exec, s[0:1]
	v_cmp_gt_u16_e32 vcc, 4, v12
	s_waitcnt lgkmcnt(0)
	s_barrier
	s_and_saveexec_b64 s[0:1], vcc
	s_cbranch_execz .LBB389_17
; %bb.16:
	ds_read2_b64 v[8:11], v7 offset1:4
	s_waitcnt lgkmcnt(0)
	v_add_f32_e32 v8, v10, v8
	v_add_f32_e32 v9, v11, v9
	ds_write_b64 v7, v[8:9]
.LBB389_17:
	s_or_b64 exec, exec, s[0:1]
	v_cmp_gt_u16_e32 vcc, 2, v12
	s_waitcnt lgkmcnt(0)
	s_barrier
	s_and_saveexec_b64 s[0:1], vcc
	s_cbranch_execz .LBB389_19
; %bb.18:
	ds_read2_b64 v[8:11], v7 offset1:2
	s_waitcnt lgkmcnt(0)
	v_add_f32_e32 v8, v10, v8
	v_add_f32_e32 v9, v11, v9
	ds_write_b64 v7, v[8:9]
.LBB389_19:
	s_or_b64 exec, exec, s[0:1]
	v_cmp_gt_u32_e32 vcc, 22, v0
	v_mov_b32_e32 v9, v6
	v_mov_b32_e32 v8, v5
	s_waitcnt lgkmcnt(0)
	s_barrier
	s_and_saveexec_b64 s[0:1], vcc
	s_cbranch_execz .LBB389_21
; %bb.20:
	s_movk_i32 s2, 0xa8
	v_mad_u32_u24 v8, v0, s2, v7
	ds_read2_b64 v[8:11], v8 offset1:1
	s_waitcnt lgkmcnt(0)
	v_add_f32_e32 v8, v10, v8
	v_add_f32_e32 v9, v11, v9
.LBB389_21:
	s_or_b64 exec, exec, s[0:1]
	s_branch .LBB389_34
.LBB389_22:
                                        ; implicit-def: $vgpr9
                                        ; implicit-def: $vgpr8
	s_cbranch_execz .LBB389_34
; %bb.23:
	s_movk_i32 s0, 0x84
	v_cmp_gt_u32_e32 vcc, s0, v0
	s_and_saveexec_b64 s[0:1], vcc
	s_cbranch_execz .LBB389_25
; %bb.24:
	ds_read_b64 v[8:9], v7 offset:2816
	ds_read_b64 v[10:11], v7
	s_waitcnt lgkmcnt(0)
	v_add_f32_e32 v8, v8, v10
	v_add_f32_e32 v9, v9, v11
	ds_write_b64 v7, v[8:9]
.LBB389_25:
	s_or_b64 exec, exec, s[0:1]
	s_movk_i32 s0, 0xb0
	v_cmp_gt_u32_e32 vcc, s0, v0
	s_waitcnt lgkmcnt(0)
	s_barrier
	s_and_saveexec_b64 s[0:1], vcc
	s_cbranch_execz .LBB389_27
; %bb.26:
	ds_read2_b64 v[8:11], v7 offset1:176
	s_waitcnt lgkmcnt(0)
	v_add_f32_e32 v8, v10, v8
	v_add_f32_e32 v9, v11, v9
	ds_write_b64 v7, v[8:9]
.LBB389_27:
	s_or_b64 exec, exec, s[0:1]
	s_movk_i32 s0, 0x58
	v_cmp_gt_u32_e32 vcc, s0, v0
	s_waitcnt lgkmcnt(0)
	s_barrier
	s_and_saveexec_b64 s[0:1], vcc
	s_cbranch_execz .LBB389_29
; %bb.28:
	ds_read2_b64 v[8:11], v7 offset1:88
	s_waitcnt lgkmcnt(0)
	v_add_f32_e32 v8, v10, v8
	v_add_f32_e32 v9, v11, v9
	ds_write_b64 v7, v[8:9]
.LBB389_29:
	s_or_b64 exec, exec, s[0:1]
	v_cmp_gt_u32_e32 vcc, 44, v0
	s_waitcnt lgkmcnt(0)
	s_barrier
	s_and_saveexec_b64 s[0:1], vcc
	s_cbranch_execz .LBB389_31
; %bb.30:
	ds_read2_b64 v[8:11], v7 offset1:44
	s_waitcnt lgkmcnt(0)
	v_add_f32_e32 v8, v10, v8
	v_add_f32_e32 v9, v11, v9
	ds_write_b64 v7, v[8:9]
.LBB389_31:
	s_or_b64 exec, exec, s[0:1]
	v_cmp_gt_u32_e32 vcc, 22, v0
	s_waitcnt lgkmcnt(0)
	s_and_saveexec_b64 s[0:1], vcc
	s_cbranch_execz .LBB389_33
; %bb.32:
	ds_read2_b64 v[5:8], v7 offset1:22
	s_waitcnt lgkmcnt(0)
	v_add_f32_e32 v5, v7, v5
	v_add_f32_e32 v6, v8, v6
.LBB389_33:
	s_or_b64 exec, exec, s[0:1]
	v_mov_b32_e32 v9, v6
	v_mov_b32_e32 v8, v5
.LBB389_34:
	v_cmp_gt_u32_e32 vcc, 22, v0
	s_and_b64 exec, exec, vcc
	s_cbranch_execz .LBB389_39
; %bb.35:
	v_cmp_eq_f32_e32 vcc, 0, v1
	v_cmp_eq_f32_e64 s[0:1], 0, v2
	v_mul_f32_e64 v5, v9, -v4
	v_mul_f32_e32 v6, v3, v9
	s_and_b64 s[0:1], vcc, s[0:1]
	v_fmac_f32_e32 v5, v3, v8
	v_fmac_f32_e32 v6, v4, v8
	s_and_saveexec_b64 s[2:3], s[0:1]
	s_xor_b64 s[0:1], exec, s[2:3]
	s_cbranch_execz .LBB389_37
; %bb.36:
	v_mad_u64_u32 v[0:1], s[2:3], s6, 22, v[0:1]
	v_mov_b32_e32 v1, 0
	v_mov_b32_e32 v2, s9
	v_lshlrev_b64 v[0:1], 3, v[0:1]
	v_add_co_u32_e32 v0, vcc, s8, v0
	v_addc_co_u32_e32 v1, vcc, v2, v1, vcc
	global_store_dwordx2 v[0:1], v[5:6], off
                                        ; implicit-def: $vgpr0
                                        ; implicit-def: $vgpr1_vgpr2
                                        ; implicit-def: $vgpr5
.LBB389_37:
	s_andn2_saveexec_b64 s[0:1], s[0:1]
	s_cbranch_execz .LBB389_39
; %bb.38:
	v_mad_u64_u32 v[3:4], s[0:1], s6, 22, v[0:1]
	v_mov_b32_e32 v4, 0
	v_mov_b32_e32 v0, s9
	v_lshlrev_b64 v[3:4], 3, v[3:4]
	v_add_co_u32_e32 v3, vcc, s8, v3
	v_addc_co_u32_e32 v4, vcc, v0, v4, vcc
	global_load_dwordx2 v[7:8], v[3:4], off
	s_waitcnt vmcnt(0)
	v_fmac_f32_e32 v5, v1, v7
	v_fmac_f32_e32 v6, v2, v7
	v_fma_f32 v5, -v2, v8, v5
	v_fmac_f32_e32 v6, v1, v8
	global_store_dwordx2 v[3:4], v[5:6], off
.LBB389_39:
	s_endpgm
	.section	.rodata,"a",@progbits
	.p2align	6, 0x0
	.amdhsa_kernel _ZN9rocsparseL20bsrxmvn_17_32_kernelILj22E21rocsparse_complex_numIfEiifS2_S2_EEvT2_20rocsparse_direction_NS_24const_host_device_scalarIT0_EES3_PKS3_PKT1_SC_S9_PKT3_PKT4_S7_PT5_21rocsparse_index_base_b
		.amdhsa_group_segment_fixed_size 3872
		.amdhsa_private_segment_fixed_size 0
		.amdhsa_kernarg_size 96
		.amdhsa_user_sgpr_count 6
		.amdhsa_user_sgpr_private_segment_buffer 1
		.amdhsa_user_sgpr_dispatch_ptr 0
		.amdhsa_user_sgpr_queue_ptr 0
		.amdhsa_user_sgpr_kernarg_segment_ptr 1
		.amdhsa_user_sgpr_dispatch_id 0
		.amdhsa_user_sgpr_flat_scratch_init 0
		.amdhsa_user_sgpr_private_segment_size 0
		.amdhsa_uses_dynamic_stack 0
		.amdhsa_system_sgpr_private_segment_wavefront_offset 0
		.amdhsa_system_sgpr_workgroup_id_x 1
		.amdhsa_system_sgpr_workgroup_id_y 0
		.amdhsa_system_sgpr_workgroup_id_z 0
		.amdhsa_system_sgpr_workgroup_info 0
		.amdhsa_system_vgpr_workitem_id 0
		.amdhsa_next_free_vgpr 16
		.amdhsa_next_free_sgpr 18
		.amdhsa_reserve_vcc 1
		.amdhsa_reserve_flat_scratch 0
		.amdhsa_float_round_mode_32 0
		.amdhsa_float_round_mode_16_64 0
		.amdhsa_float_denorm_mode_32 3
		.amdhsa_float_denorm_mode_16_64 3
		.amdhsa_dx10_clamp 1
		.amdhsa_ieee_mode 1
		.amdhsa_fp16_overflow 0
		.amdhsa_exception_fp_ieee_invalid_op 0
		.amdhsa_exception_fp_denorm_src 0
		.amdhsa_exception_fp_ieee_div_zero 0
		.amdhsa_exception_fp_ieee_overflow 0
		.amdhsa_exception_fp_ieee_underflow 0
		.amdhsa_exception_fp_ieee_inexact 0
		.amdhsa_exception_int_div_zero 0
	.end_amdhsa_kernel
	.section	.text._ZN9rocsparseL20bsrxmvn_17_32_kernelILj22E21rocsparse_complex_numIfEiifS2_S2_EEvT2_20rocsparse_direction_NS_24const_host_device_scalarIT0_EES3_PKS3_PKT1_SC_S9_PKT3_PKT4_S7_PT5_21rocsparse_index_base_b,"axG",@progbits,_ZN9rocsparseL20bsrxmvn_17_32_kernelILj22E21rocsparse_complex_numIfEiifS2_S2_EEvT2_20rocsparse_direction_NS_24const_host_device_scalarIT0_EES3_PKS3_PKT1_SC_S9_PKT3_PKT4_S7_PT5_21rocsparse_index_base_b,comdat
.Lfunc_end389:
	.size	_ZN9rocsparseL20bsrxmvn_17_32_kernelILj22E21rocsparse_complex_numIfEiifS2_S2_EEvT2_20rocsparse_direction_NS_24const_host_device_scalarIT0_EES3_PKS3_PKT1_SC_S9_PKT3_PKT4_S7_PT5_21rocsparse_index_base_b, .Lfunc_end389-_ZN9rocsparseL20bsrxmvn_17_32_kernelILj22E21rocsparse_complex_numIfEiifS2_S2_EEvT2_20rocsparse_direction_NS_24const_host_device_scalarIT0_EES3_PKS3_PKT1_SC_S9_PKT3_PKT4_S7_PT5_21rocsparse_index_base_b
                                        ; -- End function
	.set _ZN9rocsparseL20bsrxmvn_17_32_kernelILj22E21rocsparse_complex_numIfEiifS2_S2_EEvT2_20rocsparse_direction_NS_24const_host_device_scalarIT0_EES3_PKS3_PKT1_SC_S9_PKT3_PKT4_S7_PT5_21rocsparse_index_base_b.num_vgpr, 16
	.set _ZN9rocsparseL20bsrxmvn_17_32_kernelILj22E21rocsparse_complex_numIfEiifS2_S2_EEvT2_20rocsparse_direction_NS_24const_host_device_scalarIT0_EES3_PKS3_PKT1_SC_S9_PKT3_PKT4_S7_PT5_21rocsparse_index_base_b.num_agpr, 0
	.set _ZN9rocsparseL20bsrxmvn_17_32_kernelILj22E21rocsparse_complex_numIfEiifS2_S2_EEvT2_20rocsparse_direction_NS_24const_host_device_scalarIT0_EES3_PKS3_PKT1_SC_S9_PKT3_PKT4_S7_PT5_21rocsparse_index_base_b.numbered_sgpr, 18
	.set _ZN9rocsparseL20bsrxmvn_17_32_kernelILj22E21rocsparse_complex_numIfEiifS2_S2_EEvT2_20rocsparse_direction_NS_24const_host_device_scalarIT0_EES3_PKS3_PKT1_SC_S9_PKT3_PKT4_S7_PT5_21rocsparse_index_base_b.num_named_barrier, 0
	.set _ZN9rocsparseL20bsrxmvn_17_32_kernelILj22E21rocsparse_complex_numIfEiifS2_S2_EEvT2_20rocsparse_direction_NS_24const_host_device_scalarIT0_EES3_PKS3_PKT1_SC_S9_PKT3_PKT4_S7_PT5_21rocsparse_index_base_b.private_seg_size, 0
	.set _ZN9rocsparseL20bsrxmvn_17_32_kernelILj22E21rocsparse_complex_numIfEiifS2_S2_EEvT2_20rocsparse_direction_NS_24const_host_device_scalarIT0_EES3_PKS3_PKT1_SC_S9_PKT3_PKT4_S7_PT5_21rocsparse_index_base_b.uses_vcc, 1
	.set _ZN9rocsparseL20bsrxmvn_17_32_kernelILj22E21rocsparse_complex_numIfEiifS2_S2_EEvT2_20rocsparse_direction_NS_24const_host_device_scalarIT0_EES3_PKS3_PKT1_SC_S9_PKT3_PKT4_S7_PT5_21rocsparse_index_base_b.uses_flat_scratch, 0
	.set _ZN9rocsparseL20bsrxmvn_17_32_kernelILj22E21rocsparse_complex_numIfEiifS2_S2_EEvT2_20rocsparse_direction_NS_24const_host_device_scalarIT0_EES3_PKS3_PKT1_SC_S9_PKT3_PKT4_S7_PT5_21rocsparse_index_base_b.has_dyn_sized_stack, 0
	.set _ZN9rocsparseL20bsrxmvn_17_32_kernelILj22E21rocsparse_complex_numIfEiifS2_S2_EEvT2_20rocsparse_direction_NS_24const_host_device_scalarIT0_EES3_PKS3_PKT1_SC_S9_PKT3_PKT4_S7_PT5_21rocsparse_index_base_b.has_recursion, 0
	.set _ZN9rocsparseL20bsrxmvn_17_32_kernelILj22E21rocsparse_complex_numIfEiifS2_S2_EEvT2_20rocsparse_direction_NS_24const_host_device_scalarIT0_EES3_PKS3_PKT1_SC_S9_PKT3_PKT4_S7_PT5_21rocsparse_index_base_b.has_indirect_call, 0
	.section	.AMDGPU.csdata,"",@progbits
; Kernel info:
; codeLenInByte = 1408
; TotalNumSgprs: 22
; NumVgprs: 16
; ScratchSize: 0
; MemoryBound: 0
; FloatMode: 240
; IeeeMode: 1
; LDSByteSize: 3872 bytes/workgroup (compile time only)
; SGPRBlocks: 2
; VGPRBlocks: 3
; NumSGPRsForWavesPerEU: 22
; NumVGPRsForWavesPerEU: 16
; Occupancy: 10
; WaveLimiterHint : 1
; COMPUTE_PGM_RSRC2:SCRATCH_EN: 0
; COMPUTE_PGM_RSRC2:USER_SGPR: 6
; COMPUTE_PGM_RSRC2:TRAP_HANDLER: 0
; COMPUTE_PGM_RSRC2:TGID_X_EN: 1
; COMPUTE_PGM_RSRC2:TGID_Y_EN: 0
; COMPUTE_PGM_RSRC2:TGID_Z_EN: 0
; COMPUTE_PGM_RSRC2:TIDIG_COMP_CNT: 0
	.section	.text._ZN9rocsparseL20bsrxmvn_17_32_kernelILj23E21rocsparse_complex_numIfEiifS2_S2_EEvT2_20rocsparse_direction_NS_24const_host_device_scalarIT0_EES3_PKS3_PKT1_SC_S9_PKT3_PKT4_S7_PT5_21rocsparse_index_base_b,"axG",@progbits,_ZN9rocsparseL20bsrxmvn_17_32_kernelILj23E21rocsparse_complex_numIfEiifS2_S2_EEvT2_20rocsparse_direction_NS_24const_host_device_scalarIT0_EES3_PKS3_PKT1_SC_S9_PKT3_PKT4_S7_PT5_21rocsparse_index_base_b,comdat
	.globl	_ZN9rocsparseL20bsrxmvn_17_32_kernelILj23E21rocsparse_complex_numIfEiifS2_S2_EEvT2_20rocsparse_direction_NS_24const_host_device_scalarIT0_EES3_PKS3_PKT1_SC_S9_PKT3_PKT4_S7_PT5_21rocsparse_index_base_b ; -- Begin function _ZN9rocsparseL20bsrxmvn_17_32_kernelILj23E21rocsparse_complex_numIfEiifS2_S2_EEvT2_20rocsparse_direction_NS_24const_host_device_scalarIT0_EES3_PKS3_PKT1_SC_S9_PKT3_PKT4_S7_PT5_21rocsparse_index_base_b
	.p2align	8
	.type	_ZN9rocsparseL20bsrxmvn_17_32_kernelILj23E21rocsparse_complex_numIfEiifS2_S2_EEvT2_20rocsparse_direction_NS_24const_host_device_scalarIT0_EES3_PKS3_PKT1_SC_S9_PKT3_PKT4_S7_PT5_21rocsparse_index_base_b,@function
_ZN9rocsparseL20bsrxmvn_17_32_kernelILj23E21rocsparse_complex_numIfEiifS2_S2_EEvT2_20rocsparse_direction_NS_24const_host_device_scalarIT0_EES3_PKS3_PKT1_SC_S9_PKT3_PKT4_S7_PT5_21rocsparse_index_base_b: ; @_ZN9rocsparseL20bsrxmvn_17_32_kernelILj23E21rocsparse_complex_numIfEiifS2_S2_EEvT2_20rocsparse_direction_NS_24const_host_device_scalarIT0_EES3_PKS3_PKT1_SC_S9_PKT3_PKT4_S7_PT5_21rocsparse_index_base_b
; %bb.0:
	s_load_dwordx2 s[0:1], s[4:5], 0x8
	s_load_dwordx2 s[14:15], s[4:5], 0x58
	s_add_u32 s7, s4, 8
	s_addc_u32 s8, s5, 0
	s_add_u32 s9, s4, 0x48
	s_load_dwordx2 s[2:3], s[4:5], 0x48
	s_addc_u32 s10, s5, 0
	s_waitcnt lgkmcnt(0)
	s_bitcmp1_b32 s15, 0
	s_cselect_b32 s1, s8, s1
	s_cselect_b32 s0, s7, s0
	v_mov_b32_e32 v1, s0
	v_mov_b32_e32 v2, s1
	flat_load_dwordx2 v[3:4], v[1:2]
	s_cselect_b32 s0, s10, s3
	s_cselect_b32 s1, s9, s2
	v_mov_b32_e32 v1, s1
	v_mov_b32_e32 v2, s0
	flat_load_dwordx2 v[1:2], v[1:2]
	s_waitcnt vmcnt(0) lgkmcnt(0)
	v_cmp_eq_f32_e32 vcc, 0, v3
	v_cmp_eq_f32_e64 s[0:1], 0, v4
	s_and_b64 s[8:9], vcc, s[0:1]
	s_mov_b64 s[0:1], -1
	s_and_saveexec_b64 s[2:3], s[8:9]
; %bb.1:
	v_cmp_neq_f32_e32 vcc, 1.0, v1
	v_cmp_neq_f32_e64 s[0:1], 0, v2
	s_or_b64 s[0:1], vcc, s[0:1]
	s_orn2_b64 s[0:1], s[0:1], exec
; %bb.2:
	s_or_b64 exec, exec, s[2:3]
	s_and_saveexec_b64 s[2:3], s[0:1]
	s_cbranch_execz .LBB390_39
; %bb.3:
	s_load_dwordx4 s[0:3], s[4:5], 0x18
	s_load_dwordx2 s[8:9], s[4:5], 0x28
	s_waitcnt lgkmcnt(0)
	s_cmp_eq_u64 s[0:1], 0
	s_cbranch_scc1 .LBB390_5
; %bb.4:
	s_ashr_i32 s7, s6, 31
	s_lshl_b64 s[6:7], s[6:7], 2
	s_add_u32 s0, s0, s6
	s_addc_u32 s1, s1, s7
	s_load_dword s0, s[0:1], 0x0
	s_waitcnt lgkmcnt(0)
	s_sub_i32 s6, s0, s14
.LBB390_5:
	s_load_dword s0, s[4:5], 0x4
	s_load_dwordx2 s[12:13], s[4:5], 0x50
	v_mul_u32_u24_e32 v7, 0xb22, v0
	v_mov_b32_e32 v5, 23
	v_mul_lo_u16_sdwa v5, v7, v5 dst_sel:DWORD dst_unused:UNUSED_PAD src0_sel:WORD_1 src1_sel:DWORD
	s_waitcnt lgkmcnt(0)
	s_cmp_eq_u32 s0, 1
	s_cselect_b64 vcc, -1, 0
	s_cmp_lg_u32 s0, 1
	s_cselect_b64 s[16:17], -1, 0
	s_ashr_i32 s7, s6, 31
	s_lshl_b64 s[0:1], s[6:7], 2
	s_add_u32 s2, s2, s0
	s_addc_u32 s3, s3, s1
	s_load_dword s7, s[2:3], 0x0
	s_add_u32 s2, s2, 4
	s_addc_u32 s3, s3, 0
	s_add_u32 s0, s8, s0
	s_addc_u32 s1, s9, s1
	s_cmp_eq_u64 s[8:9], 0
	s_cselect_b32 s1, s3, s1
	s_cselect_b32 s0, s2, s0
	s_load_dword s0, s[0:1], 0x0
	v_sub_u16_e32 v12, v0, v5
	v_mov_b32_e32 v6, 0
	v_mov_b32_e32 v5, 0
	s_waitcnt lgkmcnt(0)
	s_cmp_ge_i32 s7, s0
	s_cbranch_scc1 .LBB390_10
; %bb.6:
	s_load_dwordx4 s[8:11], s[4:5], 0x30
	s_load_dwordx2 s[2:3], s[4:5], 0x40
	s_sub_i32 s4, s0, s14
	s_mov_b32 s0, 0xffff
	s_movk_i32 s1, 0x211
	v_and_b32_sdwa v5, s0, v7 dst_sel:DWORD dst_unused:UNUSED_PAD src0_sel:DWORD src1_sel:WORD_1
	v_subrev_u32_e32 v6, 23, v5
	v_cmp_gt_u32_e64 s[0:1], s1, v0
	s_sub_i32 s5, s7, s14
	v_cndmask_b32_e64 v5, v6, v5, s[0:1]
	s_mul_i32 s1, s5, 0x844
	s_mul_hi_i32 s0, s5, 0x844
	s_waitcnt lgkmcnt(0)
	s_add_u32 s1, s10, s1
	v_cndmask_b32_e32 v7, v12, v5, vcc
	s_addc_u32 s0, s11, s0
	v_lshlrev_b32_e32 v5, 2, v0
	v_mov_b32_e32 v9, s0
	v_add_co_u32_e32 v8, vcc, s1, v5
	v_addc_co_u32_e32 v9, vcc, 0, v9, vcc
	s_movk_i32 s0, 0x210
	v_mov_b32_e32 v6, 0
	v_cmp_lt_u32_e32 vcc, s0, v0
	v_cndmask_b32_e64 v13, 0, 1, vcc
	v_mov_b32_e32 v5, v6
	s_branch .LBB390_8
.LBB390_7:                              ;   in Loop: Header=BB390_8 Depth=1
	s_or_b64 exec, exec, s[0:1]
	s_add_i32 s5, s5, 1
	s_cmp_lt_i32 s5, s4
	s_cbranch_scc0 .LBB390_10
.LBB390_8:                              ; =>This Inner Loop Header: Depth=1
	v_add_u32_e32 v10, s5, v13
	v_cmp_gt_i32_e32 vcc, s4, v10
	s_and_saveexec_b64 s[0:1], vcc
	s_cbranch_execz .LBB390_7
; %bb.9:                                ;   in Loop: Header=BB390_8 Depth=1
	v_ashrrev_i32_e32 v11, 31, v10
	v_lshlrev_b64 v[10:11], 2, v[10:11]
	v_mov_b32_e32 v14, s9
	v_add_co_u32_e32 v10, vcc, s8, v10
	v_addc_co_u32_e32 v11, vcc, v14, v11, vcc
	global_load_dword v10, v[10:11], off
	v_mov_b32_e32 v15, s3
	global_load_dword v14, v[8:9], off
	s_waitcnt vmcnt(1)
	v_subrev_u32_e32 v10, s14, v10
	v_mad_u64_u32 v[10:11], s[10:11], v10, 23, v[7:8]
	v_ashrrev_i32_e32 v11, 31, v10
	v_lshlrev_b64 v[10:11], 3, v[10:11]
	v_add_co_u32_e32 v10, vcc, s2, v10
	v_addc_co_u32_e32 v11, vcc, v15, v11, vcc
	global_load_dwordx2 v[10:11], v[10:11], off
	v_add_co_u32_e32 v8, vcc, 0x844, v8
	v_addc_co_u32_e32 v9, vcc, 0, v9, vcc
	s_waitcnt vmcnt(0)
	v_fmac_f32_e32 v5, v14, v10
	v_fmac_f32_e32 v6, 0, v10
	;; [unrolled: 1-line block ×4, first 2 shown]
	s_branch .LBB390_7
.LBB390_10:
	v_lshlrev_b32_e32 v7, 3, v0
	s_and_b64 vcc, exec, s[16:17]
	ds_write_b64 v7, v[5:6]
	s_waitcnt lgkmcnt(0)
	s_barrier
	s_cbranch_vccz .LBB390_22
; %bb.11:
	v_cmp_gt_u16_e32 vcc, 7, v12
	s_and_saveexec_b64 s[0:1], vcc
	s_cbranch_execz .LBB390_13
; %bb.12:
	ds_read2_b64 v[8:11], v7 offset1:16
	s_waitcnt lgkmcnt(0)
	v_add_f32_e32 v8, v10, v8
	v_add_f32_e32 v9, v11, v9
	ds_write_b64 v7, v[8:9]
.LBB390_13:
	s_or_b64 exec, exec, s[0:1]
	v_cmp_gt_u16_e32 vcc, 8, v12
	s_waitcnt lgkmcnt(0)
	s_barrier
	s_and_saveexec_b64 s[0:1], vcc
	s_cbranch_execz .LBB390_15
; %bb.14:
	ds_read2_b64 v[8:11], v7 offset1:8
	s_waitcnt lgkmcnt(0)
	v_add_f32_e32 v8, v10, v8
	v_add_f32_e32 v9, v11, v9
	ds_write_b64 v7, v[8:9]
.LBB390_15:
	s_or_b64 exec, exec, s[0:1]
	v_cmp_gt_u16_e32 vcc, 4, v12
	s_waitcnt lgkmcnt(0)
	s_barrier
	;; [unrolled: 13-line block ×3, first 2 shown]
	s_and_saveexec_b64 s[0:1], vcc
	s_cbranch_execz .LBB390_19
; %bb.18:
	ds_read2_b64 v[8:11], v7 offset1:2
	s_waitcnt lgkmcnt(0)
	v_add_f32_e32 v8, v10, v8
	v_add_f32_e32 v9, v11, v9
	ds_write_b64 v7, v[8:9]
.LBB390_19:
	s_or_b64 exec, exec, s[0:1]
	v_cmp_gt_u32_e32 vcc, 23, v0
	v_mov_b32_e32 v9, v6
	v_mov_b32_e32 v8, v5
	s_waitcnt lgkmcnt(0)
	s_barrier
	s_and_saveexec_b64 s[0:1], vcc
	s_cbranch_execz .LBB390_21
; %bb.20:
	s_movk_i32 s2, 0xb0
	v_mad_u32_u24 v8, v0, s2, v7
	ds_read2_b64 v[8:11], v8 offset1:1
	s_waitcnt lgkmcnt(0)
	v_add_f32_e32 v8, v10, v8
	v_add_f32_e32 v9, v11, v9
.LBB390_21:
	s_or_b64 exec, exec, s[0:1]
	s_branch .LBB390_34
.LBB390_22:
                                        ; implicit-def: $vgpr9
                                        ; implicit-def: $vgpr8
	s_cbranch_execz .LBB390_34
; %bb.23:
	s_movk_i32 s0, 0xa1
	v_cmp_gt_u32_e32 vcc, s0, v0
	s_and_saveexec_b64 s[0:1], vcc
	s_cbranch_execz .LBB390_25
; %bb.24:
	ds_read_b64 v[8:9], v7 offset:2944
	ds_read_b64 v[10:11], v7
	s_waitcnt lgkmcnt(0)
	v_add_f32_e32 v8, v8, v10
	v_add_f32_e32 v9, v9, v11
	ds_write_b64 v7, v[8:9]
.LBB390_25:
	s_or_b64 exec, exec, s[0:1]
	s_movk_i32 s0, 0xb8
	v_cmp_gt_u32_e32 vcc, s0, v0
	s_waitcnt lgkmcnt(0)
	s_barrier
	s_and_saveexec_b64 s[0:1], vcc
	s_cbranch_execz .LBB390_27
; %bb.26:
	ds_read2_b64 v[8:11], v7 offset1:184
	s_waitcnt lgkmcnt(0)
	v_add_f32_e32 v8, v10, v8
	v_add_f32_e32 v9, v11, v9
	ds_write_b64 v7, v[8:9]
.LBB390_27:
	s_or_b64 exec, exec, s[0:1]
	s_movk_i32 s0, 0x5c
	v_cmp_gt_u32_e32 vcc, s0, v0
	s_waitcnt lgkmcnt(0)
	s_barrier
	s_and_saveexec_b64 s[0:1], vcc
	s_cbranch_execz .LBB390_29
; %bb.28:
	ds_read2_b64 v[8:11], v7 offset1:92
	s_waitcnt lgkmcnt(0)
	v_add_f32_e32 v8, v10, v8
	v_add_f32_e32 v9, v11, v9
	ds_write_b64 v7, v[8:9]
.LBB390_29:
	s_or_b64 exec, exec, s[0:1]
	v_cmp_gt_u32_e32 vcc, 46, v0
	s_waitcnt lgkmcnt(0)
	s_barrier
	s_and_saveexec_b64 s[0:1], vcc
	s_cbranch_execz .LBB390_31
; %bb.30:
	ds_read2_b64 v[8:11], v7 offset1:46
	s_waitcnt lgkmcnt(0)
	v_add_f32_e32 v8, v10, v8
	v_add_f32_e32 v9, v11, v9
	ds_write_b64 v7, v[8:9]
.LBB390_31:
	s_or_b64 exec, exec, s[0:1]
	v_cmp_gt_u32_e32 vcc, 23, v0
	s_waitcnt lgkmcnt(0)
	s_and_saveexec_b64 s[0:1], vcc
	s_cbranch_execz .LBB390_33
; %bb.32:
	ds_read2_b64 v[5:8], v7 offset1:23
	s_waitcnt lgkmcnt(0)
	v_add_f32_e32 v5, v7, v5
	v_add_f32_e32 v6, v8, v6
.LBB390_33:
	s_or_b64 exec, exec, s[0:1]
	v_mov_b32_e32 v9, v6
	v_mov_b32_e32 v8, v5
.LBB390_34:
	v_cmp_gt_u32_e32 vcc, 23, v0
	s_and_b64 exec, exec, vcc
	s_cbranch_execz .LBB390_39
; %bb.35:
	v_cmp_eq_f32_e32 vcc, 0, v1
	v_cmp_eq_f32_e64 s[0:1], 0, v2
	v_mul_f32_e64 v5, v9, -v4
	v_mul_f32_e32 v6, v3, v9
	s_and_b64 s[0:1], vcc, s[0:1]
	v_fmac_f32_e32 v5, v3, v8
	v_fmac_f32_e32 v6, v4, v8
	s_and_saveexec_b64 s[2:3], s[0:1]
	s_xor_b64 s[0:1], exec, s[2:3]
	s_cbranch_execz .LBB390_37
; %bb.36:
	v_mad_u64_u32 v[0:1], s[2:3], s6, 23, v[0:1]
	v_mov_b32_e32 v1, 0
	v_mov_b32_e32 v2, s13
	v_lshlrev_b64 v[0:1], 3, v[0:1]
	v_add_co_u32_e32 v0, vcc, s12, v0
	v_addc_co_u32_e32 v1, vcc, v2, v1, vcc
	global_store_dwordx2 v[0:1], v[5:6], off
                                        ; implicit-def: $vgpr0
                                        ; implicit-def: $vgpr1_vgpr2
                                        ; implicit-def: $vgpr5
.LBB390_37:
	s_andn2_saveexec_b64 s[0:1], s[0:1]
	s_cbranch_execz .LBB390_39
; %bb.38:
	v_mad_u64_u32 v[3:4], s[0:1], s6, 23, v[0:1]
	v_mov_b32_e32 v4, 0
	v_mov_b32_e32 v0, s13
	v_lshlrev_b64 v[3:4], 3, v[3:4]
	v_add_co_u32_e32 v3, vcc, s12, v3
	v_addc_co_u32_e32 v4, vcc, v0, v4, vcc
	global_load_dwordx2 v[7:8], v[3:4], off
	s_waitcnt vmcnt(0)
	v_fmac_f32_e32 v5, v1, v7
	v_fmac_f32_e32 v6, v2, v7
	v_fma_f32 v5, -v2, v8, v5
	v_fmac_f32_e32 v6, v1, v8
	global_store_dwordx2 v[3:4], v[5:6], off
.LBB390_39:
	s_endpgm
	.section	.rodata,"a",@progbits
	.p2align	6, 0x0
	.amdhsa_kernel _ZN9rocsparseL20bsrxmvn_17_32_kernelILj23E21rocsparse_complex_numIfEiifS2_S2_EEvT2_20rocsparse_direction_NS_24const_host_device_scalarIT0_EES3_PKS3_PKT1_SC_S9_PKT3_PKT4_S7_PT5_21rocsparse_index_base_b
		.amdhsa_group_segment_fixed_size 4232
		.amdhsa_private_segment_fixed_size 0
		.amdhsa_kernarg_size 96
		.amdhsa_user_sgpr_count 6
		.amdhsa_user_sgpr_private_segment_buffer 1
		.amdhsa_user_sgpr_dispatch_ptr 0
		.amdhsa_user_sgpr_queue_ptr 0
		.amdhsa_user_sgpr_kernarg_segment_ptr 1
		.amdhsa_user_sgpr_dispatch_id 0
		.amdhsa_user_sgpr_flat_scratch_init 0
		.amdhsa_user_sgpr_private_segment_size 0
		.amdhsa_uses_dynamic_stack 0
		.amdhsa_system_sgpr_private_segment_wavefront_offset 0
		.amdhsa_system_sgpr_workgroup_id_x 1
		.amdhsa_system_sgpr_workgroup_id_y 0
		.amdhsa_system_sgpr_workgroup_id_z 0
		.amdhsa_system_sgpr_workgroup_info 0
		.amdhsa_system_vgpr_workitem_id 0
		.amdhsa_next_free_vgpr 25
		.amdhsa_next_free_sgpr 61
		.amdhsa_reserve_vcc 1
		.amdhsa_reserve_flat_scratch 0
		.amdhsa_float_round_mode_32 0
		.amdhsa_float_round_mode_16_64 0
		.amdhsa_float_denorm_mode_32 3
		.amdhsa_float_denorm_mode_16_64 3
		.amdhsa_dx10_clamp 1
		.amdhsa_ieee_mode 1
		.amdhsa_fp16_overflow 0
		.amdhsa_exception_fp_ieee_invalid_op 0
		.amdhsa_exception_fp_denorm_src 0
		.amdhsa_exception_fp_ieee_div_zero 0
		.amdhsa_exception_fp_ieee_overflow 0
		.amdhsa_exception_fp_ieee_underflow 0
		.amdhsa_exception_fp_ieee_inexact 0
		.amdhsa_exception_int_div_zero 0
	.end_amdhsa_kernel
	.section	.text._ZN9rocsparseL20bsrxmvn_17_32_kernelILj23E21rocsparse_complex_numIfEiifS2_S2_EEvT2_20rocsparse_direction_NS_24const_host_device_scalarIT0_EES3_PKS3_PKT1_SC_S9_PKT3_PKT4_S7_PT5_21rocsparse_index_base_b,"axG",@progbits,_ZN9rocsparseL20bsrxmvn_17_32_kernelILj23E21rocsparse_complex_numIfEiifS2_S2_EEvT2_20rocsparse_direction_NS_24const_host_device_scalarIT0_EES3_PKS3_PKT1_SC_S9_PKT3_PKT4_S7_PT5_21rocsparse_index_base_b,comdat
.Lfunc_end390:
	.size	_ZN9rocsparseL20bsrxmvn_17_32_kernelILj23E21rocsparse_complex_numIfEiifS2_S2_EEvT2_20rocsparse_direction_NS_24const_host_device_scalarIT0_EES3_PKS3_PKT1_SC_S9_PKT3_PKT4_S7_PT5_21rocsparse_index_base_b, .Lfunc_end390-_ZN9rocsparseL20bsrxmvn_17_32_kernelILj23E21rocsparse_complex_numIfEiifS2_S2_EEvT2_20rocsparse_direction_NS_24const_host_device_scalarIT0_EES3_PKS3_PKT1_SC_S9_PKT3_PKT4_S7_PT5_21rocsparse_index_base_b
                                        ; -- End function
	.set _ZN9rocsparseL20bsrxmvn_17_32_kernelILj23E21rocsparse_complex_numIfEiifS2_S2_EEvT2_20rocsparse_direction_NS_24const_host_device_scalarIT0_EES3_PKS3_PKT1_SC_S9_PKT3_PKT4_S7_PT5_21rocsparse_index_base_b.num_vgpr, 16
	.set _ZN9rocsparseL20bsrxmvn_17_32_kernelILj23E21rocsparse_complex_numIfEiifS2_S2_EEvT2_20rocsparse_direction_NS_24const_host_device_scalarIT0_EES3_PKS3_PKT1_SC_S9_PKT3_PKT4_S7_PT5_21rocsparse_index_base_b.num_agpr, 0
	.set _ZN9rocsparseL20bsrxmvn_17_32_kernelILj23E21rocsparse_complex_numIfEiifS2_S2_EEvT2_20rocsparse_direction_NS_24const_host_device_scalarIT0_EES3_PKS3_PKT1_SC_S9_PKT3_PKT4_S7_PT5_21rocsparse_index_base_b.numbered_sgpr, 18
	.set _ZN9rocsparseL20bsrxmvn_17_32_kernelILj23E21rocsparse_complex_numIfEiifS2_S2_EEvT2_20rocsparse_direction_NS_24const_host_device_scalarIT0_EES3_PKS3_PKT1_SC_S9_PKT3_PKT4_S7_PT5_21rocsparse_index_base_b.num_named_barrier, 0
	.set _ZN9rocsparseL20bsrxmvn_17_32_kernelILj23E21rocsparse_complex_numIfEiifS2_S2_EEvT2_20rocsparse_direction_NS_24const_host_device_scalarIT0_EES3_PKS3_PKT1_SC_S9_PKT3_PKT4_S7_PT5_21rocsparse_index_base_b.private_seg_size, 0
	.set _ZN9rocsparseL20bsrxmvn_17_32_kernelILj23E21rocsparse_complex_numIfEiifS2_S2_EEvT2_20rocsparse_direction_NS_24const_host_device_scalarIT0_EES3_PKS3_PKT1_SC_S9_PKT3_PKT4_S7_PT5_21rocsparse_index_base_b.uses_vcc, 1
	.set _ZN9rocsparseL20bsrxmvn_17_32_kernelILj23E21rocsparse_complex_numIfEiifS2_S2_EEvT2_20rocsparse_direction_NS_24const_host_device_scalarIT0_EES3_PKS3_PKT1_SC_S9_PKT3_PKT4_S7_PT5_21rocsparse_index_base_b.uses_flat_scratch, 0
	.set _ZN9rocsparseL20bsrxmvn_17_32_kernelILj23E21rocsparse_complex_numIfEiifS2_S2_EEvT2_20rocsparse_direction_NS_24const_host_device_scalarIT0_EES3_PKS3_PKT1_SC_S9_PKT3_PKT4_S7_PT5_21rocsparse_index_base_b.has_dyn_sized_stack, 0
	.set _ZN9rocsparseL20bsrxmvn_17_32_kernelILj23E21rocsparse_complex_numIfEiifS2_S2_EEvT2_20rocsparse_direction_NS_24const_host_device_scalarIT0_EES3_PKS3_PKT1_SC_S9_PKT3_PKT4_S7_PT5_21rocsparse_index_base_b.has_recursion, 0
	.set _ZN9rocsparseL20bsrxmvn_17_32_kernelILj23E21rocsparse_complex_numIfEiifS2_S2_EEvT2_20rocsparse_direction_NS_24const_host_device_scalarIT0_EES3_PKS3_PKT1_SC_S9_PKT3_PKT4_S7_PT5_21rocsparse_index_base_b.has_indirect_call, 0
	.section	.AMDGPU.csdata,"",@progbits
; Kernel info:
; codeLenInByte = 1412
; TotalNumSgprs: 22
; NumVgprs: 16
; ScratchSize: 0
; MemoryBound: 0
; FloatMode: 240
; IeeeMode: 1
; LDSByteSize: 4232 bytes/workgroup (compile time only)
; SGPRBlocks: 8
; VGPRBlocks: 6
; NumSGPRsForWavesPerEU: 65
; NumVGPRsForWavesPerEU: 25
; Occupancy: 9
; WaveLimiterHint : 1
; COMPUTE_PGM_RSRC2:SCRATCH_EN: 0
; COMPUTE_PGM_RSRC2:USER_SGPR: 6
; COMPUTE_PGM_RSRC2:TRAP_HANDLER: 0
; COMPUTE_PGM_RSRC2:TGID_X_EN: 1
; COMPUTE_PGM_RSRC2:TGID_Y_EN: 0
; COMPUTE_PGM_RSRC2:TGID_Z_EN: 0
; COMPUTE_PGM_RSRC2:TIDIG_COMP_CNT: 0
	.section	.text._ZN9rocsparseL20bsrxmvn_17_32_kernelILj24E21rocsparse_complex_numIfEiifS2_S2_EEvT2_20rocsparse_direction_NS_24const_host_device_scalarIT0_EES3_PKS3_PKT1_SC_S9_PKT3_PKT4_S7_PT5_21rocsparse_index_base_b,"axG",@progbits,_ZN9rocsparseL20bsrxmvn_17_32_kernelILj24E21rocsparse_complex_numIfEiifS2_S2_EEvT2_20rocsparse_direction_NS_24const_host_device_scalarIT0_EES3_PKS3_PKT1_SC_S9_PKT3_PKT4_S7_PT5_21rocsparse_index_base_b,comdat
	.globl	_ZN9rocsparseL20bsrxmvn_17_32_kernelILj24E21rocsparse_complex_numIfEiifS2_S2_EEvT2_20rocsparse_direction_NS_24const_host_device_scalarIT0_EES3_PKS3_PKT1_SC_S9_PKT3_PKT4_S7_PT5_21rocsparse_index_base_b ; -- Begin function _ZN9rocsparseL20bsrxmvn_17_32_kernelILj24E21rocsparse_complex_numIfEiifS2_S2_EEvT2_20rocsparse_direction_NS_24const_host_device_scalarIT0_EES3_PKS3_PKT1_SC_S9_PKT3_PKT4_S7_PT5_21rocsparse_index_base_b
	.p2align	8
	.type	_ZN9rocsparseL20bsrxmvn_17_32_kernelILj24E21rocsparse_complex_numIfEiifS2_S2_EEvT2_20rocsparse_direction_NS_24const_host_device_scalarIT0_EES3_PKS3_PKT1_SC_S9_PKT3_PKT4_S7_PT5_21rocsparse_index_base_b,@function
_ZN9rocsparseL20bsrxmvn_17_32_kernelILj24E21rocsparse_complex_numIfEiifS2_S2_EEvT2_20rocsparse_direction_NS_24const_host_device_scalarIT0_EES3_PKS3_PKT1_SC_S9_PKT3_PKT4_S7_PT5_21rocsparse_index_base_b: ; @_ZN9rocsparseL20bsrxmvn_17_32_kernelILj24E21rocsparse_complex_numIfEiifS2_S2_EEvT2_20rocsparse_direction_NS_24const_host_device_scalarIT0_EES3_PKS3_PKT1_SC_S9_PKT3_PKT4_S7_PT5_21rocsparse_index_base_b
; %bb.0:
	s_load_dwordx2 s[0:1], s[4:5], 0x8
	s_load_dwordx2 s[14:15], s[4:5], 0x58
	s_add_u32 s7, s4, 8
	s_addc_u32 s8, s5, 0
	s_add_u32 s9, s4, 0x48
	s_load_dwordx2 s[2:3], s[4:5], 0x48
	s_addc_u32 s10, s5, 0
	s_waitcnt lgkmcnt(0)
	s_bitcmp1_b32 s15, 0
	s_cselect_b32 s1, s8, s1
	s_cselect_b32 s0, s7, s0
	v_mov_b32_e32 v1, s0
	v_mov_b32_e32 v2, s1
	flat_load_dwordx2 v[3:4], v[1:2]
	s_cselect_b32 s0, s10, s3
	s_cselect_b32 s1, s9, s2
	v_mov_b32_e32 v1, s1
	v_mov_b32_e32 v2, s0
	flat_load_dwordx2 v[1:2], v[1:2]
	s_waitcnt vmcnt(0) lgkmcnt(0)
	v_cmp_eq_f32_e32 vcc, 0, v3
	v_cmp_eq_f32_e64 s[0:1], 0, v4
	s_and_b64 s[8:9], vcc, s[0:1]
	s_mov_b64 s[0:1], -1
	s_and_saveexec_b64 s[2:3], s[8:9]
; %bb.1:
	v_cmp_neq_f32_e32 vcc, 1.0, v1
	v_cmp_neq_f32_e64 s[0:1], 0, v2
	s_or_b64 s[0:1], vcc, s[0:1]
	s_orn2_b64 s[0:1], s[0:1], exec
; %bb.2:
	s_or_b64 exec, exec, s[2:3]
	s_and_saveexec_b64 s[2:3], s[0:1]
	s_cbranch_execz .LBB391_39
; %bb.3:
	s_load_dwordx4 s[0:3], s[4:5], 0x18
	s_load_dwordx2 s[8:9], s[4:5], 0x28
	s_waitcnt lgkmcnt(0)
	s_cmp_eq_u64 s[0:1], 0
	s_cbranch_scc1 .LBB391_5
; %bb.4:
	s_ashr_i32 s7, s6, 31
	s_lshl_b64 s[6:7], s[6:7], 2
	s_add_u32 s0, s0, s6
	s_addc_u32 s1, s1, s7
	s_load_dword s0, s[0:1], 0x0
	s_waitcnt lgkmcnt(0)
	s_sub_i32 s6, s0, s14
.LBB391_5:
	s_load_dword s0, s[4:5], 0x4
	s_load_dwordx2 s[12:13], s[4:5], 0x50
	v_mul_u32_u24_e32 v7, 0xaab, v0
	v_mov_b32_e32 v5, 24
	v_mul_lo_u16_sdwa v5, v7, v5 dst_sel:DWORD dst_unused:UNUSED_PAD src0_sel:WORD_1 src1_sel:DWORD
	s_waitcnt lgkmcnt(0)
	s_cmp_eq_u32 s0, 1
	s_cselect_b64 vcc, -1, 0
	s_cmp_lg_u32 s0, 1
	s_cselect_b64 s[16:17], -1, 0
	s_ashr_i32 s7, s6, 31
	s_lshl_b64 s[0:1], s[6:7], 2
	s_add_u32 s2, s2, s0
	s_addc_u32 s3, s3, s1
	s_load_dword s7, s[2:3], 0x0
	s_add_u32 s2, s2, 4
	s_addc_u32 s3, s3, 0
	s_add_u32 s0, s8, s0
	s_addc_u32 s1, s9, s1
	s_cmp_eq_u64 s[8:9], 0
	s_cselect_b32 s1, s3, s1
	s_cselect_b32 s0, s2, s0
	s_load_dword s0, s[0:1], 0x0
	v_sub_u16_e32 v12, v0, v5
	v_mov_b32_e32 v6, 0
	v_mov_b32_e32 v5, 0
	s_waitcnt lgkmcnt(0)
	s_cmp_ge_i32 s7, s0
	s_cbranch_scc1 .LBB391_10
; %bb.6:
	s_load_dwordx4 s[8:11], s[4:5], 0x30
	s_load_dwordx2 s[2:3], s[4:5], 0x40
	s_sub_i32 s4, s0, s14
	s_mov_b32 s0, 0xffff
	s_movk_i32 s1, 0x240
	v_and_b32_sdwa v5, s0, v7 dst_sel:DWORD dst_unused:UNUSED_PAD src0_sel:DWORD src1_sel:WORD_1
	v_subrev_u32_e32 v6, 24, v5
	v_cmp_gt_u32_e64 s[0:1], s1, v0
	s_sub_i32 s5, s7, s14
	v_cndmask_b32_e64 v5, v6, v5, s[0:1]
	s_mul_i32 s1, s5, 0x900
	s_mul_hi_i32 s0, s5, 0x900
	s_waitcnt lgkmcnt(0)
	s_add_u32 s1, s10, s1
	v_cndmask_b32_e32 v7, v12, v5, vcc
	s_addc_u32 s0, s11, s0
	v_lshlrev_b32_e32 v5, 2, v0
	v_mov_b32_e32 v9, s0
	v_add_co_u32_e32 v8, vcc, s1, v5
	v_addc_co_u32_e32 v9, vcc, 0, v9, vcc
	s_movk_i32 s0, 0x23f
	v_mov_b32_e32 v6, 0
	v_cmp_lt_u32_e32 vcc, s0, v0
	v_cndmask_b32_e64 v13, 0, 1, vcc
	v_mov_b32_e32 v5, v6
	s_branch .LBB391_8
.LBB391_7:                              ;   in Loop: Header=BB391_8 Depth=1
	s_or_b64 exec, exec, s[0:1]
	s_add_i32 s5, s5, 1
	s_cmp_lt_i32 s5, s4
	s_cbranch_scc0 .LBB391_10
.LBB391_8:                              ; =>This Inner Loop Header: Depth=1
	v_add_u32_e32 v10, s5, v13
	v_cmp_gt_i32_e32 vcc, s4, v10
	s_and_saveexec_b64 s[0:1], vcc
	s_cbranch_execz .LBB391_7
; %bb.9:                                ;   in Loop: Header=BB391_8 Depth=1
	v_ashrrev_i32_e32 v11, 31, v10
	v_lshlrev_b64 v[10:11], 2, v[10:11]
	v_mov_b32_e32 v14, s9
	v_add_co_u32_e32 v10, vcc, s8, v10
	v_addc_co_u32_e32 v11, vcc, v14, v11, vcc
	global_load_dword v10, v[10:11], off
	v_mov_b32_e32 v15, s3
	global_load_dword v14, v[8:9], off
	s_waitcnt vmcnt(1)
	v_subrev_u32_e32 v10, s14, v10
	v_mad_u64_u32 v[10:11], s[10:11], v10, 24, v[7:8]
	v_ashrrev_i32_e32 v11, 31, v10
	v_lshlrev_b64 v[10:11], 3, v[10:11]
	v_add_co_u32_e32 v10, vcc, s2, v10
	v_addc_co_u32_e32 v11, vcc, v15, v11, vcc
	global_load_dwordx2 v[10:11], v[10:11], off
	v_add_co_u32_e32 v8, vcc, 0x900, v8
	v_addc_co_u32_e32 v9, vcc, 0, v9, vcc
	s_waitcnt vmcnt(0)
	v_fmac_f32_e32 v5, v14, v10
	v_fmac_f32_e32 v6, 0, v10
	;; [unrolled: 1-line block ×4, first 2 shown]
	s_branch .LBB391_7
.LBB391_10:
	v_lshlrev_b32_e32 v7, 3, v0
	s_and_b64 vcc, exec, s[16:17]
	ds_write_b64 v7, v[5:6]
	s_waitcnt lgkmcnt(0)
	s_barrier
	s_cbranch_vccz .LBB391_22
; %bb.11:
	v_cmp_gt_u16_e32 vcc, 8, v12
	s_and_saveexec_b64 s[0:1], vcc
	s_cbranch_execz .LBB391_13
; %bb.12:
	ds_read2_b64 v[8:11], v7 offset1:16
	s_waitcnt lgkmcnt(0)
	v_add_f32_e32 v8, v10, v8
	v_add_f32_e32 v9, v11, v9
	ds_write_b64 v7, v[8:9]
.LBB391_13:
	s_or_b64 exec, exec, s[0:1]
	s_waitcnt lgkmcnt(0)
	s_barrier
	s_and_saveexec_b64 s[0:1], vcc
	s_cbranch_execz .LBB391_15
; %bb.14:
	ds_read2_b64 v[8:11], v7 offset1:8
	s_waitcnt lgkmcnt(0)
	v_add_f32_e32 v8, v10, v8
	v_add_f32_e32 v9, v11, v9
	ds_write_b64 v7, v[8:9]
.LBB391_15:
	s_or_b64 exec, exec, s[0:1]
	v_cmp_gt_u16_e32 vcc, 4, v12
	s_waitcnt lgkmcnt(0)
	s_barrier
	s_and_saveexec_b64 s[0:1], vcc
	s_cbranch_execz .LBB391_17
; %bb.16:
	ds_read2_b64 v[8:11], v7 offset1:4
	s_waitcnt lgkmcnt(0)
	v_add_f32_e32 v8, v10, v8
	v_add_f32_e32 v9, v11, v9
	ds_write_b64 v7, v[8:9]
.LBB391_17:
	s_or_b64 exec, exec, s[0:1]
	v_cmp_gt_u16_e32 vcc, 2, v12
	s_waitcnt lgkmcnt(0)
	s_barrier
	s_and_saveexec_b64 s[0:1], vcc
	s_cbranch_execz .LBB391_19
; %bb.18:
	ds_read2_b64 v[8:11], v7 offset1:2
	s_waitcnt lgkmcnt(0)
	v_add_f32_e32 v8, v10, v8
	v_add_f32_e32 v9, v11, v9
	ds_write_b64 v7, v[8:9]
.LBB391_19:
	s_or_b64 exec, exec, s[0:1]
	v_cmp_gt_u32_e32 vcc, 24, v0
	v_mov_b32_e32 v9, v6
	v_mov_b32_e32 v8, v5
	s_waitcnt lgkmcnt(0)
	s_barrier
	s_and_saveexec_b64 s[0:1], vcc
	s_cbranch_execz .LBB391_21
; %bb.20:
	s_movk_i32 s2, 0xb8
	v_mad_u32_u24 v8, v0, s2, v7
	ds_read2_b64 v[8:11], v8 offset1:1
	s_waitcnt lgkmcnt(0)
	v_add_f32_e32 v8, v10, v8
	v_add_f32_e32 v9, v11, v9
.LBB391_21:
	s_or_b64 exec, exec, s[0:1]
	s_branch .LBB391_34
.LBB391_22:
                                        ; implicit-def: $vgpr9
                                        ; implicit-def: $vgpr8
	s_cbranch_execz .LBB391_34
; %bb.23:
	s_movk_i32 s0, 0xc0
	v_cmp_gt_u32_e32 vcc, s0, v0
	s_and_saveexec_b64 s[0:1], vcc
	s_cbranch_execz .LBB391_25
; %bb.24:
	ds_read2st64_b64 v[8:11], v7 offset1:6
	s_waitcnt lgkmcnt(0)
	v_add_f32_e32 v8, v10, v8
	v_add_f32_e32 v9, v11, v9
	ds_write_b64 v7, v[8:9]
.LBB391_25:
	s_or_b64 exec, exec, s[0:1]
	s_waitcnt lgkmcnt(0)
	s_barrier
	s_and_saveexec_b64 s[0:1], vcc
	s_cbranch_execz .LBB391_27
; %bb.26:
	ds_read2st64_b64 v[8:11], v7 offset1:3
	s_waitcnt lgkmcnt(0)
	v_add_f32_e32 v8, v10, v8
	v_add_f32_e32 v9, v11, v9
	ds_write_b64 v7, v[8:9]
.LBB391_27:
	s_or_b64 exec, exec, s[0:1]
	s_movk_i32 s0, 0x60
	v_cmp_gt_u32_e32 vcc, s0, v0
	s_waitcnt lgkmcnt(0)
	s_barrier
	s_and_saveexec_b64 s[0:1], vcc
	s_cbranch_execz .LBB391_29
; %bb.28:
	ds_read2_b64 v[8:11], v7 offset1:96
	s_waitcnt lgkmcnt(0)
	v_add_f32_e32 v8, v10, v8
	v_add_f32_e32 v9, v11, v9
	ds_write_b64 v7, v[8:9]
.LBB391_29:
	s_or_b64 exec, exec, s[0:1]
	v_cmp_gt_u32_e32 vcc, 48, v0
	s_waitcnt lgkmcnt(0)
	s_barrier
	s_and_saveexec_b64 s[0:1], vcc
	s_cbranch_execz .LBB391_31
; %bb.30:
	ds_read2_b64 v[8:11], v7 offset1:48
	s_waitcnt lgkmcnt(0)
	v_add_f32_e32 v8, v10, v8
	v_add_f32_e32 v9, v11, v9
	ds_write_b64 v7, v[8:9]
.LBB391_31:
	s_or_b64 exec, exec, s[0:1]
	v_cmp_gt_u32_e32 vcc, 24, v0
	s_waitcnt lgkmcnt(0)
	s_and_saveexec_b64 s[0:1], vcc
	s_cbranch_execz .LBB391_33
; %bb.32:
	ds_read2_b64 v[5:8], v7 offset1:24
	s_waitcnt lgkmcnt(0)
	v_add_f32_e32 v5, v7, v5
	v_add_f32_e32 v6, v8, v6
.LBB391_33:
	s_or_b64 exec, exec, s[0:1]
	v_mov_b32_e32 v9, v6
	v_mov_b32_e32 v8, v5
.LBB391_34:
	v_cmp_gt_u32_e32 vcc, 24, v0
	s_and_b64 exec, exec, vcc
	s_cbranch_execz .LBB391_39
; %bb.35:
	v_cmp_eq_f32_e32 vcc, 0, v1
	v_cmp_eq_f32_e64 s[0:1], 0, v2
	v_mul_f32_e64 v5, v9, -v4
	v_mul_f32_e32 v6, v3, v9
	s_and_b64 s[0:1], vcc, s[0:1]
	v_fmac_f32_e32 v5, v3, v8
	v_fmac_f32_e32 v6, v4, v8
	s_and_saveexec_b64 s[2:3], s[0:1]
	s_xor_b64 s[0:1], exec, s[2:3]
	s_cbranch_execz .LBB391_37
; %bb.36:
	v_mad_u64_u32 v[0:1], s[2:3], s6, 24, v[0:1]
	v_mov_b32_e32 v1, 0
	v_mov_b32_e32 v2, s13
	v_lshlrev_b64 v[0:1], 3, v[0:1]
	v_add_co_u32_e32 v0, vcc, s12, v0
	v_addc_co_u32_e32 v1, vcc, v2, v1, vcc
	global_store_dwordx2 v[0:1], v[5:6], off
                                        ; implicit-def: $vgpr0
                                        ; implicit-def: $vgpr1_vgpr2
                                        ; implicit-def: $vgpr5
.LBB391_37:
	s_andn2_saveexec_b64 s[0:1], s[0:1]
	s_cbranch_execz .LBB391_39
; %bb.38:
	v_mad_u64_u32 v[3:4], s[0:1], s6, 24, v[0:1]
	v_mov_b32_e32 v4, 0
	v_mov_b32_e32 v0, s13
	v_lshlrev_b64 v[3:4], 3, v[3:4]
	v_add_co_u32_e32 v3, vcc, s12, v3
	v_addc_co_u32_e32 v4, vcc, v0, v4, vcc
	global_load_dwordx2 v[7:8], v[3:4], off
	s_waitcnt vmcnt(0)
	v_fmac_f32_e32 v5, v1, v7
	v_fmac_f32_e32 v6, v2, v7
	v_fma_f32 v5, -v2, v8, v5
	v_fmac_f32_e32 v6, v1, v8
	global_store_dwordx2 v[3:4], v[5:6], off
.LBB391_39:
	s_endpgm
	.section	.rodata,"a",@progbits
	.p2align	6, 0x0
	.amdhsa_kernel _ZN9rocsparseL20bsrxmvn_17_32_kernelILj24E21rocsparse_complex_numIfEiifS2_S2_EEvT2_20rocsparse_direction_NS_24const_host_device_scalarIT0_EES3_PKS3_PKT1_SC_S9_PKT3_PKT4_S7_PT5_21rocsparse_index_base_b
		.amdhsa_group_segment_fixed_size 4608
		.amdhsa_private_segment_fixed_size 0
		.amdhsa_kernarg_size 96
		.amdhsa_user_sgpr_count 6
		.amdhsa_user_sgpr_private_segment_buffer 1
		.amdhsa_user_sgpr_dispatch_ptr 0
		.amdhsa_user_sgpr_queue_ptr 0
		.amdhsa_user_sgpr_kernarg_segment_ptr 1
		.amdhsa_user_sgpr_dispatch_id 0
		.amdhsa_user_sgpr_flat_scratch_init 0
		.amdhsa_user_sgpr_private_segment_size 0
		.amdhsa_uses_dynamic_stack 0
		.amdhsa_system_sgpr_private_segment_wavefront_offset 0
		.amdhsa_system_sgpr_workgroup_id_x 1
		.amdhsa_system_sgpr_workgroup_id_y 0
		.amdhsa_system_sgpr_workgroup_id_z 0
		.amdhsa_system_sgpr_workgroup_info 0
		.amdhsa_system_vgpr_workitem_id 0
		.amdhsa_next_free_vgpr 25
		.amdhsa_next_free_sgpr 61
		.amdhsa_reserve_vcc 1
		.amdhsa_reserve_flat_scratch 0
		.amdhsa_float_round_mode_32 0
		.amdhsa_float_round_mode_16_64 0
		.amdhsa_float_denorm_mode_32 3
		.amdhsa_float_denorm_mode_16_64 3
		.amdhsa_dx10_clamp 1
		.amdhsa_ieee_mode 1
		.amdhsa_fp16_overflow 0
		.amdhsa_exception_fp_ieee_invalid_op 0
		.amdhsa_exception_fp_denorm_src 0
		.amdhsa_exception_fp_ieee_div_zero 0
		.amdhsa_exception_fp_ieee_overflow 0
		.amdhsa_exception_fp_ieee_underflow 0
		.amdhsa_exception_fp_ieee_inexact 0
		.amdhsa_exception_int_div_zero 0
	.end_amdhsa_kernel
	.section	.text._ZN9rocsparseL20bsrxmvn_17_32_kernelILj24E21rocsparse_complex_numIfEiifS2_S2_EEvT2_20rocsparse_direction_NS_24const_host_device_scalarIT0_EES3_PKS3_PKT1_SC_S9_PKT3_PKT4_S7_PT5_21rocsparse_index_base_b,"axG",@progbits,_ZN9rocsparseL20bsrxmvn_17_32_kernelILj24E21rocsparse_complex_numIfEiifS2_S2_EEvT2_20rocsparse_direction_NS_24const_host_device_scalarIT0_EES3_PKS3_PKT1_SC_S9_PKT3_PKT4_S7_PT5_21rocsparse_index_base_b,comdat
.Lfunc_end391:
	.size	_ZN9rocsparseL20bsrxmvn_17_32_kernelILj24E21rocsparse_complex_numIfEiifS2_S2_EEvT2_20rocsparse_direction_NS_24const_host_device_scalarIT0_EES3_PKS3_PKT1_SC_S9_PKT3_PKT4_S7_PT5_21rocsparse_index_base_b, .Lfunc_end391-_ZN9rocsparseL20bsrxmvn_17_32_kernelILj24E21rocsparse_complex_numIfEiifS2_S2_EEvT2_20rocsparse_direction_NS_24const_host_device_scalarIT0_EES3_PKS3_PKT1_SC_S9_PKT3_PKT4_S7_PT5_21rocsparse_index_base_b
                                        ; -- End function
	.set _ZN9rocsparseL20bsrxmvn_17_32_kernelILj24E21rocsparse_complex_numIfEiifS2_S2_EEvT2_20rocsparse_direction_NS_24const_host_device_scalarIT0_EES3_PKS3_PKT1_SC_S9_PKT3_PKT4_S7_PT5_21rocsparse_index_base_b.num_vgpr, 16
	.set _ZN9rocsparseL20bsrxmvn_17_32_kernelILj24E21rocsparse_complex_numIfEiifS2_S2_EEvT2_20rocsparse_direction_NS_24const_host_device_scalarIT0_EES3_PKS3_PKT1_SC_S9_PKT3_PKT4_S7_PT5_21rocsparse_index_base_b.num_agpr, 0
	.set _ZN9rocsparseL20bsrxmvn_17_32_kernelILj24E21rocsparse_complex_numIfEiifS2_S2_EEvT2_20rocsparse_direction_NS_24const_host_device_scalarIT0_EES3_PKS3_PKT1_SC_S9_PKT3_PKT4_S7_PT5_21rocsparse_index_base_b.numbered_sgpr, 18
	.set _ZN9rocsparseL20bsrxmvn_17_32_kernelILj24E21rocsparse_complex_numIfEiifS2_S2_EEvT2_20rocsparse_direction_NS_24const_host_device_scalarIT0_EES3_PKS3_PKT1_SC_S9_PKT3_PKT4_S7_PT5_21rocsparse_index_base_b.num_named_barrier, 0
	.set _ZN9rocsparseL20bsrxmvn_17_32_kernelILj24E21rocsparse_complex_numIfEiifS2_S2_EEvT2_20rocsparse_direction_NS_24const_host_device_scalarIT0_EES3_PKS3_PKT1_SC_S9_PKT3_PKT4_S7_PT5_21rocsparse_index_base_b.private_seg_size, 0
	.set _ZN9rocsparseL20bsrxmvn_17_32_kernelILj24E21rocsparse_complex_numIfEiifS2_S2_EEvT2_20rocsparse_direction_NS_24const_host_device_scalarIT0_EES3_PKS3_PKT1_SC_S9_PKT3_PKT4_S7_PT5_21rocsparse_index_base_b.uses_vcc, 1
	.set _ZN9rocsparseL20bsrxmvn_17_32_kernelILj24E21rocsparse_complex_numIfEiifS2_S2_EEvT2_20rocsparse_direction_NS_24const_host_device_scalarIT0_EES3_PKS3_PKT1_SC_S9_PKT3_PKT4_S7_PT5_21rocsparse_index_base_b.uses_flat_scratch, 0
	.set _ZN9rocsparseL20bsrxmvn_17_32_kernelILj24E21rocsparse_complex_numIfEiifS2_S2_EEvT2_20rocsparse_direction_NS_24const_host_device_scalarIT0_EES3_PKS3_PKT1_SC_S9_PKT3_PKT4_S7_PT5_21rocsparse_index_base_b.has_dyn_sized_stack, 0
	.set _ZN9rocsparseL20bsrxmvn_17_32_kernelILj24E21rocsparse_complex_numIfEiifS2_S2_EEvT2_20rocsparse_direction_NS_24const_host_device_scalarIT0_EES3_PKS3_PKT1_SC_S9_PKT3_PKT4_S7_PT5_21rocsparse_index_base_b.has_recursion, 0
	.set _ZN9rocsparseL20bsrxmvn_17_32_kernelILj24E21rocsparse_complex_numIfEiifS2_S2_EEvT2_20rocsparse_direction_NS_24const_host_device_scalarIT0_EES3_PKS3_PKT1_SC_S9_PKT3_PKT4_S7_PT5_21rocsparse_index_base_b.has_indirect_call, 0
	.section	.AMDGPU.csdata,"",@progbits
; Kernel info:
; codeLenInByte = 1392
; TotalNumSgprs: 22
; NumVgprs: 16
; ScratchSize: 0
; MemoryBound: 0
; FloatMode: 240
; IeeeMode: 1
; LDSByteSize: 4608 bytes/workgroup (compile time only)
; SGPRBlocks: 8
; VGPRBlocks: 6
; NumSGPRsForWavesPerEU: 65
; NumVGPRsForWavesPerEU: 25
; Occupancy: 9
; WaveLimiterHint : 1
; COMPUTE_PGM_RSRC2:SCRATCH_EN: 0
; COMPUTE_PGM_RSRC2:USER_SGPR: 6
; COMPUTE_PGM_RSRC2:TRAP_HANDLER: 0
; COMPUTE_PGM_RSRC2:TGID_X_EN: 1
; COMPUTE_PGM_RSRC2:TGID_Y_EN: 0
; COMPUTE_PGM_RSRC2:TGID_Z_EN: 0
; COMPUTE_PGM_RSRC2:TIDIG_COMP_CNT: 0
	.section	.text._ZN9rocsparseL20bsrxmvn_17_32_kernelILj25E21rocsparse_complex_numIfEiifS2_S2_EEvT2_20rocsparse_direction_NS_24const_host_device_scalarIT0_EES3_PKS3_PKT1_SC_S9_PKT3_PKT4_S7_PT5_21rocsparse_index_base_b,"axG",@progbits,_ZN9rocsparseL20bsrxmvn_17_32_kernelILj25E21rocsparse_complex_numIfEiifS2_S2_EEvT2_20rocsparse_direction_NS_24const_host_device_scalarIT0_EES3_PKS3_PKT1_SC_S9_PKT3_PKT4_S7_PT5_21rocsparse_index_base_b,comdat
	.globl	_ZN9rocsparseL20bsrxmvn_17_32_kernelILj25E21rocsparse_complex_numIfEiifS2_S2_EEvT2_20rocsparse_direction_NS_24const_host_device_scalarIT0_EES3_PKS3_PKT1_SC_S9_PKT3_PKT4_S7_PT5_21rocsparse_index_base_b ; -- Begin function _ZN9rocsparseL20bsrxmvn_17_32_kernelILj25E21rocsparse_complex_numIfEiifS2_S2_EEvT2_20rocsparse_direction_NS_24const_host_device_scalarIT0_EES3_PKS3_PKT1_SC_S9_PKT3_PKT4_S7_PT5_21rocsparse_index_base_b
	.p2align	8
	.type	_ZN9rocsparseL20bsrxmvn_17_32_kernelILj25E21rocsparse_complex_numIfEiifS2_S2_EEvT2_20rocsparse_direction_NS_24const_host_device_scalarIT0_EES3_PKS3_PKT1_SC_S9_PKT3_PKT4_S7_PT5_21rocsparse_index_base_b,@function
_ZN9rocsparseL20bsrxmvn_17_32_kernelILj25E21rocsparse_complex_numIfEiifS2_S2_EEvT2_20rocsparse_direction_NS_24const_host_device_scalarIT0_EES3_PKS3_PKT1_SC_S9_PKT3_PKT4_S7_PT5_21rocsparse_index_base_b: ; @_ZN9rocsparseL20bsrxmvn_17_32_kernelILj25E21rocsparse_complex_numIfEiifS2_S2_EEvT2_20rocsparse_direction_NS_24const_host_device_scalarIT0_EES3_PKS3_PKT1_SC_S9_PKT3_PKT4_S7_PT5_21rocsparse_index_base_b
; %bb.0:
	s_load_dwordx2 s[0:1], s[4:5], 0x8
	s_load_dwordx2 s[14:15], s[4:5], 0x58
	s_add_u32 s7, s4, 8
	s_addc_u32 s8, s5, 0
	s_add_u32 s9, s4, 0x48
	s_load_dwordx2 s[2:3], s[4:5], 0x48
	s_addc_u32 s10, s5, 0
	s_waitcnt lgkmcnt(0)
	s_bitcmp1_b32 s15, 0
	s_cselect_b32 s1, s8, s1
	s_cselect_b32 s0, s7, s0
	v_mov_b32_e32 v1, s0
	v_mov_b32_e32 v2, s1
	flat_load_dwordx2 v[3:4], v[1:2]
	s_cselect_b32 s0, s10, s3
	s_cselect_b32 s1, s9, s2
	v_mov_b32_e32 v1, s1
	v_mov_b32_e32 v2, s0
	flat_load_dwordx2 v[1:2], v[1:2]
	s_waitcnt vmcnt(0) lgkmcnt(0)
	v_cmp_eq_f32_e32 vcc, 0, v3
	v_cmp_eq_f32_e64 s[0:1], 0, v4
	s_and_b64 s[8:9], vcc, s[0:1]
	s_mov_b64 s[0:1], -1
	s_and_saveexec_b64 s[2:3], s[8:9]
; %bb.1:
	v_cmp_neq_f32_e32 vcc, 1.0, v1
	v_cmp_neq_f32_e64 s[0:1], 0, v2
	s_or_b64 s[0:1], vcc, s[0:1]
	s_orn2_b64 s[0:1], s[0:1], exec
; %bb.2:
	s_or_b64 exec, exec, s[2:3]
	s_and_saveexec_b64 s[2:3], s[0:1]
	s_cbranch_execz .LBB392_39
; %bb.3:
	s_load_dwordx4 s[0:3], s[4:5], 0x18
	s_load_dwordx2 s[8:9], s[4:5], 0x28
	s_waitcnt lgkmcnt(0)
	s_cmp_eq_u64 s[0:1], 0
	s_cbranch_scc1 .LBB392_5
; %bb.4:
	s_ashr_i32 s7, s6, 31
	s_lshl_b64 s[6:7], s[6:7], 2
	s_add_u32 s0, s0, s6
	s_addc_u32 s1, s1, s7
	s_load_dword s0, s[0:1], 0x0
	s_waitcnt lgkmcnt(0)
	s_sub_i32 s6, s0, s14
.LBB392_5:
	s_load_dword s0, s[4:5], 0x4
	s_load_dwordx2 s[12:13], s[4:5], 0x50
	v_mul_u32_u24_e32 v7, 0xa3e, v0
	v_mov_b32_e32 v5, 25
	v_mul_lo_u16_sdwa v5, v7, v5 dst_sel:DWORD dst_unused:UNUSED_PAD src0_sel:WORD_1 src1_sel:DWORD
	s_waitcnt lgkmcnt(0)
	s_cmp_eq_u32 s0, 1
	s_cselect_b64 vcc, -1, 0
	s_cmp_lg_u32 s0, 1
	s_cselect_b64 s[16:17], -1, 0
	s_ashr_i32 s7, s6, 31
	s_lshl_b64 s[0:1], s[6:7], 2
	s_add_u32 s2, s2, s0
	s_addc_u32 s3, s3, s1
	s_load_dword s7, s[2:3], 0x0
	s_add_u32 s2, s2, 4
	s_addc_u32 s3, s3, 0
	s_add_u32 s0, s8, s0
	s_addc_u32 s1, s9, s1
	s_cmp_eq_u64 s[8:9], 0
	s_cselect_b32 s1, s3, s1
	s_cselect_b32 s0, s2, s0
	s_load_dword s0, s[0:1], 0x0
	v_sub_u16_e32 v12, v0, v5
	v_mov_b32_e32 v6, 0
	v_mov_b32_e32 v5, 0
	s_waitcnt lgkmcnt(0)
	s_cmp_ge_i32 s7, s0
	s_cbranch_scc1 .LBB392_10
; %bb.6:
	s_load_dwordx4 s[8:11], s[4:5], 0x30
	s_load_dwordx2 s[2:3], s[4:5], 0x40
	s_sub_i32 s4, s0, s14
	s_mov_b32 s0, 0xffff
	s_movk_i32 s1, 0x271
	v_and_b32_sdwa v5, s0, v7 dst_sel:DWORD dst_unused:UNUSED_PAD src0_sel:DWORD src1_sel:WORD_1
	v_subrev_u32_e32 v6, 25, v5
	v_cmp_gt_u32_e64 s[0:1], s1, v0
	s_sub_i32 s5, s7, s14
	v_cndmask_b32_e64 v5, v6, v5, s[0:1]
	s_mul_i32 s1, s5, 0x9c4
	s_mul_hi_i32 s0, s5, 0x9c4
	s_waitcnt lgkmcnt(0)
	s_add_u32 s1, s10, s1
	v_cndmask_b32_e32 v7, v12, v5, vcc
	s_addc_u32 s0, s11, s0
	v_lshlrev_b32_e32 v5, 2, v0
	v_mov_b32_e32 v9, s0
	v_add_co_u32_e32 v8, vcc, s1, v5
	v_addc_co_u32_e32 v9, vcc, 0, v9, vcc
	s_movk_i32 s0, 0x270
	v_mov_b32_e32 v6, 0
	v_cmp_lt_u32_e32 vcc, s0, v0
	v_cndmask_b32_e64 v13, 0, 1, vcc
	v_mov_b32_e32 v5, v6
	s_branch .LBB392_8
.LBB392_7:                              ;   in Loop: Header=BB392_8 Depth=1
	s_or_b64 exec, exec, s[0:1]
	s_add_i32 s5, s5, 1
	s_cmp_lt_i32 s5, s4
	s_cbranch_scc0 .LBB392_10
.LBB392_8:                              ; =>This Inner Loop Header: Depth=1
	v_add_u32_e32 v10, s5, v13
	v_cmp_gt_i32_e32 vcc, s4, v10
	s_and_saveexec_b64 s[0:1], vcc
	s_cbranch_execz .LBB392_7
; %bb.9:                                ;   in Loop: Header=BB392_8 Depth=1
	v_ashrrev_i32_e32 v11, 31, v10
	v_lshlrev_b64 v[10:11], 2, v[10:11]
	v_mov_b32_e32 v14, s9
	v_add_co_u32_e32 v10, vcc, s8, v10
	v_addc_co_u32_e32 v11, vcc, v14, v11, vcc
	global_load_dword v10, v[10:11], off
	v_mov_b32_e32 v15, s3
	global_load_dword v14, v[8:9], off
	s_waitcnt vmcnt(1)
	v_subrev_u32_e32 v10, s14, v10
	v_mad_u64_u32 v[10:11], s[10:11], v10, 25, v[7:8]
	v_ashrrev_i32_e32 v11, 31, v10
	v_lshlrev_b64 v[10:11], 3, v[10:11]
	v_add_co_u32_e32 v10, vcc, s2, v10
	v_addc_co_u32_e32 v11, vcc, v15, v11, vcc
	global_load_dwordx2 v[10:11], v[10:11], off
	v_add_co_u32_e32 v8, vcc, 0x9c4, v8
	v_addc_co_u32_e32 v9, vcc, 0, v9, vcc
	s_waitcnt vmcnt(0)
	v_fmac_f32_e32 v5, v14, v10
	v_fmac_f32_e32 v6, 0, v10
	;; [unrolled: 1-line block ×4, first 2 shown]
	s_branch .LBB392_7
.LBB392_10:
	v_lshlrev_b32_e32 v7, 3, v0
	s_and_b64 vcc, exec, s[16:17]
	ds_write_b64 v7, v[5:6]
	s_waitcnt lgkmcnt(0)
	s_barrier
	s_cbranch_vccz .LBB392_22
; %bb.11:
	v_cmp_gt_u16_e32 vcc, 9, v12
	s_and_saveexec_b64 s[0:1], vcc
	s_cbranch_execz .LBB392_13
; %bb.12:
	ds_read2_b64 v[8:11], v7 offset1:16
	s_waitcnt lgkmcnt(0)
	v_add_f32_e32 v8, v10, v8
	v_add_f32_e32 v9, v11, v9
	ds_write_b64 v7, v[8:9]
.LBB392_13:
	s_or_b64 exec, exec, s[0:1]
	v_cmp_gt_u16_e32 vcc, 8, v12
	s_waitcnt lgkmcnt(0)
	s_barrier
	s_and_saveexec_b64 s[0:1], vcc
	s_cbranch_execz .LBB392_15
; %bb.14:
	ds_read2_b64 v[8:11], v7 offset1:8
	s_waitcnt lgkmcnt(0)
	v_add_f32_e32 v8, v10, v8
	v_add_f32_e32 v9, v11, v9
	ds_write_b64 v7, v[8:9]
.LBB392_15:
	s_or_b64 exec, exec, s[0:1]
	v_cmp_gt_u16_e32 vcc, 4, v12
	s_waitcnt lgkmcnt(0)
	s_barrier
	;; [unrolled: 13-line block ×3, first 2 shown]
	s_and_saveexec_b64 s[0:1], vcc
	s_cbranch_execz .LBB392_19
; %bb.18:
	ds_read2_b64 v[8:11], v7 offset1:2
	s_waitcnt lgkmcnt(0)
	v_add_f32_e32 v8, v10, v8
	v_add_f32_e32 v9, v11, v9
	ds_write_b64 v7, v[8:9]
.LBB392_19:
	s_or_b64 exec, exec, s[0:1]
	v_cmp_gt_u32_e32 vcc, 25, v0
	v_mov_b32_e32 v9, v6
	v_mov_b32_e32 v8, v5
	s_waitcnt lgkmcnt(0)
	s_barrier
	s_and_saveexec_b64 s[0:1], vcc
	s_cbranch_execz .LBB392_21
; %bb.20:
	s_movk_i32 s2, 0xc0
	v_mad_u32_u24 v8, v0, s2, v7
	ds_read2_b64 v[8:11], v8 offset1:1
	s_waitcnt lgkmcnt(0)
	v_add_f32_e32 v8, v10, v8
	v_add_f32_e32 v9, v11, v9
.LBB392_21:
	s_or_b64 exec, exec, s[0:1]
	s_branch .LBB392_34
.LBB392_22:
                                        ; implicit-def: $vgpr9
                                        ; implicit-def: $vgpr8
	s_cbranch_execz .LBB392_34
; %bb.23:
	s_movk_i32 s0, 0xe1
	v_cmp_gt_u32_e32 vcc, s0, v0
	s_and_saveexec_b64 s[0:1], vcc
	s_cbranch_execz .LBB392_25
; %bb.24:
	ds_read_b64 v[8:9], v7 offset:3200
	ds_read_b64 v[10:11], v7
	s_waitcnt lgkmcnt(0)
	v_add_f32_e32 v8, v8, v10
	v_add_f32_e32 v9, v9, v11
	ds_write_b64 v7, v[8:9]
.LBB392_25:
	s_or_b64 exec, exec, s[0:1]
	s_movk_i32 s0, 0xc8
	v_cmp_gt_u32_e32 vcc, s0, v0
	s_waitcnt lgkmcnt(0)
	s_barrier
	s_and_saveexec_b64 s[0:1], vcc
	s_cbranch_execz .LBB392_27
; %bb.26:
	ds_read2_b64 v[8:11], v7 offset1:200
	s_waitcnt lgkmcnt(0)
	v_add_f32_e32 v8, v10, v8
	v_add_f32_e32 v9, v11, v9
	ds_write_b64 v7, v[8:9]
.LBB392_27:
	s_or_b64 exec, exec, s[0:1]
	s_movk_i32 s0, 0x64
	v_cmp_gt_u32_e32 vcc, s0, v0
	s_waitcnt lgkmcnt(0)
	s_barrier
	s_and_saveexec_b64 s[0:1], vcc
	s_cbranch_execz .LBB392_29
; %bb.28:
	ds_read2_b64 v[8:11], v7 offset1:100
	s_waitcnt lgkmcnt(0)
	v_add_f32_e32 v8, v10, v8
	v_add_f32_e32 v9, v11, v9
	ds_write_b64 v7, v[8:9]
.LBB392_29:
	s_or_b64 exec, exec, s[0:1]
	v_cmp_gt_u32_e32 vcc, 50, v0
	s_waitcnt lgkmcnt(0)
	s_barrier
	s_and_saveexec_b64 s[0:1], vcc
	s_cbranch_execz .LBB392_31
; %bb.30:
	ds_read2_b64 v[8:11], v7 offset1:50
	s_waitcnt lgkmcnt(0)
	v_add_f32_e32 v8, v10, v8
	v_add_f32_e32 v9, v11, v9
	ds_write_b64 v7, v[8:9]
.LBB392_31:
	s_or_b64 exec, exec, s[0:1]
	v_cmp_gt_u32_e32 vcc, 25, v0
	s_waitcnt lgkmcnt(0)
	s_and_saveexec_b64 s[0:1], vcc
	s_cbranch_execz .LBB392_33
; %bb.32:
	ds_read2_b64 v[5:8], v7 offset1:25
	s_waitcnt lgkmcnt(0)
	v_add_f32_e32 v5, v7, v5
	v_add_f32_e32 v6, v8, v6
.LBB392_33:
	s_or_b64 exec, exec, s[0:1]
	v_mov_b32_e32 v9, v6
	v_mov_b32_e32 v8, v5
.LBB392_34:
	v_cmp_gt_u32_e32 vcc, 25, v0
	s_and_b64 exec, exec, vcc
	s_cbranch_execz .LBB392_39
; %bb.35:
	v_cmp_eq_f32_e32 vcc, 0, v1
	v_cmp_eq_f32_e64 s[0:1], 0, v2
	v_mul_f32_e64 v5, v9, -v4
	v_mul_f32_e32 v6, v3, v9
	s_and_b64 s[0:1], vcc, s[0:1]
	v_fmac_f32_e32 v5, v3, v8
	v_fmac_f32_e32 v6, v4, v8
	s_and_saveexec_b64 s[2:3], s[0:1]
	s_xor_b64 s[0:1], exec, s[2:3]
	s_cbranch_execz .LBB392_37
; %bb.36:
	v_mad_u64_u32 v[0:1], s[2:3], s6, 25, v[0:1]
	v_mov_b32_e32 v1, 0
	v_mov_b32_e32 v2, s13
	v_lshlrev_b64 v[0:1], 3, v[0:1]
	v_add_co_u32_e32 v0, vcc, s12, v0
	v_addc_co_u32_e32 v1, vcc, v2, v1, vcc
	global_store_dwordx2 v[0:1], v[5:6], off
                                        ; implicit-def: $vgpr0
                                        ; implicit-def: $vgpr1_vgpr2
                                        ; implicit-def: $vgpr5
.LBB392_37:
	s_andn2_saveexec_b64 s[0:1], s[0:1]
	s_cbranch_execz .LBB392_39
; %bb.38:
	v_mad_u64_u32 v[3:4], s[0:1], s6, 25, v[0:1]
	v_mov_b32_e32 v4, 0
	v_mov_b32_e32 v0, s13
	v_lshlrev_b64 v[3:4], 3, v[3:4]
	v_add_co_u32_e32 v3, vcc, s12, v3
	v_addc_co_u32_e32 v4, vcc, v0, v4, vcc
	global_load_dwordx2 v[7:8], v[3:4], off
	s_waitcnt vmcnt(0)
	v_fmac_f32_e32 v5, v1, v7
	v_fmac_f32_e32 v6, v2, v7
	v_fma_f32 v5, -v2, v8, v5
	v_fmac_f32_e32 v6, v1, v8
	global_store_dwordx2 v[3:4], v[5:6], off
.LBB392_39:
	s_endpgm
	.section	.rodata,"a",@progbits
	.p2align	6, 0x0
	.amdhsa_kernel _ZN9rocsparseL20bsrxmvn_17_32_kernelILj25E21rocsparse_complex_numIfEiifS2_S2_EEvT2_20rocsparse_direction_NS_24const_host_device_scalarIT0_EES3_PKS3_PKT1_SC_S9_PKT3_PKT4_S7_PT5_21rocsparse_index_base_b
		.amdhsa_group_segment_fixed_size 5000
		.amdhsa_private_segment_fixed_size 0
		.amdhsa_kernarg_size 96
		.amdhsa_user_sgpr_count 6
		.amdhsa_user_sgpr_private_segment_buffer 1
		.amdhsa_user_sgpr_dispatch_ptr 0
		.amdhsa_user_sgpr_queue_ptr 0
		.amdhsa_user_sgpr_kernarg_segment_ptr 1
		.amdhsa_user_sgpr_dispatch_id 0
		.amdhsa_user_sgpr_flat_scratch_init 0
		.amdhsa_user_sgpr_private_segment_size 0
		.amdhsa_uses_dynamic_stack 0
		.amdhsa_system_sgpr_private_segment_wavefront_offset 0
		.amdhsa_system_sgpr_workgroup_id_x 1
		.amdhsa_system_sgpr_workgroup_id_y 0
		.amdhsa_system_sgpr_workgroup_id_z 0
		.amdhsa_system_sgpr_workgroup_info 0
		.amdhsa_system_vgpr_workitem_id 0
		.amdhsa_next_free_vgpr 16
		.amdhsa_next_free_sgpr 18
		.amdhsa_reserve_vcc 1
		.amdhsa_reserve_flat_scratch 0
		.amdhsa_float_round_mode_32 0
		.amdhsa_float_round_mode_16_64 0
		.amdhsa_float_denorm_mode_32 3
		.amdhsa_float_denorm_mode_16_64 3
		.amdhsa_dx10_clamp 1
		.amdhsa_ieee_mode 1
		.amdhsa_fp16_overflow 0
		.amdhsa_exception_fp_ieee_invalid_op 0
		.amdhsa_exception_fp_denorm_src 0
		.amdhsa_exception_fp_ieee_div_zero 0
		.amdhsa_exception_fp_ieee_overflow 0
		.amdhsa_exception_fp_ieee_underflow 0
		.amdhsa_exception_fp_ieee_inexact 0
		.amdhsa_exception_int_div_zero 0
	.end_amdhsa_kernel
	.section	.text._ZN9rocsparseL20bsrxmvn_17_32_kernelILj25E21rocsparse_complex_numIfEiifS2_S2_EEvT2_20rocsparse_direction_NS_24const_host_device_scalarIT0_EES3_PKS3_PKT1_SC_S9_PKT3_PKT4_S7_PT5_21rocsparse_index_base_b,"axG",@progbits,_ZN9rocsparseL20bsrxmvn_17_32_kernelILj25E21rocsparse_complex_numIfEiifS2_S2_EEvT2_20rocsparse_direction_NS_24const_host_device_scalarIT0_EES3_PKS3_PKT1_SC_S9_PKT3_PKT4_S7_PT5_21rocsparse_index_base_b,comdat
.Lfunc_end392:
	.size	_ZN9rocsparseL20bsrxmvn_17_32_kernelILj25E21rocsparse_complex_numIfEiifS2_S2_EEvT2_20rocsparse_direction_NS_24const_host_device_scalarIT0_EES3_PKS3_PKT1_SC_S9_PKT3_PKT4_S7_PT5_21rocsparse_index_base_b, .Lfunc_end392-_ZN9rocsparseL20bsrxmvn_17_32_kernelILj25E21rocsparse_complex_numIfEiifS2_S2_EEvT2_20rocsparse_direction_NS_24const_host_device_scalarIT0_EES3_PKS3_PKT1_SC_S9_PKT3_PKT4_S7_PT5_21rocsparse_index_base_b
                                        ; -- End function
	.set _ZN9rocsparseL20bsrxmvn_17_32_kernelILj25E21rocsparse_complex_numIfEiifS2_S2_EEvT2_20rocsparse_direction_NS_24const_host_device_scalarIT0_EES3_PKS3_PKT1_SC_S9_PKT3_PKT4_S7_PT5_21rocsparse_index_base_b.num_vgpr, 16
	.set _ZN9rocsparseL20bsrxmvn_17_32_kernelILj25E21rocsparse_complex_numIfEiifS2_S2_EEvT2_20rocsparse_direction_NS_24const_host_device_scalarIT0_EES3_PKS3_PKT1_SC_S9_PKT3_PKT4_S7_PT5_21rocsparse_index_base_b.num_agpr, 0
	.set _ZN9rocsparseL20bsrxmvn_17_32_kernelILj25E21rocsparse_complex_numIfEiifS2_S2_EEvT2_20rocsparse_direction_NS_24const_host_device_scalarIT0_EES3_PKS3_PKT1_SC_S9_PKT3_PKT4_S7_PT5_21rocsparse_index_base_b.numbered_sgpr, 18
	.set _ZN9rocsparseL20bsrxmvn_17_32_kernelILj25E21rocsparse_complex_numIfEiifS2_S2_EEvT2_20rocsparse_direction_NS_24const_host_device_scalarIT0_EES3_PKS3_PKT1_SC_S9_PKT3_PKT4_S7_PT5_21rocsparse_index_base_b.num_named_barrier, 0
	.set _ZN9rocsparseL20bsrxmvn_17_32_kernelILj25E21rocsparse_complex_numIfEiifS2_S2_EEvT2_20rocsparse_direction_NS_24const_host_device_scalarIT0_EES3_PKS3_PKT1_SC_S9_PKT3_PKT4_S7_PT5_21rocsparse_index_base_b.private_seg_size, 0
	.set _ZN9rocsparseL20bsrxmvn_17_32_kernelILj25E21rocsparse_complex_numIfEiifS2_S2_EEvT2_20rocsparse_direction_NS_24const_host_device_scalarIT0_EES3_PKS3_PKT1_SC_S9_PKT3_PKT4_S7_PT5_21rocsparse_index_base_b.uses_vcc, 1
	.set _ZN9rocsparseL20bsrxmvn_17_32_kernelILj25E21rocsparse_complex_numIfEiifS2_S2_EEvT2_20rocsparse_direction_NS_24const_host_device_scalarIT0_EES3_PKS3_PKT1_SC_S9_PKT3_PKT4_S7_PT5_21rocsparse_index_base_b.uses_flat_scratch, 0
	.set _ZN9rocsparseL20bsrxmvn_17_32_kernelILj25E21rocsparse_complex_numIfEiifS2_S2_EEvT2_20rocsparse_direction_NS_24const_host_device_scalarIT0_EES3_PKS3_PKT1_SC_S9_PKT3_PKT4_S7_PT5_21rocsparse_index_base_b.has_dyn_sized_stack, 0
	.set _ZN9rocsparseL20bsrxmvn_17_32_kernelILj25E21rocsparse_complex_numIfEiifS2_S2_EEvT2_20rocsparse_direction_NS_24const_host_device_scalarIT0_EES3_PKS3_PKT1_SC_S9_PKT3_PKT4_S7_PT5_21rocsparse_index_base_b.has_recursion, 0
	.set _ZN9rocsparseL20bsrxmvn_17_32_kernelILj25E21rocsparse_complex_numIfEiifS2_S2_EEvT2_20rocsparse_direction_NS_24const_host_device_scalarIT0_EES3_PKS3_PKT1_SC_S9_PKT3_PKT4_S7_PT5_21rocsparse_index_base_b.has_indirect_call, 0
	.section	.AMDGPU.csdata,"",@progbits
; Kernel info:
; codeLenInByte = 1412
; TotalNumSgprs: 22
; NumVgprs: 16
; ScratchSize: 0
; MemoryBound: 0
; FloatMode: 240
; IeeeMode: 1
; LDSByteSize: 5000 bytes/workgroup (compile time only)
; SGPRBlocks: 2
; VGPRBlocks: 3
; NumSGPRsForWavesPerEU: 22
; NumVGPRsForWavesPerEU: 16
; Occupancy: 10
; WaveLimiterHint : 1
; COMPUTE_PGM_RSRC2:SCRATCH_EN: 0
; COMPUTE_PGM_RSRC2:USER_SGPR: 6
; COMPUTE_PGM_RSRC2:TRAP_HANDLER: 0
; COMPUTE_PGM_RSRC2:TGID_X_EN: 1
; COMPUTE_PGM_RSRC2:TGID_Y_EN: 0
; COMPUTE_PGM_RSRC2:TGID_Z_EN: 0
; COMPUTE_PGM_RSRC2:TIDIG_COMP_CNT: 0
	.section	.text._ZN9rocsparseL20bsrxmvn_17_32_kernelILj26E21rocsparse_complex_numIfEiifS2_S2_EEvT2_20rocsparse_direction_NS_24const_host_device_scalarIT0_EES3_PKS3_PKT1_SC_S9_PKT3_PKT4_S7_PT5_21rocsparse_index_base_b,"axG",@progbits,_ZN9rocsparseL20bsrxmvn_17_32_kernelILj26E21rocsparse_complex_numIfEiifS2_S2_EEvT2_20rocsparse_direction_NS_24const_host_device_scalarIT0_EES3_PKS3_PKT1_SC_S9_PKT3_PKT4_S7_PT5_21rocsparse_index_base_b,comdat
	.globl	_ZN9rocsparseL20bsrxmvn_17_32_kernelILj26E21rocsparse_complex_numIfEiifS2_S2_EEvT2_20rocsparse_direction_NS_24const_host_device_scalarIT0_EES3_PKS3_PKT1_SC_S9_PKT3_PKT4_S7_PT5_21rocsparse_index_base_b ; -- Begin function _ZN9rocsparseL20bsrxmvn_17_32_kernelILj26E21rocsparse_complex_numIfEiifS2_S2_EEvT2_20rocsparse_direction_NS_24const_host_device_scalarIT0_EES3_PKS3_PKT1_SC_S9_PKT3_PKT4_S7_PT5_21rocsparse_index_base_b
	.p2align	8
	.type	_ZN9rocsparseL20bsrxmvn_17_32_kernelILj26E21rocsparse_complex_numIfEiifS2_S2_EEvT2_20rocsparse_direction_NS_24const_host_device_scalarIT0_EES3_PKS3_PKT1_SC_S9_PKT3_PKT4_S7_PT5_21rocsparse_index_base_b,@function
_ZN9rocsparseL20bsrxmvn_17_32_kernelILj26E21rocsparse_complex_numIfEiifS2_S2_EEvT2_20rocsparse_direction_NS_24const_host_device_scalarIT0_EES3_PKS3_PKT1_SC_S9_PKT3_PKT4_S7_PT5_21rocsparse_index_base_b: ; @_ZN9rocsparseL20bsrxmvn_17_32_kernelILj26E21rocsparse_complex_numIfEiifS2_S2_EEvT2_20rocsparse_direction_NS_24const_host_device_scalarIT0_EES3_PKS3_PKT1_SC_S9_PKT3_PKT4_S7_PT5_21rocsparse_index_base_b
; %bb.0:
	s_load_dwordx2 s[0:1], s[4:5], 0x8
	s_load_dwordx2 s[14:15], s[4:5], 0x58
	s_add_u32 s7, s4, 8
	s_addc_u32 s8, s5, 0
	s_add_u32 s9, s4, 0x48
	s_load_dwordx2 s[2:3], s[4:5], 0x48
	s_addc_u32 s10, s5, 0
	s_waitcnt lgkmcnt(0)
	s_bitcmp1_b32 s15, 0
	s_cselect_b32 s1, s8, s1
	s_cselect_b32 s0, s7, s0
	v_mov_b32_e32 v1, s0
	v_mov_b32_e32 v2, s1
	flat_load_dwordx2 v[3:4], v[1:2]
	s_cselect_b32 s0, s10, s3
	s_cselect_b32 s1, s9, s2
	v_mov_b32_e32 v1, s1
	v_mov_b32_e32 v2, s0
	flat_load_dwordx2 v[1:2], v[1:2]
	s_waitcnt vmcnt(0) lgkmcnt(0)
	v_cmp_eq_f32_e32 vcc, 0, v3
	v_cmp_eq_f32_e64 s[0:1], 0, v4
	s_and_b64 s[8:9], vcc, s[0:1]
	s_mov_b64 s[0:1], -1
	s_and_saveexec_b64 s[2:3], s[8:9]
; %bb.1:
	v_cmp_neq_f32_e32 vcc, 1.0, v1
	v_cmp_neq_f32_e64 s[0:1], 0, v2
	s_or_b64 s[0:1], vcc, s[0:1]
	s_orn2_b64 s[0:1], s[0:1], exec
; %bb.2:
	s_or_b64 exec, exec, s[2:3]
	s_and_saveexec_b64 s[2:3], s[0:1]
	s_cbranch_execz .LBB393_39
; %bb.3:
	s_load_dwordx4 s[0:3], s[4:5], 0x18
	s_load_dwordx2 s[8:9], s[4:5], 0x28
	s_waitcnt lgkmcnt(0)
	s_cmp_eq_u64 s[0:1], 0
	s_cbranch_scc1 .LBB393_5
; %bb.4:
	s_ashr_i32 s7, s6, 31
	s_lshl_b64 s[6:7], s[6:7], 2
	s_add_u32 s0, s0, s6
	s_addc_u32 s1, s1, s7
	s_load_dword s0, s[0:1], 0x0
	s_waitcnt lgkmcnt(0)
	s_sub_i32 s6, s0, s14
.LBB393_5:
	s_load_dword s0, s[4:5], 0x4
	s_load_dwordx2 s[12:13], s[4:5], 0x50
	v_mul_u32_u24_e32 v7, 0x9d9, v0
	v_mov_b32_e32 v5, 26
	v_mul_lo_u16_sdwa v5, v7, v5 dst_sel:DWORD dst_unused:UNUSED_PAD src0_sel:WORD_1 src1_sel:DWORD
	s_waitcnt lgkmcnt(0)
	s_cmp_eq_u32 s0, 1
	s_cselect_b64 vcc, -1, 0
	s_cmp_lg_u32 s0, 1
	s_cselect_b64 s[16:17], -1, 0
	s_ashr_i32 s7, s6, 31
	s_lshl_b64 s[0:1], s[6:7], 2
	s_add_u32 s2, s2, s0
	s_addc_u32 s3, s3, s1
	s_load_dword s7, s[2:3], 0x0
	s_add_u32 s2, s2, 4
	s_addc_u32 s3, s3, 0
	s_add_u32 s0, s8, s0
	s_addc_u32 s1, s9, s1
	s_cmp_eq_u64 s[8:9], 0
	s_cselect_b32 s1, s3, s1
	s_cselect_b32 s0, s2, s0
	s_load_dword s0, s[0:1], 0x0
	v_sub_u16_e32 v12, v0, v5
	v_mov_b32_e32 v6, 0
	v_mov_b32_e32 v5, 0
	s_waitcnt lgkmcnt(0)
	s_cmp_ge_i32 s7, s0
	s_cbranch_scc1 .LBB393_10
; %bb.6:
	s_load_dwordx4 s[8:11], s[4:5], 0x30
	s_load_dwordx2 s[2:3], s[4:5], 0x40
	s_sub_i32 s4, s0, s14
	s_mov_b32 s0, 0xffff
	s_movk_i32 s1, 0x2a4
	v_and_b32_sdwa v5, s0, v7 dst_sel:DWORD dst_unused:UNUSED_PAD src0_sel:DWORD src1_sel:WORD_1
	v_subrev_u32_e32 v6, 26, v5
	v_cmp_gt_u32_e64 s[0:1], s1, v0
	s_sub_i32 s5, s7, s14
	v_cndmask_b32_e64 v5, v6, v5, s[0:1]
	s_mul_i32 s1, s5, 0xa90
	s_mul_hi_i32 s0, s5, 0xa90
	s_waitcnt lgkmcnt(0)
	s_add_u32 s1, s10, s1
	v_cndmask_b32_e32 v7, v12, v5, vcc
	s_addc_u32 s0, s11, s0
	v_lshlrev_b32_e32 v5, 2, v0
	v_mov_b32_e32 v9, s0
	v_add_co_u32_e32 v8, vcc, s1, v5
	v_addc_co_u32_e32 v9, vcc, 0, v9, vcc
	s_movk_i32 s0, 0x2a3
	v_mov_b32_e32 v6, 0
	v_cmp_lt_u32_e32 vcc, s0, v0
	v_cndmask_b32_e64 v13, 0, 1, vcc
	v_mov_b32_e32 v5, v6
	s_branch .LBB393_8
.LBB393_7:                              ;   in Loop: Header=BB393_8 Depth=1
	s_or_b64 exec, exec, s[0:1]
	s_add_i32 s5, s5, 1
	s_cmp_lt_i32 s5, s4
	s_cbranch_scc0 .LBB393_10
.LBB393_8:                              ; =>This Inner Loop Header: Depth=1
	v_add_u32_e32 v10, s5, v13
	v_cmp_gt_i32_e32 vcc, s4, v10
	s_and_saveexec_b64 s[0:1], vcc
	s_cbranch_execz .LBB393_7
; %bb.9:                                ;   in Loop: Header=BB393_8 Depth=1
	v_ashrrev_i32_e32 v11, 31, v10
	v_lshlrev_b64 v[10:11], 2, v[10:11]
	v_mov_b32_e32 v14, s9
	v_add_co_u32_e32 v10, vcc, s8, v10
	v_addc_co_u32_e32 v11, vcc, v14, v11, vcc
	global_load_dword v10, v[10:11], off
	v_mov_b32_e32 v15, s3
	global_load_dword v14, v[8:9], off
	s_waitcnt vmcnt(1)
	v_subrev_u32_e32 v10, s14, v10
	v_mad_u64_u32 v[10:11], s[10:11], v10, 26, v[7:8]
	v_ashrrev_i32_e32 v11, 31, v10
	v_lshlrev_b64 v[10:11], 3, v[10:11]
	v_add_co_u32_e32 v10, vcc, s2, v10
	v_addc_co_u32_e32 v11, vcc, v15, v11, vcc
	global_load_dwordx2 v[10:11], v[10:11], off
	v_add_co_u32_e32 v8, vcc, 0xa90, v8
	v_addc_co_u32_e32 v9, vcc, 0, v9, vcc
	s_waitcnt vmcnt(0)
	v_fmac_f32_e32 v5, v14, v10
	v_fmac_f32_e32 v6, 0, v10
	;; [unrolled: 1-line block ×4, first 2 shown]
	s_branch .LBB393_7
.LBB393_10:
	v_lshlrev_b32_e32 v7, 3, v0
	s_and_b64 vcc, exec, s[16:17]
	ds_write_b64 v7, v[5:6]
	s_waitcnt lgkmcnt(0)
	s_barrier
	s_cbranch_vccz .LBB393_22
; %bb.11:
	v_cmp_gt_u16_e32 vcc, 10, v12
	s_and_saveexec_b64 s[0:1], vcc
	s_cbranch_execz .LBB393_13
; %bb.12:
	ds_read2_b64 v[8:11], v7 offset1:16
	s_waitcnt lgkmcnt(0)
	v_add_f32_e32 v8, v10, v8
	v_add_f32_e32 v9, v11, v9
	ds_write_b64 v7, v[8:9]
.LBB393_13:
	s_or_b64 exec, exec, s[0:1]
	v_cmp_gt_u16_e32 vcc, 8, v12
	s_waitcnt lgkmcnt(0)
	s_barrier
	s_and_saveexec_b64 s[0:1], vcc
	s_cbranch_execz .LBB393_15
; %bb.14:
	ds_read2_b64 v[8:11], v7 offset1:8
	s_waitcnt lgkmcnt(0)
	v_add_f32_e32 v8, v10, v8
	v_add_f32_e32 v9, v11, v9
	ds_write_b64 v7, v[8:9]
.LBB393_15:
	s_or_b64 exec, exec, s[0:1]
	v_cmp_gt_u16_e32 vcc, 4, v12
	s_waitcnt lgkmcnt(0)
	s_barrier
	;; [unrolled: 13-line block ×3, first 2 shown]
	s_and_saveexec_b64 s[0:1], vcc
	s_cbranch_execz .LBB393_19
; %bb.18:
	ds_read2_b64 v[8:11], v7 offset1:2
	s_waitcnt lgkmcnt(0)
	v_add_f32_e32 v8, v10, v8
	v_add_f32_e32 v9, v11, v9
	ds_write_b64 v7, v[8:9]
.LBB393_19:
	s_or_b64 exec, exec, s[0:1]
	v_cmp_gt_u32_e32 vcc, 26, v0
	v_mov_b32_e32 v9, v6
	v_mov_b32_e32 v8, v5
	s_waitcnt lgkmcnt(0)
	s_barrier
	s_and_saveexec_b64 s[0:1], vcc
	s_cbranch_execz .LBB393_21
; %bb.20:
	s_movk_i32 s2, 0xc8
	v_mad_u32_u24 v8, v0, s2, v7
	ds_read2_b64 v[8:11], v8 offset1:1
	s_waitcnt lgkmcnt(0)
	v_add_f32_e32 v8, v10, v8
	v_add_f32_e32 v9, v11, v9
.LBB393_21:
	s_or_b64 exec, exec, s[0:1]
	s_branch .LBB393_34
.LBB393_22:
                                        ; implicit-def: $vgpr9
                                        ; implicit-def: $vgpr8
	s_cbranch_execz .LBB393_34
; %bb.23:
	s_movk_i32 s0, 0x104
	v_cmp_gt_u32_e32 vcc, s0, v0
	s_and_saveexec_b64 s[0:1], vcc
	s_cbranch_execz .LBB393_25
; %bb.24:
	ds_read_b64 v[8:9], v7 offset:3328
	ds_read_b64 v[10:11], v7
	s_waitcnt lgkmcnt(0)
	v_add_f32_e32 v8, v8, v10
	v_add_f32_e32 v9, v9, v11
	ds_write_b64 v7, v[8:9]
.LBB393_25:
	s_or_b64 exec, exec, s[0:1]
	s_movk_i32 s0, 0xd0
	v_cmp_gt_u32_e32 vcc, s0, v0
	s_waitcnt lgkmcnt(0)
	s_barrier
	s_and_saveexec_b64 s[0:1], vcc
	s_cbranch_execz .LBB393_27
; %bb.26:
	ds_read2_b64 v[8:11], v7 offset1:208
	s_waitcnt lgkmcnt(0)
	v_add_f32_e32 v8, v10, v8
	v_add_f32_e32 v9, v11, v9
	ds_write_b64 v7, v[8:9]
.LBB393_27:
	s_or_b64 exec, exec, s[0:1]
	s_movk_i32 s0, 0x68
	v_cmp_gt_u32_e32 vcc, s0, v0
	s_waitcnt lgkmcnt(0)
	s_barrier
	s_and_saveexec_b64 s[0:1], vcc
	s_cbranch_execz .LBB393_29
; %bb.28:
	ds_read2_b64 v[8:11], v7 offset1:104
	s_waitcnt lgkmcnt(0)
	v_add_f32_e32 v8, v10, v8
	v_add_f32_e32 v9, v11, v9
	ds_write_b64 v7, v[8:9]
.LBB393_29:
	s_or_b64 exec, exec, s[0:1]
	v_cmp_gt_u32_e32 vcc, 52, v0
	s_waitcnt lgkmcnt(0)
	s_barrier
	s_and_saveexec_b64 s[0:1], vcc
	s_cbranch_execz .LBB393_31
; %bb.30:
	ds_read2_b64 v[8:11], v7 offset1:52
	s_waitcnt lgkmcnt(0)
	v_add_f32_e32 v8, v10, v8
	v_add_f32_e32 v9, v11, v9
	ds_write_b64 v7, v[8:9]
.LBB393_31:
	s_or_b64 exec, exec, s[0:1]
	v_cmp_gt_u32_e32 vcc, 26, v0
	s_waitcnt lgkmcnt(0)
	s_and_saveexec_b64 s[0:1], vcc
	s_cbranch_execz .LBB393_33
; %bb.32:
	ds_read2_b64 v[5:8], v7 offset1:26
	s_waitcnt lgkmcnt(0)
	v_add_f32_e32 v5, v7, v5
	v_add_f32_e32 v6, v8, v6
.LBB393_33:
	s_or_b64 exec, exec, s[0:1]
	v_mov_b32_e32 v9, v6
	v_mov_b32_e32 v8, v5
.LBB393_34:
	v_cmp_gt_u32_e32 vcc, 26, v0
	s_and_b64 exec, exec, vcc
	s_cbranch_execz .LBB393_39
; %bb.35:
	v_cmp_eq_f32_e32 vcc, 0, v1
	v_cmp_eq_f32_e64 s[0:1], 0, v2
	v_mul_f32_e64 v5, v9, -v4
	v_mul_f32_e32 v6, v3, v9
	s_and_b64 s[0:1], vcc, s[0:1]
	v_fmac_f32_e32 v5, v3, v8
	v_fmac_f32_e32 v6, v4, v8
	s_and_saveexec_b64 s[2:3], s[0:1]
	s_xor_b64 s[0:1], exec, s[2:3]
	s_cbranch_execz .LBB393_37
; %bb.36:
	v_mad_u64_u32 v[0:1], s[2:3], s6, 26, v[0:1]
	v_mov_b32_e32 v1, 0
	v_mov_b32_e32 v2, s13
	v_lshlrev_b64 v[0:1], 3, v[0:1]
	v_add_co_u32_e32 v0, vcc, s12, v0
	v_addc_co_u32_e32 v1, vcc, v2, v1, vcc
	global_store_dwordx2 v[0:1], v[5:6], off
                                        ; implicit-def: $vgpr0
                                        ; implicit-def: $vgpr1_vgpr2
                                        ; implicit-def: $vgpr5
.LBB393_37:
	s_andn2_saveexec_b64 s[0:1], s[0:1]
	s_cbranch_execz .LBB393_39
; %bb.38:
	v_mad_u64_u32 v[3:4], s[0:1], s6, 26, v[0:1]
	v_mov_b32_e32 v4, 0
	v_mov_b32_e32 v0, s13
	v_lshlrev_b64 v[3:4], 3, v[3:4]
	v_add_co_u32_e32 v3, vcc, s12, v3
	v_addc_co_u32_e32 v4, vcc, v0, v4, vcc
	global_load_dwordx2 v[7:8], v[3:4], off
	s_waitcnt vmcnt(0)
	v_fmac_f32_e32 v5, v1, v7
	v_fmac_f32_e32 v6, v2, v7
	v_fma_f32 v5, -v2, v8, v5
	v_fmac_f32_e32 v6, v1, v8
	global_store_dwordx2 v[3:4], v[5:6], off
.LBB393_39:
	s_endpgm
	.section	.rodata,"a",@progbits
	.p2align	6, 0x0
	.amdhsa_kernel _ZN9rocsparseL20bsrxmvn_17_32_kernelILj26E21rocsparse_complex_numIfEiifS2_S2_EEvT2_20rocsparse_direction_NS_24const_host_device_scalarIT0_EES3_PKS3_PKT1_SC_S9_PKT3_PKT4_S7_PT5_21rocsparse_index_base_b
		.amdhsa_group_segment_fixed_size 5408
		.amdhsa_private_segment_fixed_size 0
		.amdhsa_kernarg_size 96
		.amdhsa_user_sgpr_count 6
		.amdhsa_user_sgpr_private_segment_buffer 1
		.amdhsa_user_sgpr_dispatch_ptr 0
		.amdhsa_user_sgpr_queue_ptr 0
		.amdhsa_user_sgpr_kernarg_segment_ptr 1
		.amdhsa_user_sgpr_dispatch_id 0
		.amdhsa_user_sgpr_flat_scratch_init 0
		.amdhsa_user_sgpr_private_segment_size 0
		.amdhsa_uses_dynamic_stack 0
		.amdhsa_system_sgpr_private_segment_wavefront_offset 0
		.amdhsa_system_sgpr_workgroup_id_x 1
		.amdhsa_system_sgpr_workgroup_id_y 0
		.amdhsa_system_sgpr_workgroup_id_z 0
		.amdhsa_system_sgpr_workgroup_info 0
		.amdhsa_system_vgpr_workitem_id 0
		.amdhsa_next_free_vgpr 25
		.amdhsa_next_free_sgpr 61
		.amdhsa_reserve_vcc 1
		.amdhsa_reserve_flat_scratch 0
		.amdhsa_float_round_mode_32 0
		.amdhsa_float_round_mode_16_64 0
		.amdhsa_float_denorm_mode_32 3
		.amdhsa_float_denorm_mode_16_64 3
		.amdhsa_dx10_clamp 1
		.amdhsa_ieee_mode 1
		.amdhsa_fp16_overflow 0
		.amdhsa_exception_fp_ieee_invalid_op 0
		.amdhsa_exception_fp_denorm_src 0
		.amdhsa_exception_fp_ieee_div_zero 0
		.amdhsa_exception_fp_ieee_overflow 0
		.amdhsa_exception_fp_ieee_underflow 0
		.amdhsa_exception_fp_ieee_inexact 0
		.amdhsa_exception_int_div_zero 0
	.end_amdhsa_kernel
	.section	.text._ZN9rocsparseL20bsrxmvn_17_32_kernelILj26E21rocsparse_complex_numIfEiifS2_S2_EEvT2_20rocsparse_direction_NS_24const_host_device_scalarIT0_EES3_PKS3_PKT1_SC_S9_PKT3_PKT4_S7_PT5_21rocsparse_index_base_b,"axG",@progbits,_ZN9rocsparseL20bsrxmvn_17_32_kernelILj26E21rocsparse_complex_numIfEiifS2_S2_EEvT2_20rocsparse_direction_NS_24const_host_device_scalarIT0_EES3_PKS3_PKT1_SC_S9_PKT3_PKT4_S7_PT5_21rocsparse_index_base_b,comdat
.Lfunc_end393:
	.size	_ZN9rocsparseL20bsrxmvn_17_32_kernelILj26E21rocsparse_complex_numIfEiifS2_S2_EEvT2_20rocsparse_direction_NS_24const_host_device_scalarIT0_EES3_PKS3_PKT1_SC_S9_PKT3_PKT4_S7_PT5_21rocsparse_index_base_b, .Lfunc_end393-_ZN9rocsparseL20bsrxmvn_17_32_kernelILj26E21rocsparse_complex_numIfEiifS2_S2_EEvT2_20rocsparse_direction_NS_24const_host_device_scalarIT0_EES3_PKS3_PKT1_SC_S9_PKT3_PKT4_S7_PT5_21rocsparse_index_base_b
                                        ; -- End function
	.set _ZN9rocsparseL20bsrxmvn_17_32_kernelILj26E21rocsparse_complex_numIfEiifS2_S2_EEvT2_20rocsparse_direction_NS_24const_host_device_scalarIT0_EES3_PKS3_PKT1_SC_S9_PKT3_PKT4_S7_PT5_21rocsparse_index_base_b.num_vgpr, 16
	.set _ZN9rocsparseL20bsrxmvn_17_32_kernelILj26E21rocsparse_complex_numIfEiifS2_S2_EEvT2_20rocsparse_direction_NS_24const_host_device_scalarIT0_EES3_PKS3_PKT1_SC_S9_PKT3_PKT4_S7_PT5_21rocsparse_index_base_b.num_agpr, 0
	.set _ZN9rocsparseL20bsrxmvn_17_32_kernelILj26E21rocsparse_complex_numIfEiifS2_S2_EEvT2_20rocsparse_direction_NS_24const_host_device_scalarIT0_EES3_PKS3_PKT1_SC_S9_PKT3_PKT4_S7_PT5_21rocsparse_index_base_b.numbered_sgpr, 18
	.set _ZN9rocsparseL20bsrxmvn_17_32_kernelILj26E21rocsparse_complex_numIfEiifS2_S2_EEvT2_20rocsparse_direction_NS_24const_host_device_scalarIT0_EES3_PKS3_PKT1_SC_S9_PKT3_PKT4_S7_PT5_21rocsparse_index_base_b.num_named_barrier, 0
	.set _ZN9rocsparseL20bsrxmvn_17_32_kernelILj26E21rocsparse_complex_numIfEiifS2_S2_EEvT2_20rocsparse_direction_NS_24const_host_device_scalarIT0_EES3_PKS3_PKT1_SC_S9_PKT3_PKT4_S7_PT5_21rocsparse_index_base_b.private_seg_size, 0
	.set _ZN9rocsparseL20bsrxmvn_17_32_kernelILj26E21rocsparse_complex_numIfEiifS2_S2_EEvT2_20rocsparse_direction_NS_24const_host_device_scalarIT0_EES3_PKS3_PKT1_SC_S9_PKT3_PKT4_S7_PT5_21rocsparse_index_base_b.uses_vcc, 1
	.set _ZN9rocsparseL20bsrxmvn_17_32_kernelILj26E21rocsparse_complex_numIfEiifS2_S2_EEvT2_20rocsparse_direction_NS_24const_host_device_scalarIT0_EES3_PKS3_PKT1_SC_S9_PKT3_PKT4_S7_PT5_21rocsparse_index_base_b.uses_flat_scratch, 0
	.set _ZN9rocsparseL20bsrxmvn_17_32_kernelILj26E21rocsparse_complex_numIfEiifS2_S2_EEvT2_20rocsparse_direction_NS_24const_host_device_scalarIT0_EES3_PKS3_PKT1_SC_S9_PKT3_PKT4_S7_PT5_21rocsparse_index_base_b.has_dyn_sized_stack, 0
	.set _ZN9rocsparseL20bsrxmvn_17_32_kernelILj26E21rocsparse_complex_numIfEiifS2_S2_EEvT2_20rocsparse_direction_NS_24const_host_device_scalarIT0_EES3_PKS3_PKT1_SC_S9_PKT3_PKT4_S7_PT5_21rocsparse_index_base_b.has_recursion, 0
	.set _ZN9rocsparseL20bsrxmvn_17_32_kernelILj26E21rocsparse_complex_numIfEiifS2_S2_EEvT2_20rocsparse_direction_NS_24const_host_device_scalarIT0_EES3_PKS3_PKT1_SC_S9_PKT3_PKT4_S7_PT5_21rocsparse_index_base_b.has_indirect_call, 0
	.section	.AMDGPU.csdata,"",@progbits
; Kernel info:
; codeLenInByte = 1412
; TotalNumSgprs: 22
; NumVgprs: 16
; ScratchSize: 0
; MemoryBound: 0
; FloatMode: 240
; IeeeMode: 1
; LDSByteSize: 5408 bytes/workgroup (compile time only)
; SGPRBlocks: 8
; VGPRBlocks: 6
; NumSGPRsForWavesPerEU: 65
; NumVGPRsForWavesPerEU: 25
; Occupancy: 9
; WaveLimiterHint : 1
; COMPUTE_PGM_RSRC2:SCRATCH_EN: 0
; COMPUTE_PGM_RSRC2:USER_SGPR: 6
; COMPUTE_PGM_RSRC2:TRAP_HANDLER: 0
; COMPUTE_PGM_RSRC2:TGID_X_EN: 1
; COMPUTE_PGM_RSRC2:TGID_Y_EN: 0
; COMPUTE_PGM_RSRC2:TGID_Z_EN: 0
; COMPUTE_PGM_RSRC2:TIDIG_COMP_CNT: 0
	.section	.text._ZN9rocsparseL20bsrxmvn_17_32_kernelILj27E21rocsparse_complex_numIfEiifS2_S2_EEvT2_20rocsparse_direction_NS_24const_host_device_scalarIT0_EES3_PKS3_PKT1_SC_S9_PKT3_PKT4_S7_PT5_21rocsparse_index_base_b,"axG",@progbits,_ZN9rocsparseL20bsrxmvn_17_32_kernelILj27E21rocsparse_complex_numIfEiifS2_S2_EEvT2_20rocsparse_direction_NS_24const_host_device_scalarIT0_EES3_PKS3_PKT1_SC_S9_PKT3_PKT4_S7_PT5_21rocsparse_index_base_b,comdat
	.globl	_ZN9rocsparseL20bsrxmvn_17_32_kernelILj27E21rocsparse_complex_numIfEiifS2_S2_EEvT2_20rocsparse_direction_NS_24const_host_device_scalarIT0_EES3_PKS3_PKT1_SC_S9_PKT3_PKT4_S7_PT5_21rocsparse_index_base_b ; -- Begin function _ZN9rocsparseL20bsrxmvn_17_32_kernelILj27E21rocsparse_complex_numIfEiifS2_S2_EEvT2_20rocsparse_direction_NS_24const_host_device_scalarIT0_EES3_PKS3_PKT1_SC_S9_PKT3_PKT4_S7_PT5_21rocsparse_index_base_b
	.p2align	8
	.type	_ZN9rocsparseL20bsrxmvn_17_32_kernelILj27E21rocsparse_complex_numIfEiifS2_S2_EEvT2_20rocsparse_direction_NS_24const_host_device_scalarIT0_EES3_PKS3_PKT1_SC_S9_PKT3_PKT4_S7_PT5_21rocsparse_index_base_b,@function
_ZN9rocsparseL20bsrxmvn_17_32_kernelILj27E21rocsparse_complex_numIfEiifS2_S2_EEvT2_20rocsparse_direction_NS_24const_host_device_scalarIT0_EES3_PKS3_PKT1_SC_S9_PKT3_PKT4_S7_PT5_21rocsparse_index_base_b: ; @_ZN9rocsparseL20bsrxmvn_17_32_kernelILj27E21rocsparse_complex_numIfEiifS2_S2_EEvT2_20rocsparse_direction_NS_24const_host_device_scalarIT0_EES3_PKS3_PKT1_SC_S9_PKT3_PKT4_S7_PT5_21rocsparse_index_base_b
; %bb.0:
	s_load_dwordx2 s[0:1], s[4:5], 0x8
	s_load_dwordx2 s[14:15], s[4:5], 0x58
	s_add_u32 s7, s4, 8
	s_addc_u32 s8, s5, 0
	s_add_u32 s9, s4, 0x48
	s_load_dwordx2 s[2:3], s[4:5], 0x48
	s_addc_u32 s10, s5, 0
	s_waitcnt lgkmcnt(0)
	s_bitcmp1_b32 s15, 0
	s_cselect_b32 s1, s8, s1
	s_cselect_b32 s0, s7, s0
	v_mov_b32_e32 v1, s0
	v_mov_b32_e32 v2, s1
	flat_load_dwordx2 v[3:4], v[1:2]
	s_cselect_b32 s0, s10, s3
	s_cselect_b32 s1, s9, s2
	v_mov_b32_e32 v1, s1
	v_mov_b32_e32 v2, s0
	flat_load_dwordx2 v[1:2], v[1:2]
	s_waitcnt vmcnt(0) lgkmcnt(0)
	v_cmp_eq_f32_e32 vcc, 0, v3
	v_cmp_eq_f32_e64 s[0:1], 0, v4
	s_and_b64 s[8:9], vcc, s[0:1]
	s_mov_b64 s[0:1], -1
	s_and_saveexec_b64 s[2:3], s[8:9]
; %bb.1:
	v_cmp_neq_f32_e32 vcc, 1.0, v1
	v_cmp_neq_f32_e64 s[0:1], 0, v2
	s_or_b64 s[0:1], vcc, s[0:1]
	s_orn2_b64 s[0:1], s[0:1], exec
; %bb.2:
	s_or_b64 exec, exec, s[2:3]
	s_and_saveexec_b64 s[2:3], s[0:1]
	s_cbranch_execz .LBB394_39
; %bb.3:
	s_load_dwordx4 s[0:3], s[4:5], 0x18
	s_load_dwordx2 s[8:9], s[4:5], 0x28
	s_waitcnt lgkmcnt(0)
	s_cmp_eq_u64 s[0:1], 0
	s_cbranch_scc1 .LBB394_5
; %bb.4:
	s_ashr_i32 s7, s6, 31
	s_lshl_b64 s[6:7], s[6:7], 2
	s_add_u32 s0, s0, s6
	s_addc_u32 s1, s1, s7
	s_load_dword s0, s[0:1], 0x0
	s_waitcnt lgkmcnt(0)
	s_sub_i32 s6, s0, s14
.LBB394_5:
	s_load_dword s0, s[4:5], 0x4
	s_load_dwordx2 s[12:13], s[4:5], 0x50
	v_mul_u32_u24_e32 v7, 0x97c, v0
	v_mov_b32_e32 v5, 27
	v_mul_lo_u16_sdwa v5, v7, v5 dst_sel:DWORD dst_unused:UNUSED_PAD src0_sel:WORD_1 src1_sel:DWORD
	s_waitcnt lgkmcnt(0)
	s_cmp_eq_u32 s0, 1
	s_cselect_b64 vcc, -1, 0
	s_cmp_lg_u32 s0, 1
	s_cselect_b64 s[16:17], -1, 0
	s_ashr_i32 s7, s6, 31
	s_lshl_b64 s[0:1], s[6:7], 2
	s_add_u32 s2, s2, s0
	s_addc_u32 s3, s3, s1
	s_load_dword s7, s[2:3], 0x0
	s_add_u32 s2, s2, 4
	s_addc_u32 s3, s3, 0
	s_add_u32 s0, s8, s0
	s_addc_u32 s1, s9, s1
	s_cmp_eq_u64 s[8:9], 0
	s_cselect_b32 s1, s3, s1
	s_cselect_b32 s0, s2, s0
	s_load_dword s0, s[0:1], 0x0
	v_sub_u16_e32 v12, v0, v5
	v_mov_b32_e32 v6, 0
	v_mov_b32_e32 v5, 0
	s_waitcnt lgkmcnt(0)
	s_cmp_ge_i32 s7, s0
	s_cbranch_scc1 .LBB394_10
; %bb.6:
	s_load_dwordx4 s[8:11], s[4:5], 0x30
	s_load_dwordx2 s[2:3], s[4:5], 0x40
	s_sub_i32 s4, s0, s14
	s_mov_b32 s0, 0xffff
	s_movk_i32 s1, 0x2d9
	v_and_b32_sdwa v5, s0, v7 dst_sel:DWORD dst_unused:UNUSED_PAD src0_sel:DWORD src1_sel:WORD_1
	v_subrev_u32_e32 v6, 27, v5
	v_cmp_gt_u32_e64 s[0:1], s1, v0
	s_sub_i32 s5, s7, s14
	v_cndmask_b32_e64 v5, v6, v5, s[0:1]
	s_mul_i32 s1, s5, 0xb64
	s_mul_hi_i32 s0, s5, 0xb64
	s_waitcnt lgkmcnt(0)
	s_add_u32 s1, s10, s1
	v_cndmask_b32_e32 v7, v12, v5, vcc
	s_addc_u32 s0, s11, s0
	v_lshlrev_b32_e32 v5, 2, v0
	v_mov_b32_e32 v9, s0
	v_add_co_u32_e32 v8, vcc, s1, v5
	v_addc_co_u32_e32 v9, vcc, 0, v9, vcc
	s_movk_i32 s0, 0x2d8
	v_mov_b32_e32 v6, 0
	v_cmp_lt_u32_e32 vcc, s0, v0
	v_cndmask_b32_e64 v13, 0, 1, vcc
	v_mov_b32_e32 v5, v6
	s_branch .LBB394_8
.LBB394_7:                              ;   in Loop: Header=BB394_8 Depth=1
	s_or_b64 exec, exec, s[0:1]
	s_add_i32 s5, s5, 1
	s_cmp_lt_i32 s5, s4
	s_cbranch_scc0 .LBB394_10
.LBB394_8:                              ; =>This Inner Loop Header: Depth=1
	v_add_u32_e32 v10, s5, v13
	v_cmp_gt_i32_e32 vcc, s4, v10
	s_and_saveexec_b64 s[0:1], vcc
	s_cbranch_execz .LBB394_7
; %bb.9:                                ;   in Loop: Header=BB394_8 Depth=1
	v_ashrrev_i32_e32 v11, 31, v10
	v_lshlrev_b64 v[10:11], 2, v[10:11]
	v_mov_b32_e32 v14, s9
	v_add_co_u32_e32 v10, vcc, s8, v10
	v_addc_co_u32_e32 v11, vcc, v14, v11, vcc
	global_load_dword v10, v[10:11], off
	v_mov_b32_e32 v15, s3
	global_load_dword v14, v[8:9], off
	s_waitcnt vmcnt(1)
	v_subrev_u32_e32 v10, s14, v10
	v_mad_u64_u32 v[10:11], s[10:11], v10, 27, v[7:8]
	v_ashrrev_i32_e32 v11, 31, v10
	v_lshlrev_b64 v[10:11], 3, v[10:11]
	v_add_co_u32_e32 v10, vcc, s2, v10
	v_addc_co_u32_e32 v11, vcc, v15, v11, vcc
	global_load_dwordx2 v[10:11], v[10:11], off
	v_add_co_u32_e32 v8, vcc, 0xb64, v8
	v_addc_co_u32_e32 v9, vcc, 0, v9, vcc
	s_waitcnt vmcnt(0)
	v_fmac_f32_e32 v5, v14, v10
	v_fmac_f32_e32 v6, 0, v10
	;; [unrolled: 1-line block ×4, first 2 shown]
	s_branch .LBB394_7
.LBB394_10:
	v_lshlrev_b32_e32 v7, 3, v0
	s_and_b64 vcc, exec, s[16:17]
	ds_write_b64 v7, v[5:6]
	s_waitcnt lgkmcnt(0)
	s_barrier
	s_cbranch_vccz .LBB394_22
; %bb.11:
	v_cmp_gt_u16_e32 vcc, 11, v12
	s_and_saveexec_b64 s[0:1], vcc
	s_cbranch_execz .LBB394_13
; %bb.12:
	ds_read2_b64 v[8:11], v7 offset1:16
	s_waitcnt lgkmcnt(0)
	v_add_f32_e32 v8, v10, v8
	v_add_f32_e32 v9, v11, v9
	ds_write_b64 v7, v[8:9]
.LBB394_13:
	s_or_b64 exec, exec, s[0:1]
	v_cmp_gt_u16_e32 vcc, 8, v12
	s_waitcnt lgkmcnt(0)
	s_barrier
	s_and_saveexec_b64 s[0:1], vcc
	s_cbranch_execz .LBB394_15
; %bb.14:
	ds_read2_b64 v[8:11], v7 offset1:8
	s_waitcnt lgkmcnt(0)
	v_add_f32_e32 v8, v10, v8
	v_add_f32_e32 v9, v11, v9
	ds_write_b64 v7, v[8:9]
.LBB394_15:
	s_or_b64 exec, exec, s[0:1]
	v_cmp_gt_u16_e32 vcc, 4, v12
	s_waitcnt lgkmcnt(0)
	s_barrier
	;; [unrolled: 13-line block ×3, first 2 shown]
	s_and_saveexec_b64 s[0:1], vcc
	s_cbranch_execz .LBB394_19
; %bb.18:
	ds_read2_b64 v[8:11], v7 offset1:2
	s_waitcnt lgkmcnt(0)
	v_add_f32_e32 v8, v10, v8
	v_add_f32_e32 v9, v11, v9
	ds_write_b64 v7, v[8:9]
.LBB394_19:
	s_or_b64 exec, exec, s[0:1]
	v_cmp_gt_u32_e32 vcc, 27, v0
	v_mov_b32_e32 v9, v6
	v_mov_b32_e32 v8, v5
	s_waitcnt lgkmcnt(0)
	s_barrier
	s_and_saveexec_b64 s[0:1], vcc
	s_cbranch_execz .LBB394_21
; %bb.20:
	s_movk_i32 s2, 0xd0
	v_mad_u32_u24 v8, v0, s2, v7
	ds_read2_b64 v[8:11], v8 offset1:1
	s_waitcnt lgkmcnt(0)
	v_add_f32_e32 v8, v10, v8
	v_add_f32_e32 v9, v11, v9
.LBB394_21:
	s_or_b64 exec, exec, s[0:1]
	s_branch .LBB394_34
.LBB394_22:
                                        ; implicit-def: $vgpr9
                                        ; implicit-def: $vgpr8
	s_cbranch_execz .LBB394_34
; %bb.23:
	s_movk_i32 s0, 0x129
	v_cmp_gt_u32_e32 vcc, s0, v0
	s_and_saveexec_b64 s[0:1], vcc
	s_cbranch_execz .LBB394_25
; %bb.24:
	ds_read_b64 v[8:9], v7 offset:3456
	ds_read_b64 v[10:11], v7
	s_waitcnt lgkmcnt(0)
	v_add_f32_e32 v8, v8, v10
	v_add_f32_e32 v9, v9, v11
	ds_write_b64 v7, v[8:9]
.LBB394_25:
	s_or_b64 exec, exec, s[0:1]
	s_movk_i32 s0, 0xd8
	v_cmp_gt_u32_e32 vcc, s0, v0
	s_waitcnt lgkmcnt(0)
	s_barrier
	s_and_saveexec_b64 s[0:1], vcc
	s_cbranch_execz .LBB394_27
; %bb.26:
	ds_read2_b64 v[8:11], v7 offset1:216
	s_waitcnt lgkmcnt(0)
	v_add_f32_e32 v8, v10, v8
	v_add_f32_e32 v9, v11, v9
	ds_write_b64 v7, v[8:9]
.LBB394_27:
	s_or_b64 exec, exec, s[0:1]
	s_movk_i32 s0, 0x6c
	v_cmp_gt_u32_e32 vcc, s0, v0
	s_waitcnt lgkmcnt(0)
	s_barrier
	s_and_saveexec_b64 s[0:1], vcc
	s_cbranch_execz .LBB394_29
; %bb.28:
	ds_read2_b64 v[8:11], v7 offset1:108
	s_waitcnt lgkmcnt(0)
	v_add_f32_e32 v8, v10, v8
	v_add_f32_e32 v9, v11, v9
	ds_write_b64 v7, v[8:9]
.LBB394_29:
	s_or_b64 exec, exec, s[0:1]
	v_cmp_gt_u32_e32 vcc, 54, v0
	s_waitcnt lgkmcnt(0)
	s_barrier
	s_and_saveexec_b64 s[0:1], vcc
	s_cbranch_execz .LBB394_31
; %bb.30:
	ds_read2_b64 v[8:11], v7 offset1:54
	s_waitcnt lgkmcnt(0)
	v_add_f32_e32 v8, v10, v8
	v_add_f32_e32 v9, v11, v9
	ds_write_b64 v7, v[8:9]
.LBB394_31:
	s_or_b64 exec, exec, s[0:1]
	v_cmp_gt_u32_e32 vcc, 27, v0
	s_waitcnt lgkmcnt(0)
	s_and_saveexec_b64 s[0:1], vcc
	s_cbranch_execz .LBB394_33
; %bb.32:
	ds_read2_b64 v[5:8], v7 offset1:27
	s_waitcnt lgkmcnt(0)
	v_add_f32_e32 v5, v7, v5
	v_add_f32_e32 v6, v8, v6
.LBB394_33:
	s_or_b64 exec, exec, s[0:1]
	v_mov_b32_e32 v9, v6
	v_mov_b32_e32 v8, v5
.LBB394_34:
	v_cmp_gt_u32_e32 vcc, 27, v0
	s_and_b64 exec, exec, vcc
	s_cbranch_execz .LBB394_39
; %bb.35:
	v_cmp_eq_f32_e32 vcc, 0, v1
	v_cmp_eq_f32_e64 s[0:1], 0, v2
	v_mul_f32_e64 v5, v9, -v4
	v_mul_f32_e32 v6, v3, v9
	s_and_b64 s[0:1], vcc, s[0:1]
	v_fmac_f32_e32 v5, v3, v8
	v_fmac_f32_e32 v6, v4, v8
	s_and_saveexec_b64 s[2:3], s[0:1]
	s_xor_b64 s[0:1], exec, s[2:3]
	s_cbranch_execz .LBB394_37
; %bb.36:
	v_mad_u64_u32 v[0:1], s[2:3], s6, 27, v[0:1]
	v_mov_b32_e32 v1, 0
	v_mov_b32_e32 v2, s13
	v_lshlrev_b64 v[0:1], 3, v[0:1]
	v_add_co_u32_e32 v0, vcc, s12, v0
	v_addc_co_u32_e32 v1, vcc, v2, v1, vcc
	global_store_dwordx2 v[0:1], v[5:6], off
                                        ; implicit-def: $vgpr0
                                        ; implicit-def: $vgpr1_vgpr2
                                        ; implicit-def: $vgpr5
.LBB394_37:
	s_andn2_saveexec_b64 s[0:1], s[0:1]
	s_cbranch_execz .LBB394_39
; %bb.38:
	v_mad_u64_u32 v[3:4], s[0:1], s6, 27, v[0:1]
	v_mov_b32_e32 v4, 0
	v_mov_b32_e32 v0, s13
	v_lshlrev_b64 v[3:4], 3, v[3:4]
	v_add_co_u32_e32 v3, vcc, s12, v3
	v_addc_co_u32_e32 v4, vcc, v0, v4, vcc
	global_load_dwordx2 v[7:8], v[3:4], off
	s_waitcnt vmcnt(0)
	v_fmac_f32_e32 v5, v1, v7
	v_fmac_f32_e32 v6, v2, v7
	v_fma_f32 v5, -v2, v8, v5
	v_fmac_f32_e32 v6, v1, v8
	global_store_dwordx2 v[3:4], v[5:6], off
.LBB394_39:
	s_endpgm
	.section	.rodata,"a",@progbits
	.p2align	6, 0x0
	.amdhsa_kernel _ZN9rocsparseL20bsrxmvn_17_32_kernelILj27E21rocsparse_complex_numIfEiifS2_S2_EEvT2_20rocsparse_direction_NS_24const_host_device_scalarIT0_EES3_PKS3_PKT1_SC_S9_PKT3_PKT4_S7_PT5_21rocsparse_index_base_b
		.amdhsa_group_segment_fixed_size 5832
		.amdhsa_private_segment_fixed_size 0
		.amdhsa_kernarg_size 96
		.amdhsa_user_sgpr_count 6
		.amdhsa_user_sgpr_private_segment_buffer 1
		.amdhsa_user_sgpr_dispatch_ptr 0
		.amdhsa_user_sgpr_queue_ptr 0
		.amdhsa_user_sgpr_kernarg_segment_ptr 1
		.amdhsa_user_sgpr_dispatch_id 0
		.amdhsa_user_sgpr_flat_scratch_init 0
		.amdhsa_user_sgpr_private_segment_size 0
		.amdhsa_uses_dynamic_stack 0
		.amdhsa_system_sgpr_private_segment_wavefront_offset 0
		.amdhsa_system_sgpr_workgroup_id_x 1
		.amdhsa_system_sgpr_workgroup_id_y 0
		.amdhsa_system_sgpr_workgroup_id_z 0
		.amdhsa_system_sgpr_workgroup_info 0
		.amdhsa_system_vgpr_workitem_id 0
		.amdhsa_next_free_vgpr 25
		.amdhsa_next_free_sgpr 61
		.amdhsa_reserve_vcc 1
		.amdhsa_reserve_flat_scratch 0
		.amdhsa_float_round_mode_32 0
		.amdhsa_float_round_mode_16_64 0
		.amdhsa_float_denorm_mode_32 3
		.amdhsa_float_denorm_mode_16_64 3
		.amdhsa_dx10_clamp 1
		.amdhsa_ieee_mode 1
		.amdhsa_fp16_overflow 0
		.amdhsa_exception_fp_ieee_invalid_op 0
		.amdhsa_exception_fp_denorm_src 0
		.amdhsa_exception_fp_ieee_div_zero 0
		.amdhsa_exception_fp_ieee_overflow 0
		.amdhsa_exception_fp_ieee_underflow 0
		.amdhsa_exception_fp_ieee_inexact 0
		.amdhsa_exception_int_div_zero 0
	.end_amdhsa_kernel
	.section	.text._ZN9rocsparseL20bsrxmvn_17_32_kernelILj27E21rocsparse_complex_numIfEiifS2_S2_EEvT2_20rocsparse_direction_NS_24const_host_device_scalarIT0_EES3_PKS3_PKT1_SC_S9_PKT3_PKT4_S7_PT5_21rocsparse_index_base_b,"axG",@progbits,_ZN9rocsparseL20bsrxmvn_17_32_kernelILj27E21rocsparse_complex_numIfEiifS2_S2_EEvT2_20rocsparse_direction_NS_24const_host_device_scalarIT0_EES3_PKS3_PKT1_SC_S9_PKT3_PKT4_S7_PT5_21rocsparse_index_base_b,comdat
.Lfunc_end394:
	.size	_ZN9rocsparseL20bsrxmvn_17_32_kernelILj27E21rocsparse_complex_numIfEiifS2_S2_EEvT2_20rocsparse_direction_NS_24const_host_device_scalarIT0_EES3_PKS3_PKT1_SC_S9_PKT3_PKT4_S7_PT5_21rocsparse_index_base_b, .Lfunc_end394-_ZN9rocsparseL20bsrxmvn_17_32_kernelILj27E21rocsparse_complex_numIfEiifS2_S2_EEvT2_20rocsparse_direction_NS_24const_host_device_scalarIT0_EES3_PKS3_PKT1_SC_S9_PKT3_PKT4_S7_PT5_21rocsparse_index_base_b
                                        ; -- End function
	.set _ZN9rocsparseL20bsrxmvn_17_32_kernelILj27E21rocsparse_complex_numIfEiifS2_S2_EEvT2_20rocsparse_direction_NS_24const_host_device_scalarIT0_EES3_PKS3_PKT1_SC_S9_PKT3_PKT4_S7_PT5_21rocsparse_index_base_b.num_vgpr, 16
	.set _ZN9rocsparseL20bsrxmvn_17_32_kernelILj27E21rocsparse_complex_numIfEiifS2_S2_EEvT2_20rocsparse_direction_NS_24const_host_device_scalarIT0_EES3_PKS3_PKT1_SC_S9_PKT3_PKT4_S7_PT5_21rocsparse_index_base_b.num_agpr, 0
	.set _ZN9rocsparseL20bsrxmvn_17_32_kernelILj27E21rocsparse_complex_numIfEiifS2_S2_EEvT2_20rocsparse_direction_NS_24const_host_device_scalarIT0_EES3_PKS3_PKT1_SC_S9_PKT3_PKT4_S7_PT5_21rocsparse_index_base_b.numbered_sgpr, 18
	.set _ZN9rocsparseL20bsrxmvn_17_32_kernelILj27E21rocsparse_complex_numIfEiifS2_S2_EEvT2_20rocsparse_direction_NS_24const_host_device_scalarIT0_EES3_PKS3_PKT1_SC_S9_PKT3_PKT4_S7_PT5_21rocsparse_index_base_b.num_named_barrier, 0
	.set _ZN9rocsparseL20bsrxmvn_17_32_kernelILj27E21rocsparse_complex_numIfEiifS2_S2_EEvT2_20rocsparse_direction_NS_24const_host_device_scalarIT0_EES3_PKS3_PKT1_SC_S9_PKT3_PKT4_S7_PT5_21rocsparse_index_base_b.private_seg_size, 0
	.set _ZN9rocsparseL20bsrxmvn_17_32_kernelILj27E21rocsparse_complex_numIfEiifS2_S2_EEvT2_20rocsparse_direction_NS_24const_host_device_scalarIT0_EES3_PKS3_PKT1_SC_S9_PKT3_PKT4_S7_PT5_21rocsparse_index_base_b.uses_vcc, 1
	.set _ZN9rocsparseL20bsrxmvn_17_32_kernelILj27E21rocsparse_complex_numIfEiifS2_S2_EEvT2_20rocsparse_direction_NS_24const_host_device_scalarIT0_EES3_PKS3_PKT1_SC_S9_PKT3_PKT4_S7_PT5_21rocsparse_index_base_b.uses_flat_scratch, 0
	.set _ZN9rocsparseL20bsrxmvn_17_32_kernelILj27E21rocsparse_complex_numIfEiifS2_S2_EEvT2_20rocsparse_direction_NS_24const_host_device_scalarIT0_EES3_PKS3_PKT1_SC_S9_PKT3_PKT4_S7_PT5_21rocsparse_index_base_b.has_dyn_sized_stack, 0
	.set _ZN9rocsparseL20bsrxmvn_17_32_kernelILj27E21rocsparse_complex_numIfEiifS2_S2_EEvT2_20rocsparse_direction_NS_24const_host_device_scalarIT0_EES3_PKS3_PKT1_SC_S9_PKT3_PKT4_S7_PT5_21rocsparse_index_base_b.has_recursion, 0
	.set _ZN9rocsparseL20bsrxmvn_17_32_kernelILj27E21rocsparse_complex_numIfEiifS2_S2_EEvT2_20rocsparse_direction_NS_24const_host_device_scalarIT0_EES3_PKS3_PKT1_SC_S9_PKT3_PKT4_S7_PT5_21rocsparse_index_base_b.has_indirect_call, 0
	.section	.AMDGPU.csdata,"",@progbits
; Kernel info:
; codeLenInByte = 1412
; TotalNumSgprs: 22
; NumVgprs: 16
; ScratchSize: 0
; MemoryBound: 0
; FloatMode: 240
; IeeeMode: 1
; LDSByteSize: 5832 bytes/workgroup (compile time only)
; SGPRBlocks: 8
; VGPRBlocks: 6
; NumSGPRsForWavesPerEU: 65
; NumVGPRsForWavesPerEU: 25
; Occupancy: 9
; WaveLimiterHint : 1
; COMPUTE_PGM_RSRC2:SCRATCH_EN: 0
; COMPUTE_PGM_RSRC2:USER_SGPR: 6
; COMPUTE_PGM_RSRC2:TRAP_HANDLER: 0
; COMPUTE_PGM_RSRC2:TGID_X_EN: 1
; COMPUTE_PGM_RSRC2:TGID_Y_EN: 0
; COMPUTE_PGM_RSRC2:TGID_Z_EN: 0
; COMPUTE_PGM_RSRC2:TIDIG_COMP_CNT: 0
	.section	.text._ZN9rocsparseL20bsrxmvn_17_32_kernelILj28E21rocsparse_complex_numIfEiifS2_S2_EEvT2_20rocsparse_direction_NS_24const_host_device_scalarIT0_EES3_PKS3_PKT1_SC_S9_PKT3_PKT4_S7_PT5_21rocsparse_index_base_b,"axG",@progbits,_ZN9rocsparseL20bsrxmvn_17_32_kernelILj28E21rocsparse_complex_numIfEiifS2_S2_EEvT2_20rocsparse_direction_NS_24const_host_device_scalarIT0_EES3_PKS3_PKT1_SC_S9_PKT3_PKT4_S7_PT5_21rocsparse_index_base_b,comdat
	.globl	_ZN9rocsparseL20bsrxmvn_17_32_kernelILj28E21rocsparse_complex_numIfEiifS2_S2_EEvT2_20rocsparse_direction_NS_24const_host_device_scalarIT0_EES3_PKS3_PKT1_SC_S9_PKT3_PKT4_S7_PT5_21rocsparse_index_base_b ; -- Begin function _ZN9rocsparseL20bsrxmvn_17_32_kernelILj28E21rocsparse_complex_numIfEiifS2_S2_EEvT2_20rocsparse_direction_NS_24const_host_device_scalarIT0_EES3_PKS3_PKT1_SC_S9_PKT3_PKT4_S7_PT5_21rocsparse_index_base_b
	.p2align	8
	.type	_ZN9rocsparseL20bsrxmvn_17_32_kernelILj28E21rocsparse_complex_numIfEiifS2_S2_EEvT2_20rocsparse_direction_NS_24const_host_device_scalarIT0_EES3_PKS3_PKT1_SC_S9_PKT3_PKT4_S7_PT5_21rocsparse_index_base_b,@function
_ZN9rocsparseL20bsrxmvn_17_32_kernelILj28E21rocsparse_complex_numIfEiifS2_S2_EEvT2_20rocsparse_direction_NS_24const_host_device_scalarIT0_EES3_PKS3_PKT1_SC_S9_PKT3_PKT4_S7_PT5_21rocsparse_index_base_b: ; @_ZN9rocsparseL20bsrxmvn_17_32_kernelILj28E21rocsparse_complex_numIfEiifS2_S2_EEvT2_20rocsparse_direction_NS_24const_host_device_scalarIT0_EES3_PKS3_PKT1_SC_S9_PKT3_PKT4_S7_PT5_21rocsparse_index_base_b
; %bb.0:
	s_load_dwordx2 s[0:1], s[4:5], 0x8
	s_load_dwordx2 s[14:15], s[4:5], 0x58
	s_add_u32 s7, s4, 8
	s_addc_u32 s8, s5, 0
	s_add_u32 s9, s4, 0x48
	s_load_dwordx2 s[2:3], s[4:5], 0x48
	s_addc_u32 s10, s5, 0
	s_waitcnt lgkmcnt(0)
	s_bitcmp1_b32 s15, 0
	s_cselect_b32 s1, s8, s1
	s_cselect_b32 s0, s7, s0
	v_mov_b32_e32 v1, s0
	v_mov_b32_e32 v2, s1
	flat_load_dwordx2 v[3:4], v[1:2]
	s_cselect_b32 s0, s10, s3
	s_cselect_b32 s1, s9, s2
	v_mov_b32_e32 v1, s1
	v_mov_b32_e32 v2, s0
	flat_load_dwordx2 v[1:2], v[1:2]
	s_waitcnt vmcnt(0) lgkmcnt(0)
	v_cmp_eq_f32_e32 vcc, 0, v3
	v_cmp_eq_f32_e64 s[0:1], 0, v4
	s_and_b64 s[8:9], vcc, s[0:1]
	s_mov_b64 s[0:1], -1
	s_and_saveexec_b64 s[2:3], s[8:9]
; %bb.1:
	v_cmp_neq_f32_e32 vcc, 1.0, v1
	v_cmp_neq_f32_e64 s[0:1], 0, v2
	s_or_b64 s[0:1], vcc, s[0:1]
	s_orn2_b64 s[0:1], s[0:1], exec
; %bb.2:
	s_or_b64 exec, exec, s[2:3]
	s_and_saveexec_b64 s[2:3], s[0:1]
	s_cbranch_execz .LBB395_39
; %bb.3:
	s_load_dwordx4 s[0:3], s[4:5], 0x18
	s_load_dwordx2 s[8:9], s[4:5], 0x28
	s_waitcnt lgkmcnt(0)
	s_cmp_eq_u64 s[0:1], 0
	s_cbranch_scc1 .LBB395_5
; %bb.4:
	s_ashr_i32 s7, s6, 31
	s_lshl_b64 s[6:7], s[6:7], 2
	s_add_u32 s0, s0, s6
	s_addc_u32 s1, s1, s7
	s_load_dword s0, s[0:1], 0x0
	s_waitcnt lgkmcnt(0)
	s_sub_i32 s6, s0, s14
.LBB395_5:
	s_load_dword s0, s[4:5], 0x4
	s_load_dwordx2 s[12:13], s[4:5], 0x50
	v_mul_u32_u24_e32 v7, 0x925, v0
	v_mov_b32_e32 v5, 28
	v_mul_lo_u16_sdwa v5, v7, v5 dst_sel:DWORD dst_unused:UNUSED_PAD src0_sel:WORD_1 src1_sel:DWORD
	s_waitcnt lgkmcnt(0)
	s_cmp_eq_u32 s0, 1
	s_cselect_b64 vcc, -1, 0
	s_cmp_lg_u32 s0, 1
	s_cselect_b64 s[16:17], -1, 0
	s_ashr_i32 s7, s6, 31
	s_lshl_b64 s[0:1], s[6:7], 2
	s_add_u32 s2, s2, s0
	s_addc_u32 s3, s3, s1
	s_load_dword s7, s[2:3], 0x0
	s_add_u32 s2, s2, 4
	s_addc_u32 s3, s3, 0
	s_add_u32 s0, s8, s0
	s_addc_u32 s1, s9, s1
	s_cmp_eq_u64 s[8:9], 0
	s_cselect_b32 s1, s3, s1
	s_cselect_b32 s0, s2, s0
	s_load_dword s0, s[0:1], 0x0
	v_sub_u16_e32 v12, v0, v5
	v_mov_b32_e32 v6, 0
	v_mov_b32_e32 v5, 0
	s_waitcnt lgkmcnt(0)
	s_cmp_ge_i32 s7, s0
	s_cbranch_scc1 .LBB395_10
; %bb.6:
	s_load_dwordx4 s[8:11], s[4:5], 0x30
	s_load_dwordx2 s[2:3], s[4:5], 0x40
	s_sub_i32 s4, s0, s14
	s_mov_b32 s0, 0xffff
	s_movk_i32 s1, 0x310
	v_and_b32_sdwa v5, s0, v7 dst_sel:DWORD dst_unused:UNUSED_PAD src0_sel:DWORD src1_sel:WORD_1
	v_subrev_u32_e32 v6, 28, v5
	v_cmp_gt_u32_e64 s[0:1], s1, v0
	s_sub_i32 s5, s7, s14
	v_cndmask_b32_e64 v5, v6, v5, s[0:1]
	s_mul_i32 s1, s5, 0xc40
	s_mul_hi_i32 s0, s5, 0xc40
	s_waitcnt lgkmcnt(0)
	s_add_u32 s1, s10, s1
	v_cndmask_b32_e32 v7, v12, v5, vcc
	s_addc_u32 s0, s11, s0
	v_lshlrev_b32_e32 v5, 2, v0
	v_mov_b32_e32 v9, s0
	v_add_co_u32_e32 v8, vcc, s1, v5
	v_addc_co_u32_e32 v9, vcc, 0, v9, vcc
	s_movk_i32 s0, 0x30f
	v_mov_b32_e32 v6, 0
	v_cmp_lt_u32_e32 vcc, s0, v0
	v_cndmask_b32_e64 v13, 0, 1, vcc
	v_mov_b32_e32 v5, v6
	s_branch .LBB395_8
.LBB395_7:                              ;   in Loop: Header=BB395_8 Depth=1
	s_or_b64 exec, exec, s[0:1]
	s_add_i32 s5, s5, 1
	s_cmp_lt_i32 s5, s4
	s_cbranch_scc0 .LBB395_10
.LBB395_8:                              ; =>This Inner Loop Header: Depth=1
	v_add_u32_e32 v10, s5, v13
	v_cmp_gt_i32_e32 vcc, s4, v10
	s_and_saveexec_b64 s[0:1], vcc
	s_cbranch_execz .LBB395_7
; %bb.9:                                ;   in Loop: Header=BB395_8 Depth=1
	v_ashrrev_i32_e32 v11, 31, v10
	v_lshlrev_b64 v[10:11], 2, v[10:11]
	v_mov_b32_e32 v14, s9
	v_add_co_u32_e32 v10, vcc, s8, v10
	v_addc_co_u32_e32 v11, vcc, v14, v11, vcc
	global_load_dword v10, v[10:11], off
	v_mov_b32_e32 v15, s3
	global_load_dword v14, v[8:9], off
	s_waitcnt vmcnt(1)
	v_subrev_u32_e32 v10, s14, v10
	v_mad_u64_u32 v[10:11], s[10:11], v10, 28, v[7:8]
	v_ashrrev_i32_e32 v11, 31, v10
	v_lshlrev_b64 v[10:11], 3, v[10:11]
	v_add_co_u32_e32 v10, vcc, s2, v10
	v_addc_co_u32_e32 v11, vcc, v15, v11, vcc
	global_load_dwordx2 v[10:11], v[10:11], off
	v_add_co_u32_e32 v8, vcc, 0xc40, v8
	v_addc_co_u32_e32 v9, vcc, 0, v9, vcc
	s_waitcnt vmcnt(0)
	v_fmac_f32_e32 v5, v14, v10
	v_fmac_f32_e32 v6, 0, v10
	;; [unrolled: 1-line block ×4, first 2 shown]
	s_branch .LBB395_7
.LBB395_10:
	v_lshlrev_b32_e32 v7, 3, v0
	s_and_b64 vcc, exec, s[16:17]
	ds_write_b64 v7, v[5:6]
	s_waitcnt lgkmcnt(0)
	s_barrier
	s_cbranch_vccz .LBB395_22
; %bb.11:
	v_cmp_gt_u16_e32 vcc, 12, v12
	s_and_saveexec_b64 s[0:1], vcc
	s_cbranch_execz .LBB395_13
; %bb.12:
	ds_read2_b64 v[8:11], v7 offset1:16
	s_waitcnt lgkmcnt(0)
	v_add_f32_e32 v8, v10, v8
	v_add_f32_e32 v9, v11, v9
	ds_write_b64 v7, v[8:9]
.LBB395_13:
	s_or_b64 exec, exec, s[0:1]
	v_cmp_gt_u16_e32 vcc, 8, v12
	s_waitcnt lgkmcnt(0)
	s_barrier
	s_and_saveexec_b64 s[0:1], vcc
	s_cbranch_execz .LBB395_15
; %bb.14:
	ds_read2_b64 v[8:11], v7 offset1:8
	s_waitcnt lgkmcnt(0)
	v_add_f32_e32 v8, v10, v8
	v_add_f32_e32 v9, v11, v9
	ds_write_b64 v7, v[8:9]
.LBB395_15:
	s_or_b64 exec, exec, s[0:1]
	v_cmp_gt_u16_e32 vcc, 4, v12
	s_waitcnt lgkmcnt(0)
	s_barrier
	;; [unrolled: 13-line block ×3, first 2 shown]
	s_and_saveexec_b64 s[0:1], vcc
	s_cbranch_execz .LBB395_19
; %bb.18:
	ds_read2_b64 v[8:11], v7 offset1:2
	s_waitcnt lgkmcnt(0)
	v_add_f32_e32 v8, v10, v8
	v_add_f32_e32 v9, v11, v9
	ds_write_b64 v7, v[8:9]
.LBB395_19:
	s_or_b64 exec, exec, s[0:1]
	v_cmp_gt_u32_e32 vcc, 28, v0
	v_mov_b32_e32 v9, v6
	v_mov_b32_e32 v8, v5
	s_waitcnt lgkmcnt(0)
	s_barrier
	s_and_saveexec_b64 s[0:1], vcc
	s_cbranch_execz .LBB395_21
; %bb.20:
	s_movk_i32 s2, 0xd8
	v_mad_u32_u24 v8, v0, s2, v7
	ds_read2_b64 v[8:11], v8 offset1:1
	s_waitcnt lgkmcnt(0)
	v_add_f32_e32 v8, v10, v8
	v_add_f32_e32 v9, v11, v9
.LBB395_21:
	s_or_b64 exec, exec, s[0:1]
	s_branch .LBB395_34
.LBB395_22:
                                        ; implicit-def: $vgpr9
                                        ; implicit-def: $vgpr8
	s_cbranch_execz .LBB395_34
; %bb.23:
	s_movk_i32 s0, 0x150
	v_cmp_gt_u32_e32 vcc, s0, v0
	s_and_saveexec_b64 s[0:1], vcc
	s_cbranch_execz .LBB395_25
; %bb.24:
	ds_read2st64_b64 v[8:11], v7 offset1:7
	s_waitcnt lgkmcnt(0)
	v_add_f32_e32 v8, v10, v8
	v_add_f32_e32 v9, v11, v9
	ds_write_b64 v7, v[8:9]
.LBB395_25:
	s_or_b64 exec, exec, s[0:1]
	s_movk_i32 s0, 0xe0
	v_cmp_gt_u32_e32 vcc, s0, v0
	s_waitcnt lgkmcnt(0)
	s_barrier
	s_and_saveexec_b64 s[0:1], vcc
	s_cbranch_execz .LBB395_27
; %bb.26:
	ds_read2_b64 v[8:11], v7 offset1:224
	s_waitcnt lgkmcnt(0)
	v_add_f32_e32 v8, v10, v8
	v_add_f32_e32 v9, v11, v9
	ds_write_b64 v7, v[8:9]
.LBB395_27:
	s_or_b64 exec, exec, s[0:1]
	s_movk_i32 s0, 0x70
	v_cmp_gt_u32_e32 vcc, s0, v0
	s_waitcnt lgkmcnt(0)
	s_barrier
	s_and_saveexec_b64 s[0:1], vcc
	s_cbranch_execz .LBB395_29
; %bb.28:
	ds_read2_b64 v[8:11], v7 offset1:112
	s_waitcnt lgkmcnt(0)
	v_add_f32_e32 v8, v10, v8
	v_add_f32_e32 v9, v11, v9
	ds_write_b64 v7, v[8:9]
.LBB395_29:
	s_or_b64 exec, exec, s[0:1]
	v_cmp_gt_u32_e32 vcc, 56, v0
	s_waitcnt lgkmcnt(0)
	s_barrier
	s_and_saveexec_b64 s[0:1], vcc
	s_cbranch_execz .LBB395_31
; %bb.30:
	ds_read2_b64 v[8:11], v7 offset1:56
	s_waitcnt lgkmcnt(0)
	v_add_f32_e32 v8, v10, v8
	v_add_f32_e32 v9, v11, v9
	ds_write_b64 v7, v[8:9]
.LBB395_31:
	s_or_b64 exec, exec, s[0:1]
	v_cmp_gt_u32_e32 vcc, 28, v0
	s_waitcnt lgkmcnt(0)
	s_and_saveexec_b64 s[0:1], vcc
	s_cbranch_execz .LBB395_33
; %bb.32:
	ds_read2_b64 v[5:8], v7 offset1:28
	s_waitcnt lgkmcnt(0)
	v_add_f32_e32 v5, v7, v5
	v_add_f32_e32 v6, v8, v6
.LBB395_33:
	s_or_b64 exec, exec, s[0:1]
	v_mov_b32_e32 v9, v6
	v_mov_b32_e32 v8, v5
.LBB395_34:
	v_cmp_gt_u32_e32 vcc, 28, v0
	s_and_b64 exec, exec, vcc
	s_cbranch_execz .LBB395_39
; %bb.35:
	v_cmp_eq_f32_e32 vcc, 0, v1
	v_cmp_eq_f32_e64 s[0:1], 0, v2
	v_mul_f32_e64 v5, v9, -v4
	v_mul_f32_e32 v6, v3, v9
	s_and_b64 s[0:1], vcc, s[0:1]
	v_fmac_f32_e32 v5, v3, v8
	v_fmac_f32_e32 v6, v4, v8
	s_and_saveexec_b64 s[2:3], s[0:1]
	s_xor_b64 s[0:1], exec, s[2:3]
	s_cbranch_execz .LBB395_37
; %bb.36:
	v_mad_u64_u32 v[0:1], s[2:3], s6, 28, v[0:1]
	v_mov_b32_e32 v1, 0
	v_mov_b32_e32 v2, s13
	v_lshlrev_b64 v[0:1], 3, v[0:1]
	v_add_co_u32_e32 v0, vcc, s12, v0
	v_addc_co_u32_e32 v1, vcc, v2, v1, vcc
	global_store_dwordx2 v[0:1], v[5:6], off
                                        ; implicit-def: $vgpr0
                                        ; implicit-def: $vgpr1_vgpr2
                                        ; implicit-def: $vgpr5
.LBB395_37:
	s_andn2_saveexec_b64 s[0:1], s[0:1]
	s_cbranch_execz .LBB395_39
; %bb.38:
	v_mad_u64_u32 v[3:4], s[0:1], s6, 28, v[0:1]
	v_mov_b32_e32 v4, 0
	v_mov_b32_e32 v0, s13
	v_lshlrev_b64 v[3:4], 3, v[3:4]
	v_add_co_u32_e32 v3, vcc, s12, v3
	v_addc_co_u32_e32 v4, vcc, v0, v4, vcc
	global_load_dwordx2 v[7:8], v[3:4], off
	s_waitcnt vmcnt(0)
	v_fmac_f32_e32 v5, v1, v7
	v_fmac_f32_e32 v6, v2, v7
	v_fma_f32 v5, -v2, v8, v5
	v_fmac_f32_e32 v6, v1, v8
	global_store_dwordx2 v[3:4], v[5:6], off
.LBB395_39:
	s_endpgm
	.section	.rodata,"a",@progbits
	.p2align	6, 0x0
	.amdhsa_kernel _ZN9rocsparseL20bsrxmvn_17_32_kernelILj28E21rocsparse_complex_numIfEiifS2_S2_EEvT2_20rocsparse_direction_NS_24const_host_device_scalarIT0_EES3_PKS3_PKT1_SC_S9_PKT3_PKT4_S7_PT5_21rocsparse_index_base_b
		.amdhsa_group_segment_fixed_size 6272
		.amdhsa_private_segment_fixed_size 0
		.amdhsa_kernarg_size 96
		.amdhsa_user_sgpr_count 6
		.amdhsa_user_sgpr_private_segment_buffer 1
		.amdhsa_user_sgpr_dispatch_ptr 0
		.amdhsa_user_sgpr_queue_ptr 0
		.amdhsa_user_sgpr_kernarg_segment_ptr 1
		.amdhsa_user_sgpr_dispatch_id 0
		.amdhsa_user_sgpr_flat_scratch_init 0
		.amdhsa_user_sgpr_private_segment_size 0
		.amdhsa_uses_dynamic_stack 0
		.amdhsa_system_sgpr_private_segment_wavefront_offset 0
		.amdhsa_system_sgpr_workgroup_id_x 1
		.amdhsa_system_sgpr_workgroup_id_y 0
		.amdhsa_system_sgpr_workgroup_id_z 0
		.amdhsa_system_sgpr_workgroup_info 0
		.amdhsa_system_vgpr_workitem_id 0
		.amdhsa_next_free_vgpr 16
		.amdhsa_next_free_sgpr 18
		.amdhsa_reserve_vcc 1
		.amdhsa_reserve_flat_scratch 0
		.amdhsa_float_round_mode_32 0
		.amdhsa_float_round_mode_16_64 0
		.amdhsa_float_denorm_mode_32 3
		.amdhsa_float_denorm_mode_16_64 3
		.amdhsa_dx10_clamp 1
		.amdhsa_ieee_mode 1
		.amdhsa_fp16_overflow 0
		.amdhsa_exception_fp_ieee_invalid_op 0
		.amdhsa_exception_fp_denorm_src 0
		.amdhsa_exception_fp_ieee_div_zero 0
		.amdhsa_exception_fp_ieee_overflow 0
		.amdhsa_exception_fp_ieee_underflow 0
		.amdhsa_exception_fp_ieee_inexact 0
		.amdhsa_exception_int_div_zero 0
	.end_amdhsa_kernel
	.section	.text._ZN9rocsparseL20bsrxmvn_17_32_kernelILj28E21rocsparse_complex_numIfEiifS2_S2_EEvT2_20rocsparse_direction_NS_24const_host_device_scalarIT0_EES3_PKS3_PKT1_SC_S9_PKT3_PKT4_S7_PT5_21rocsparse_index_base_b,"axG",@progbits,_ZN9rocsparseL20bsrxmvn_17_32_kernelILj28E21rocsparse_complex_numIfEiifS2_S2_EEvT2_20rocsparse_direction_NS_24const_host_device_scalarIT0_EES3_PKS3_PKT1_SC_S9_PKT3_PKT4_S7_PT5_21rocsparse_index_base_b,comdat
.Lfunc_end395:
	.size	_ZN9rocsparseL20bsrxmvn_17_32_kernelILj28E21rocsparse_complex_numIfEiifS2_S2_EEvT2_20rocsparse_direction_NS_24const_host_device_scalarIT0_EES3_PKS3_PKT1_SC_S9_PKT3_PKT4_S7_PT5_21rocsparse_index_base_b, .Lfunc_end395-_ZN9rocsparseL20bsrxmvn_17_32_kernelILj28E21rocsparse_complex_numIfEiifS2_S2_EEvT2_20rocsparse_direction_NS_24const_host_device_scalarIT0_EES3_PKS3_PKT1_SC_S9_PKT3_PKT4_S7_PT5_21rocsparse_index_base_b
                                        ; -- End function
	.set _ZN9rocsparseL20bsrxmvn_17_32_kernelILj28E21rocsparse_complex_numIfEiifS2_S2_EEvT2_20rocsparse_direction_NS_24const_host_device_scalarIT0_EES3_PKS3_PKT1_SC_S9_PKT3_PKT4_S7_PT5_21rocsparse_index_base_b.num_vgpr, 16
	.set _ZN9rocsparseL20bsrxmvn_17_32_kernelILj28E21rocsparse_complex_numIfEiifS2_S2_EEvT2_20rocsparse_direction_NS_24const_host_device_scalarIT0_EES3_PKS3_PKT1_SC_S9_PKT3_PKT4_S7_PT5_21rocsparse_index_base_b.num_agpr, 0
	.set _ZN9rocsparseL20bsrxmvn_17_32_kernelILj28E21rocsparse_complex_numIfEiifS2_S2_EEvT2_20rocsparse_direction_NS_24const_host_device_scalarIT0_EES3_PKS3_PKT1_SC_S9_PKT3_PKT4_S7_PT5_21rocsparse_index_base_b.numbered_sgpr, 18
	.set _ZN9rocsparseL20bsrxmvn_17_32_kernelILj28E21rocsparse_complex_numIfEiifS2_S2_EEvT2_20rocsparse_direction_NS_24const_host_device_scalarIT0_EES3_PKS3_PKT1_SC_S9_PKT3_PKT4_S7_PT5_21rocsparse_index_base_b.num_named_barrier, 0
	.set _ZN9rocsparseL20bsrxmvn_17_32_kernelILj28E21rocsparse_complex_numIfEiifS2_S2_EEvT2_20rocsparse_direction_NS_24const_host_device_scalarIT0_EES3_PKS3_PKT1_SC_S9_PKT3_PKT4_S7_PT5_21rocsparse_index_base_b.private_seg_size, 0
	.set _ZN9rocsparseL20bsrxmvn_17_32_kernelILj28E21rocsparse_complex_numIfEiifS2_S2_EEvT2_20rocsparse_direction_NS_24const_host_device_scalarIT0_EES3_PKS3_PKT1_SC_S9_PKT3_PKT4_S7_PT5_21rocsparse_index_base_b.uses_vcc, 1
	.set _ZN9rocsparseL20bsrxmvn_17_32_kernelILj28E21rocsparse_complex_numIfEiifS2_S2_EEvT2_20rocsparse_direction_NS_24const_host_device_scalarIT0_EES3_PKS3_PKT1_SC_S9_PKT3_PKT4_S7_PT5_21rocsparse_index_base_b.uses_flat_scratch, 0
	.set _ZN9rocsparseL20bsrxmvn_17_32_kernelILj28E21rocsparse_complex_numIfEiifS2_S2_EEvT2_20rocsparse_direction_NS_24const_host_device_scalarIT0_EES3_PKS3_PKT1_SC_S9_PKT3_PKT4_S7_PT5_21rocsparse_index_base_b.has_dyn_sized_stack, 0
	.set _ZN9rocsparseL20bsrxmvn_17_32_kernelILj28E21rocsparse_complex_numIfEiifS2_S2_EEvT2_20rocsparse_direction_NS_24const_host_device_scalarIT0_EES3_PKS3_PKT1_SC_S9_PKT3_PKT4_S7_PT5_21rocsparse_index_base_b.has_recursion, 0
	.set _ZN9rocsparseL20bsrxmvn_17_32_kernelILj28E21rocsparse_complex_numIfEiifS2_S2_EEvT2_20rocsparse_direction_NS_24const_host_device_scalarIT0_EES3_PKS3_PKT1_SC_S9_PKT3_PKT4_S7_PT5_21rocsparse_index_base_b.has_indirect_call, 0
	.section	.AMDGPU.csdata,"",@progbits
; Kernel info:
; codeLenInByte = 1404
; TotalNumSgprs: 22
; NumVgprs: 16
; ScratchSize: 0
; MemoryBound: 0
; FloatMode: 240
; IeeeMode: 1
; LDSByteSize: 6272 bytes/workgroup (compile time only)
; SGPRBlocks: 2
; VGPRBlocks: 3
; NumSGPRsForWavesPerEU: 22
; NumVGPRsForWavesPerEU: 16
; Occupancy: 10
; WaveLimiterHint : 1
; COMPUTE_PGM_RSRC2:SCRATCH_EN: 0
; COMPUTE_PGM_RSRC2:USER_SGPR: 6
; COMPUTE_PGM_RSRC2:TRAP_HANDLER: 0
; COMPUTE_PGM_RSRC2:TGID_X_EN: 1
; COMPUTE_PGM_RSRC2:TGID_Y_EN: 0
; COMPUTE_PGM_RSRC2:TGID_Z_EN: 0
; COMPUTE_PGM_RSRC2:TIDIG_COMP_CNT: 0
	.section	.text._ZN9rocsparseL20bsrxmvn_17_32_kernelILj29E21rocsparse_complex_numIfEiifS2_S2_EEvT2_20rocsparse_direction_NS_24const_host_device_scalarIT0_EES3_PKS3_PKT1_SC_S9_PKT3_PKT4_S7_PT5_21rocsparse_index_base_b,"axG",@progbits,_ZN9rocsparseL20bsrxmvn_17_32_kernelILj29E21rocsparse_complex_numIfEiifS2_S2_EEvT2_20rocsparse_direction_NS_24const_host_device_scalarIT0_EES3_PKS3_PKT1_SC_S9_PKT3_PKT4_S7_PT5_21rocsparse_index_base_b,comdat
	.globl	_ZN9rocsparseL20bsrxmvn_17_32_kernelILj29E21rocsparse_complex_numIfEiifS2_S2_EEvT2_20rocsparse_direction_NS_24const_host_device_scalarIT0_EES3_PKS3_PKT1_SC_S9_PKT3_PKT4_S7_PT5_21rocsparse_index_base_b ; -- Begin function _ZN9rocsparseL20bsrxmvn_17_32_kernelILj29E21rocsparse_complex_numIfEiifS2_S2_EEvT2_20rocsparse_direction_NS_24const_host_device_scalarIT0_EES3_PKS3_PKT1_SC_S9_PKT3_PKT4_S7_PT5_21rocsparse_index_base_b
	.p2align	8
	.type	_ZN9rocsparseL20bsrxmvn_17_32_kernelILj29E21rocsparse_complex_numIfEiifS2_S2_EEvT2_20rocsparse_direction_NS_24const_host_device_scalarIT0_EES3_PKS3_PKT1_SC_S9_PKT3_PKT4_S7_PT5_21rocsparse_index_base_b,@function
_ZN9rocsparseL20bsrxmvn_17_32_kernelILj29E21rocsparse_complex_numIfEiifS2_S2_EEvT2_20rocsparse_direction_NS_24const_host_device_scalarIT0_EES3_PKS3_PKT1_SC_S9_PKT3_PKT4_S7_PT5_21rocsparse_index_base_b: ; @_ZN9rocsparseL20bsrxmvn_17_32_kernelILj29E21rocsparse_complex_numIfEiifS2_S2_EEvT2_20rocsparse_direction_NS_24const_host_device_scalarIT0_EES3_PKS3_PKT1_SC_S9_PKT3_PKT4_S7_PT5_21rocsparse_index_base_b
; %bb.0:
	s_load_dwordx2 s[0:1], s[4:5], 0x8
	s_load_dwordx2 s[14:15], s[4:5], 0x58
	s_add_u32 s7, s4, 8
	s_addc_u32 s8, s5, 0
	s_add_u32 s9, s4, 0x48
	s_load_dwordx2 s[2:3], s[4:5], 0x48
	s_addc_u32 s10, s5, 0
	s_waitcnt lgkmcnt(0)
	s_bitcmp1_b32 s15, 0
	s_cselect_b32 s1, s8, s1
	s_cselect_b32 s0, s7, s0
	v_mov_b32_e32 v1, s0
	v_mov_b32_e32 v2, s1
	flat_load_dwordx2 v[3:4], v[1:2]
	s_cselect_b32 s0, s10, s3
	s_cselect_b32 s1, s9, s2
	v_mov_b32_e32 v1, s1
	v_mov_b32_e32 v2, s0
	flat_load_dwordx2 v[1:2], v[1:2]
	s_waitcnt vmcnt(0) lgkmcnt(0)
	v_cmp_eq_f32_e32 vcc, 0, v3
	v_cmp_eq_f32_e64 s[0:1], 0, v4
	s_and_b64 s[8:9], vcc, s[0:1]
	s_mov_b64 s[0:1], -1
	s_and_saveexec_b64 s[2:3], s[8:9]
; %bb.1:
	v_cmp_neq_f32_e32 vcc, 1.0, v1
	v_cmp_neq_f32_e64 s[0:1], 0, v2
	s_or_b64 s[0:1], vcc, s[0:1]
	s_orn2_b64 s[0:1], s[0:1], exec
; %bb.2:
	s_or_b64 exec, exec, s[2:3]
	s_and_saveexec_b64 s[2:3], s[0:1]
	s_cbranch_execz .LBB396_39
; %bb.3:
	s_load_dwordx4 s[0:3], s[4:5], 0x18
	s_load_dwordx2 s[8:9], s[4:5], 0x28
	s_waitcnt lgkmcnt(0)
	s_cmp_eq_u64 s[0:1], 0
	s_cbranch_scc1 .LBB396_5
; %bb.4:
	s_ashr_i32 s7, s6, 31
	s_lshl_b64 s[6:7], s[6:7], 2
	s_add_u32 s0, s0, s6
	s_addc_u32 s1, s1, s7
	s_load_dword s0, s[0:1], 0x0
	s_waitcnt lgkmcnt(0)
	s_sub_i32 s6, s0, s14
.LBB396_5:
	s_load_dword s0, s[4:5], 0x4
	s_load_dwordx2 s[12:13], s[4:5], 0x50
	v_mul_u32_u24_e32 v7, 0x8d4, v0
	v_mov_b32_e32 v5, 29
	v_mul_lo_u16_sdwa v5, v7, v5 dst_sel:DWORD dst_unused:UNUSED_PAD src0_sel:WORD_1 src1_sel:DWORD
	s_waitcnt lgkmcnt(0)
	s_cmp_eq_u32 s0, 1
	s_cselect_b64 vcc, -1, 0
	s_cmp_lg_u32 s0, 1
	s_cselect_b64 s[16:17], -1, 0
	s_ashr_i32 s7, s6, 31
	s_lshl_b64 s[0:1], s[6:7], 2
	s_add_u32 s2, s2, s0
	s_addc_u32 s3, s3, s1
	s_load_dword s7, s[2:3], 0x0
	s_add_u32 s2, s2, 4
	s_addc_u32 s3, s3, 0
	s_add_u32 s0, s8, s0
	s_addc_u32 s1, s9, s1
	s_cmp_eq_u64 s[8:9], 0
	s_cselect_b32 s1, s3, s1
	s_cselect_b32 s0, s2, s0
	s_load_dword s0, s[0:1], 0x0
	v_sub_u16_e32 v12, v0, v5
	v_mov_b32_e32 v6, 0
	v_mov_b32_e32 v5, 0
	s_waitcnt lgkmcnt(0)
	s_cmp_ge_i32 s7, s0
	s_cbranch_scc1 .LBB396_10
; %bb.6:
	s_load_dwordx4 s[8:11], s[4:5], 0x30
	s_load_dwordx2 s[2:3], s[4:5], 0x40
	s_sub_i32 s4, s0, s14
	s_mov_b32 s0, 0xffff
	s_movk_i32 s1, 0x349
	v_and_b32_sdwa v5, s0, v7 dst_sel:DWORD dst_unused:UNUSED_PAD src0_sel:DWORD src1_sel:WORD_1
	v_subrev_u32_e32 v6, 29, v5
	v_cmp_gt_u32_e64 s[0:1], s1, v0
	s_sub_i32 s5, s7, s14
	v_cndmask_b32_e64 v5, v6, v5, s[0:1]
	s_mul_i32 s1, s5, 0xd24
	s_mul_hi_i32 s0, s5, 0xd24
	s_waitcnt lgkmcnt(0)
	s_add_u32 s1, s10, s1
	v_cndmask_b32_e32 v7, v12, v5, vcc
	s_addc_u32 s0, s11, s0
	v_lshlrev_b32_e32 v5, 2, v0
	v_mov_b32_e32 v9, s0
	v_add_co_u32_e32 v8, vcc, s1, v5
	v_addc_co_u32_e32 v9, vcc, 0, v9, vcc
	s_movk_i32 s0, 0x348
	v_mov_b32_e32 v6, 0
	v_cmp_lt_u32_e32 vcc, s0, v0
	v_cndmask_b32_e64 v13, 0, 1, vcc
	v_mov_b32_e32 v5, v6
	s_branch .LBB396_8
.LBB396_7:                              ;   in Loop: Header=BB396_8 Depth=1
	s_or_b64 exec, exec, s[0:1]
	s_add_i32 s5, s5, 1
	s_cmp_lt_i32 s5, s4
	s_cbranch_scc0 .LBB396_10
.LBB396_8:                              ; =>This Inner Loop Header: Depth=1
	v_add_u32_e32 v10, s5, v13
	v_cmp_gt_i32_e32 vcc, s4, v10
	s_and_saveexec_b64 s[0:1], vcc
	s_cbranch_execz .LBB396_7
; %bb.9:                                ;   in Loop: Header=BB396_8 Depth=1
	v_ashrrev_i32_e32 v11, 31, v10
	v_lshlrev_b64 v[10:11], 2, v[10:11]
	v_mov_b32_e32 v14, s9
	v_add_co_u32_e32 v10, vcc, s8, v10
	v_addc_co_u32_e32 v11, vcc, v14, v11, vcc
	global_load_dword v10, v[10:11], off
	v_mov_b32_e32 v15, s3
	global_load_dword v14, v[8:9], off
	s_waitcnt vmcnt(1)
	v_subrev_u32_e32 v10, s14, v10
	v_mad_u64_u32 v[10:11], s[10:11], v10, 29, v[7:8]
	v_ashrrev_i32_e32 v11, 31, v10
	v_lshlrev_b64 v[10:11], 3, v[10:11]
	v_add_co_u32_e32 v10, vcc, s2, v10
	v_addc_co_u32_e32 v11, vcc, v15, v11, vcc
	global_load_dwordx2 v[10:11], v[10:11], off
	v_add_co_u32_e32 v8, vcc, 0xd24, v8
	v_addc_co_u32_e32 v9, vcc, 0, v9, vcc
	s_waitcnt vmcnt(0)
	v_fmac_f32_e32 v5, v14, v10
	v_fmac_f32_e32 v6, 0, v10
	;; [unrolled: 1-line block ×4, first 2 shown]
	s_branch .LBB396_7
.LBB396_10:
	v_lshlrev_b32_e32 v7, 3, v0
	s_and_b64 vcc, exec, s[16:17]
	ds_write_b64 v7, v[5:6]
	s_waitcnt lgkmcnt(0)
	s_barrier
	s_cbranch_vccz .LBB396_22
; %bb.11:
	v_cmp_gt_u16_e32 vcc, 13, v12
	s_and_saveexec_b64 s[0:1], vcc
	s_cbranch_execz .LBB396_13
; %bb.12:
	ds_read2_b64 v[8:11], v7 offset1:16
	s_waitcnt lgkmcnt(0)
	v_add_f32_e32 v8, v10, v8
	v_add_f32_e32 v9, v11, v9
	ds_write_b64 v7, v[8:9]
.LBB396_13:
	s_or_b64 exec, exec, s[0:1]
	v_cmp_gt_u16_e32 vcc, 8, v12
	s_waitcnt lgkmcnt(0)
	s_barrier
	s_and_saveexec_b64 s[0:1], vcc
	s_cbranch_execz .LBB396_15
; %bb.14:
	ds_read2_b64 v[8:11], v7 offset1:8
	s_waitcnt lgkmcnt(0)
	v_add_f32_e32 v8, v10, v8
	v_add_f32_e32 v9, v11, v9
	ds_write_b64 v7, v[8:9]
.LBB396_15:
	s_or_b64 exec, exec, s[0:1]
	v_cmp_gt_u16_e32 vcc, 4, v12
	s_waitcnt lgkmcnt(0)
	s_barrier
	s_and_saveexec_b64 s[0:1], vcc
	s_cbranch_execz .LBB396_17
; %bb.16:
	ds_read2_b64 v[8:11], v7 offset1:4
	s_waitcnt lgkmcnt(0)
	v_add_f32_e32 v8, v10, v8
	v_add_f32_e32 v9, v11, v9
	ds_write_b64 v7, v[8:9]
.LBB396_17:
	s_or_b64 exec, exec, s[0:1]
	v_cmp_gt_u16_e32 vcc, 2, v12
	s_waitcnt lgkmcnt(0)
	s_barrier
	s_and_saveexec_b64 s[0:1], vcc
	s_cbranch_execz .LBB396_19
; %bb.18:
	ds_read2_b64 v[8:11], v7 offset1:2
	s_waitcnt lgkmcnt(0)
	v_add_f32_e32 v8, v10, v8
	v_add_f32_e32 v9, v11, v9
	ds_write_b64 v7, v[8:9]
.LBB396_19:
	s_or_b64 exec, exec, s[0:1]
	v_cmp_gt_u32_e32 vcc, 29, v0
	v_mov_b32_e32 v9, v6
	v_mov_b32_e32 v8, v5
	s_waitcnt lgkmcnt(0)
	s_barrier
	s_and_saveexec_b64 s[0:1], vcc
	s_cbranch_execz .LBB396_21
; %bb.20:
	s_movk_i32 s2, 0xe0
	v_mad_u32_u24 v8, v0, s2, v7
	ds_read2_b64 v[8:11], v8 offset1:1
	s_waitcnt lgkmcnt(0)
	v_add_f32_e32 v8, v10, v8
	v_add_f32_e32 v9, v11, v9
.LBB396_21:
	s_or_b64 exec, exec, s[0:1]
	s_branch .LBB396_34
.LBB396_22:
                                        ; implicit-def: $vgpr9
                                        ; implicit-def: $vgpr8
	s_cbranch_execz .LBB396_34
; %bb.23:
	s_movk_i32 s0, 0x179
	v_cmp_gt_u32_e32 vcc, s0, v0
	s_and_saveexec_b64 s[0:1], vcc
	s_cbranch_execz .LBB396_25
; %bb.24:
	ds_read_b64 v[8:9], v7 offset:3712
	ds_read_b64 v[10:11], v7
	s_waitcnt lgkmcnt(0)
	v_add_f32_e32 v8, v8, v10
	v_add_f32_e32 v9, v9, v11
	ds_write_b64 v7, v[8:9]
.LBB396_25:
	s_or_b64 exec, exec, s[0:1]
	s_movk_i32 s0, 0xe8
	v_cmp_gt_u32_e32 vcc, s0, v0
	s_waitcnt lgkmcnt(0)
	s_barrier
	s_and_saveexec_b64 s[0:1], vcc
	s_cbranch_execz .LBB396_27
; %bb.26:
	ds_read2_b64 v[8:11], v7 offset1:232
	s_waitcnt lgkmcnt(0)
	v_add_f32_e32 v8, v10, v8
	v_add_f32_e32 v9, v11, v9
	ds_write_b64 v7, v[8:9]
.LBB396_27:
	s_or_b64 exec, exec, s[0:1]
	s_movk_i32 s0, 0x74
	v_cmp_gt_u32_e32 vcc, s0, v0
	s_waitcnt lgkmcnt(0)
	s_barrier
	s_and_saveexec_b64 s[0:1], vcc
	s_cbranch_execz .LBB396_29
; %bb.28:
	ds_read2_b64 v[8:11], v7 offset1:116
	s_waitcnt lgkmcnt(0)
	v_add_f32_e32 v8, v10, v8
	v_add_f32_e32 v9, v11, v9
	ds_write_b64 v7, v[8:9]
.LBB396_29:
	s_or_b64 exec, exec, s[0:1]
	v_cmp_gt_u32_e32 vcc, 58, v0
	s_waitcnt lgkmcnt(0)
	s_barrier
	s_and_saveexec_b64 s[0:1], vcc
	s_cbranch_execz .LBB396_31
; %bb.30:
	ds_read2_b64 v[8:11], v7 offset1:58
	s_waitcnt lgkmcnt(0)
	v_add_f32_e32 v8, v10, v8
	v_add_f32_e32 v9, v11, v9
	ds_write_b64 v7, v[8:9]
.LBB396_31:
	s_or_b64 exec, exec, s[0:1]
	v_cmp_gt_u32_e32 vcc, 29, v0
	s_waitcnt lgkmcnt(0)
	s_and_saveexec_b64 s[0:1], vcc
	s_cbranch_execz .LBB396_33
; %bb.32:
	ds_read2_b64 v[5:8], v7 offset1:29
	s_waitcnt lgkmcnt(0)
	v_add_f32_e32 v5, v7, v5
	v_add_f32_e32 v6, v8, v6
.LBB396_33:
	s_or_b64 exec, exec, s[0:1]
	v_mov_b32_e32 v9, v6
	v_mov_b32_e32 v8, v5
.LBB396_34:
	v_cmp_gt_u32_e32 vcc, 29, v0
	s_and_b64 exec, exec, vcc
	s_cbranch_execz .LBB396_39
; %bb.35:
	v_cmp_eq_f32_e32 vcc, 0, v1
	v_cmp_eq_f32_e64 s[0:1], 0, v2
	v_mul_f32_e64 v5, v9, -v4
	v_mul_f32_e32 v6, v3, v9
	s_and_b64 s[0:1], vcc, s[0:1]
	v_fmac_f32_e32 v5, v3, v8
	v_fmac_f32_e32 v6, v4, v8
	s_and_saveexec_b64 s[2:3], s[0:1]
	s_xor_b64 s[0:1], exec, s[2:3]
	s_cbranch_execz .LBB396_37
; %bb.36:
	v_mad_u64_u32 v[0:1], s[2:3], s6, 29, v[0:1]
	v_mov_b32_e32 v1, 0
	v_mov_b32_e32 v2, s13
	v_lshlrev_b64 v[0:1], 3, v[0:1]
	v_add_co_u32_e32 v0, vcc, s12, v0
	v_addc_co_u32_e32 v1, vcc, v2, v1, vcc
	global_store_dwordx2 v[0:1], v[5:6], off
                                        ; implicit-def: $vgpr0
                                        ; implicit-def: $vgpr1_vgpr2
                                        ; implicit-def: $vgpr5
.LBB396_37:
	s_andn2_saveexec_b64 s[0:1], s[0:1]
	s_cbranch_execz .LBB396_39
; %bb.38:
	v_mad_u64_u32 v[3:4], s[0:1], s6, 29, v[0:1]
	v_mov_b32_e32 v4, 0
	v_mov_b32_e32 v0, s13
	v_lshlrev_b64 v[3:4], 3, v[3:4]
	v_add_co_u32_e32 v3, vcc, s12, v3
	v_addc_co_u32_e32 v4, vcc, v0, v4, vcc
	global_load_dwordx2 v[7:8], v[3:4], off
	s_waitcnt vmcnt(0)
	v_fmac_f32_e32 v5, v1, v7
	v_fmac_f32_e32 v6, v2, v7
	v_fma_f32 v5, -v2, v8, v5
	v_fmac_f32_e32 v6, v1, v8
	global_store_dwordx2 v[3:4], v[5:6], off
.LBB396_39:
	s_endpgm
	.section	.rodata,"a",@progbits
	.p2align	6, 0x0
	.amdhsa_kernel _ZN9rocsparseL20bsrxmvn_17_32_kernelILj29E21rocsparse_complex_numIfEiifS2_S2_EEvT2_20rocsparse_direction_NS_24const_host_device_scalarIT0_EES3_PKS3_PKT1_SC_S9_PKT3_PKT4_S7_PT5_21rocsparse_index_base_b
		.amdhsa_group_segment_fixed_size 6728
		.amdhsa_private_segment_fixed_size 0
		.amdhsa_kernarg_size 96
		.amdhsa_user_sgpr_count 6
		.amdhsa_user_sgpr_private_segment_buffer 1
		.amdhsa_user_sgpr_dispatch_ptr 0
		.amdhsa_user_sgpr_queue_ptr 0
		.amdhsa_user_sgpr_kernarg_segment_ptr 1
		.amdhsa_user_sgpr_dispatch_id 0
		.amdhsa_user_sgpr_flat_scratch_init 0
		.amdhsa_user_sgpr_private_segment_size 0
		.amdhsa_uses_dynamic_stack 0
		.amdhsa_system_sgpr_private_segment_wavefront_offset 0
		.amdhsa_system_sgpr_workgroup_id_x 1
		.amdhsa_system_sgpr_workgroup_id_y 0
		.amdhsa_system_sgpr_workgroup_id_z 0
		.amdhsa_system_sgpr_workgroup_info 0
		.amdhsa_system_vgpr_workitem_id 0
		.amdhsa_next_free_vgpr 33
		.amdhsa_next_free_sgpr 77
		.amdhsa_reserve_vcc 1
		.amdhsa_reserve_flat_scratch 0
		.amdhsa_float_round_mode_32 0
		.amdhsa_float_round_mode_16_64 0
		.amdhsa_float_denorm_mode_32 3
		.amdhsa_float_denorm_mode_16_64 3
		.amdhsa_dx10_clamp 1
		.amdhsa_ieee_mode 1
		.amdhsa_fp16_overflow 0
		.amdhsa_exception_fp_ieee_invalid_op 0
		.amdhsa_exception_fp_denorm_src 0
		.amdhsa_exception_fp_ieee_div_zero 0
		.amdhsa_exception_fp_ieee_overflow 0
		.amdhsa_exception_fp_ieee_underflow 0
		.amdhsa_exception_fp_ieee_inexact 0
		.amdhsa_exception_int_div_zero 0
	.end_amdhsa_kernel
	.section	.text._ZN9rocsparseL20bsrxmvn_17_32_kernelILj29E21rocsparse_complex_numIfEiifS2_S2_EEvT2_20rocsparse_direction_NS_24const_host_device_scalarIT0_EES3_PKS3_PKT1_SC_S9_PKT3_PKT4_S7_PT5_21rocsparse_index_base_b,"axG",@progbits,_ZN9rocsparseL20bsrxmvn_17_32_kernelILj29E21rocsparse_complex_numIfEiifS2_S2_EEvT2_20rocsparse_direction_NS_24const_host_device_scalarIT0_EES3_PKS3_PKT1_SC_S9_PKT3_PKT4_S7_PT5_21rocsparse_index_base_b,comdat
.Lfunc_end396:
	.size	_ZN9rocsparseL20bsrxmvn_17_32_kernelILj29E21rocsparse_complex_numIfEiifS2_S2_EEvT2_20rocsparse_direction_NS_24const_host_device_scalarIT0_EES3_PKS3_PKT1_SC_S9_PKT3_PKT4_S7_PT5_21rocsparse_index_base_b, .Lfunc_end396-_ZN9rocsparseL20bsrxmvn_17_32_kernelILj29E21rocsparse_complex_numIfEiifS2_S2_EEvT2_20rocsparse_direction_NS_24const_host_device_scalarIT0_EES3_PKS3_PKT1_SC_S9_PKT3_PKT4_S7_PT5_21rocsparse_index_base_b
                                        ; -- End function
	.set _ZN9rocsparseL20bsrxmvn_17_32_kernelILj29E21rocsparse_complex_numIfEiifS2_S2_EEvT2_20rocsparse_direction_NS_24const_host_device_scalarIT0_EES3_PKS3_PKT1_SC_S9_PKT3_PKT4_S7_PT5_21rocsparse_index_base_b.num_vgpr, 16
	.set _ZN9rocsparseL20bsrxmvn_17_32_kernelILj29E21rocsparse_complex_numIfEiifS2_S2_EEvT2_20rocsparse_direction_NS_24const_host_device_scalarIT0_EES3_PKS3_PKT1_SC_S9_PKT3_PKT4_S7_PT5_21rocsparse_index_base_b.num_agpr, 0
	.set _ZN9rocsparseL20bsrxmvn_17_32_kernelILj29E21rocsparse_complex_numIfEiifS2_S2_EEvT2_20rocsparse_direction_NS_24const_host_device_scalarIT0_EES3_PKS3_PKT1_SC_S9_PKT3_PKT4_S7_PT5_21rocsparse_index_base_b.numbered_sgpr, 18
	.set _ZN9rocsparseL20bsrxmvn_17_32_kernelILj29E21rocsparse_complex_numIfEiifS2_S2_EEvT2_20rocsparse_direction_NS_24const_host_device_scalarIT0_EES3_PKS3_PKT1_SC_S9_PKT3_PKT4_S7_PT5_21rocsparse_index_base_b.num_named_barrier, 0
	.set _ZN9rocsparseL20bsrxmvn_17_32_kernelILj29E21rocsparse_complex_numIfEiifS2_S2_EEvT2_20rocsparse_direction_NS_24const_host_device_scalarIT0_EES3_PKS3_PKT1_SC_S9_PKT3_PKT4_S7_PT5_21rocsparse_index_base_b.private_seg_size, 0
	.set _ZN9rocsparseL20bsrxmvn_17_32_kernelILj29E21rocsparse_complex_numIfEiifS2_S2_EEvT2_20rocsparse_direction_NS_24const_host_device_scalarIT0_EES3_PKS3_PKT1_SC_S9_PKT3_PKT4_S7_PT5_21rocsparse_index_base_b.uses_vcc, 1
	.set _ZN9rocsparseL20bsrxmvn_17_32_kernelILj29E21rocsparse_complex_numIfEiifS2_S2_EEvT2_20rocsparse_direction_NS_24const_host_device_scalarIT0_EES3_PKS3_PKT1_SC_S9_PKT3_PKT4_S7_PT5_21rocsparse_index_base_b.uses_flat_scratch, 0
	.set _ZN9rocsparseL20bsrxmvn_17_32_kernelILj29E21rocsparse_complex_numIfEiifS2_S2_EEvT2_20rocsparse_direction_NS_24const_host_device_scalarIT0_EES3_PKS3_PKT1_SC_S9_PKT3_PKT4_S7_PT5_21rocsparse_index_base_b.has_dyn_sized_stack, 0
	.set _ZN9rocsparseL20bsrxmvn_17_32_kernelILj29E21rocsparse_complex_numIfEiifS2_S2_EEvT2_20rocsparse_direction_NS_24const_host_device_scalarIT0_EES3_PKS3_PKT1_SC_S9_PKT3_PKT4_S7_PT5_21rocsparse_index_base_b.has_recursion, 0
	.set _ZN9rocsparseL20bsrxmvn_17_32_kernelILj29E21rocsparse_complex_numIfEiifS2_S2_EEvT2_20rocsparse_direction_NS_24const_host_device_scalarIT0_EES3_PKS3_PKT1_SC_S9_PKT3_PKT4_S7_PT5_21rocsparse_index_base_b.has_indirect_call, 0
	.section	.AMDGPU.csdata,"",@progbits
; Kernel info:
; codeLenInByte = 1412
; TotalNumSgprs: 22
; NumVgprs: 16
; ScratchSize: 0
; MemoryBound: 0
; FloatMode: 240
; IeeeMode: 1
; LDSByteSize: 6728 bytes/workgroup (compile time only)
; SGPRBlocks: 10
; VGPRBlocks: 8
; NumSGPRsForWavesPerEU: 81
; NumVGPRsForWavesPerEU: 33
; Occupancy: 7
; WaveLimiterHint : 1
; COMPUTE_PGM_RSRC2:SCRATCH_EN: 0
; COMPUTE_PGM_RSRC2:USER_SGPR: 6
; COMPUTE_PGM_RSRC2:TRAP_HANDLER: 0
; COMPUTE_PGM_RSRC2:TGID_X_EN: 1
; COMPUTE_PGM_RSRC2:TGID_Y_EN: 0
; COMPUTE_PGM_RSRC2:TGID_Z_EN: 0
; COMPUTE_PGM_RSRC2:TIDIG_COMP_CNT: 0
	.section	.text._ZN9rocsparseL20bsrxmvn_17_32_kernelILj30E21rocsparse_complex_numIfEiifS2_S2_EEvT2_20rocsparse_direction_NS_24const_host_device_scalarIT0_EES3_PKS3_PKT1_SC_S9_PKT3_PKT4_S7_PT5_21rocsparse_index_base_b,"axG",@progbits,_ZN9rocsparseL20bsrxmvn_17_32_kernelILj30E21rocsparse_complex_numIfEiifS2_S2_EEvT2_20rocsparse_direction_NS_24const_host_device_scalarIT0_EES3_PKS3_PKT1_SC_S9_PKT3_PKT4_S7_PT5_21rocsparse_index_base_b,comdat
	.globl	_ZN9rocsparseL20bsrxmvn_17_32_kernelILj30E21rocsparse_complex_numIfEiifS2_S2_EEvT2_20rocsparse_direction_NS_24const_host_device_scalarIT0_EES3_PKS3_PKT1_SC_S9_PKT3_PKT4_S7_PT5_21rocsparse_index_base_b ; -- Begin function _ZN9rocsparseL20bsrxmvn_17_32_kernelILj30E21rocsparse_complex_numIfEiifS2_S2_EEvT2_20rocsparse_direction_NS_24const_host_device_scalarIT0_EES3_PKS3_PKT1_SC_S9_PKT3_PKT4_S7_PT5_21rocsparse_index_base_b
	.p2align	8
	.type	_ZN9rocsparseL20bsrxmvn_17_32_kernelILj30E21rocsparse_complex_numIfEiifS2_S2_EEvT2_20rocsparse_direction_NS_24const_host_device_scalarIT0_EES3_PKS3_PKT1_SC_S9_PKT3_PKT4_S7_PT5_21rocsparse_index_base_b,@function
_ZN9rocsparseL20bsrxmvn_17_32_kernelILj30E21rocsparse_complex_numIfEiifS2_S2_EEvT2_20rocsparse_direction_NS_24const_host_device_scalarIT0_EES3_PKS3_PKT1_SC_S9_PKT3_PKT4_S7_PT5_21rocsparse_index_base_b: ; @_ZN9rocsparseL20bsrxmvn_17_32_kernelILj30E21rocsparse_complex_numIfEiifS2_S2_EEvT2_20rocsparse_direction_NS_24const_host_device_scalarIT0_EES3_PKS3_PKT1_SC_S9_PKT3_PKT4_S7_PT5_21rocsparse_index_base_b
; %bb.0:
	s_load_dwordx2 s[0:1], s[4:5], 0x8
	s_load_dwordx2 s[14:15], s[4:5], 0x58
	s_add_u32 s7, s4, 8
	s_addc_u32 s8, s5, 0
	s_add_u32 s9, s4, 0x48
	s_load_dwordx2 s[2:3], s[4:5], 0x48
	s_addc_u32 s10, s5, 0
	s_waitcnt lgkmcnt(0)
	s_bitcmp1_b32 s15, 0
	s_cselect_b32 s1, s8, s1
	s_cselect_b32 s0, s7, s0
	v_mov_b32_e32 v1, s0
	v_mov_b32_e32 v2, s1
	flat_load_dwordx2 v[3:4], v[1:2]
	s_cselect_b32 s0, s10, s3
	s_cselect_b32 s1, s9, s2
	v_mov_b32_e32 v1, s1
	v_mov_b32_e32 v2, s0
	flat_load_dwordx2 v[1:2], v[1:2]
	s_waitcnt vmcnt(0) lgkmcnt(0)
	v_cmp_eq_f32_e32 vcc, 0, v3
	v_cmp_eq_f32_e64 s[0:1], 0, v4
	s_and_b64 s[8:9], vcc, s[0:1]
	s_mov_b64 s[0:1], -1
	s_and_saveexec_b64 s[2:3], s[8:9]
; %bb.1:
	v_cmp_neq_f32_e32 vcc, 1.0, v1
	v_cmp_neq_f32_e64 s[0:1], 0, v2
	s_or_b64 s[0:1], vcc, s[0:1]
	s_orn2_b64 s[0:1], s[0:1], exec
; %bb.2:
	s_or_b64 exec, exec, s[2:3]
	s_and_saveexec_b64 s[2:3], s[0:1]
	s_cbranch_execz .LBB397_39
; %bb.3:
	s_load_dwordx4 s[0:3], s[4:5], 0x18
	s_load_dwordx2 s[8:9], s[4:5], 0x28
	s_waitcnt lgkmcnt(0)
	s_cmp_eq_u64 s[0:1], 0
	s_cbranch_scc1 .LBB397_5
; %bb.4:
	s_ashr_i32 s7, s6, 31
	s_lshl_b64 s[6:7], s[6:7], 2
	s_add_u32 s0, s0, s6
	s_addc_u32 s1, s1, s7
	s_load_dword s0, s[0:1], 0x0
	s_waitcnt lgkmcnt(0)
	s_sub_i32 s6, s0, s14
.LBB397_5:
	s_load_dword s0, s[4:5], 0x4
	s_load_dwordx2 s[12:13], s[4:5], 0x50
	v_mul_u32_u24_e32 v7, 0x889, v0
	v_mov_b32_e32 v5, 30
	v_mul_lo_u16_sdwa v5, v7, v5 dst_sel:DWORD dst_unused:UNUSED_PAD src0_sel:WORD_1 src1_sel:DWORD
	s_waitcnt lgkmcnt(0)
	s_cmp_eq_u32 s0, 1
	s_cselect_b64 vcc, -1, 0
	s_cmp_lg_u32 s0, 1
	s_cselect_b64 s[16:17], -1, 0
	s_ashr_i32 s7, s6, 31
	s_lshl_b64 s[0:1], s[6:7], 2
	s_add_u32 s2, s2, s0
	s_addc_u32 s3, s3, s1
	s_load_dword s7, s[2:3], 0x0
	s_add_u32 s2, s2, 4
	s_addc_u32 s3, s3, 0
	s_add_u32 s0, s8, s0
	s_addc_u32 s1, s9, s1
	s_cmp_eq_u64 s[8:9], 0
	s_cselect_b32 s1, s3, s1
	s_cselect_b32 s0, s2, s0
	s_load_dword s0, s[0:1], 0x0
	v_sub_u16_e32 v12, v0, v5
	v_mov_b32_e32 v6, 0
	v_mov_b32_e32 v5, 0
	s_waitcnt lgkmcnt(0)
	s_cmp_ge_i32 s7, s0
	s_cbranch_scc1 .LBB397_10
; %bb.6:
	s_load_dwordx4 s[8:11], s[4:5], 0x30
	s_load_dwordx2 s[2:3], s[4:5], 0x40
	s_sub_i32 s4, s0, s14
	s_mov_b32 s0, 0xffff
	s_movk_i32 s1, 0x384
	v_and_b32_sdwa v5, s0, v7 dst_sel:DWORD dst_unused:UNUSED_PAD src0_sel:DWORD src1_sel:WORD_1
	v_subrev_u32_e32 v6, 30, v5
	v_cmp_gt_u32_e64 s[0:1], s1, v0
	s_sub_i32 s5, s7, s14
	v_cndmask_b32_e64 v5, v6, v5, s[0:1]
	s_mul_i32 s1, s5, 0xe10
	s_mul_hi_i32 s0, s5, 0xe10
	s_waitcnt lgkmcnt(0)
	s_add_u32 s1, s10, s1
	v_cndmask_b32_e32 v7, v12, v5, vcc
	s_addc_u32 s0, s11, s0
	v_lshlrev_b32_e32 v5, 2, v0
	v_mov_b32_e32 v9, s0
	v_add_co_u32_e32 v8, vcc, s1, v5
	v_addc_co_u32_e32 v9, vcc, 0, v9, vcc
	s_movk_i32 s0, 0x383
	v_mov_b32_e32 v6, 0
	v_cmp_lt_u32_e32 vcc, s0, v0
	v_cndmask_b32_e64 v13, 0, 1, vcc
	v_mov_b32_e32 v5, v6
	s_branch .LBB397_8
.LBB397_7:                              ;   in Loop: Header=BB397_8 Depth=1
	s_or_b64 exec, exec, s[0:1]
	s_add_i32 s5, s5, 1
	s_cmp_lt_i32 s5, s4
	s_cbranch_scc0 .LBB397_10
.LBB397_8:                              ; =>This Inner Loop Header: Depth=1
	v_add_u32_e32 v10, s5, v13
	v_cmp_gt_i32_e32 vcc, s4, v10
	s_and_saveexec_b64 s[0:1], vcc
	s_cbranch_execz .LBB397_7
; %bb.9:                                ;   in Loop: Header=BB397_8 Depth=1
	v_ashrrev_i32_e32 v11, 31, v10
	v_lshlrev_b64 v[10:11], 2, v[10:11]
	v_mov_b32_e32 v14, s9
	v_add_co_u32_e32 v10, vcc, s8, v10
	v_addc_co_u32_e32 v11, vcc, v14, v11, vcc
	global_load_dword v10, v[10:11], off
	v_mov_b32_e32 v15, s3
	global_load_dword v14, v[8:9], off
	s_waitcnt vmcnt(1)
	v_subrev_u32_e32 v10, s14, v10
	v_mad_u64_u32 v[10:11], s[10:11], v10, 30, v[7:8]
	v_ashrrev_i32_e32 v11, 31, v10
	v_lshlrev_b64 v[10:11], 3, v[10:11]
	v_add_co_u32_e32 v10, vcc, s2, v10
	v_addc_co_u32_e32 v11, vcc, v15, v11, vcc
	global_load_dwordx2 v[10:11], v[10:11], off
	v_add_co_u32_e32 v8, vcc, 0xe10, v8
	v_addc_co_u32_e32 v9, vcc, 0, v9, vcc
	s_waitcnt vmcnt(0)
	v_fmac_f32_e32 v5, v14, v10
	v_fmac_f32_e32 v6, 0, v10
	;; [unrolled: 1-line block ×4, first 2 shown]
	s_branch .LBB397_7
.LBB397_10:
	v_lshlrev_b32_e32 v7, 3, v0
	s_and_b64 vcc, exec, s[16:17]
	ds_write_b64 v7, v[5:6]
	s_waitcnt lgkmcnt(0)
	s_barrier
	s_cbranch_vccz .LBB397_22
; %bb.11:
	v_cmp_gt_u16_e32 vcc, 14, v12
	s_and_saveexec_b64 s[0:1], vcc
	s_cbranch_execz .LBB397_13
; %bb.12:
	ds_read2_b64 v[8:11], v7 offset1:16
	s_waitcnt lgkmcnt(0)
	v_add_f32_e32 v8, v10, v8
	v_add_f32_e32 v9, v11, v9
	ds_write_b64 v7, v[8:9]
.LBB397_13:
	s_or_b64 exec, exec, s[0:1]
	v_cmp_gt_u16_e32 vcc, 8, v12
	s_waitcnt lgkmcnt(0)
	s_barrier
	s_and_saveexec_b64 s[0:1], vcc
	s_cbranch_execz .LBB397_15
; %bb.14:
	ds_read2_b64 v[8:11], v7 offset1:8
	s_waitcnt lgkmcnt(0)
	v_add_f32_e32 v8, v10, v8
	v_add_f32_e32 v9, v11, v9
	ds_write_b64 v7, v[8:9]
.LBB397_15:
	s_or_b64 exec, exec, s[0:1]
	v_cmp_gt_u16_e32 vcc, 4, v12
	s_waitcnt lgkmcnt(0)
	s_barrier
	;; [unrolled: 13-line block ×3, first 2 shown]
	s_and_saveexec_b64 s[0:1], vcc
	s_cbranch_execz .LBB397_19
; %bb.18:
	ds_read2_b64 v[8:11], v7 offset1:2
	s_waitcnt lgkmcnt(0)
	v_add_f32_e32 v8, v10, v8
	v_add_f32_e32 v9, v11, v9
	ds_write_b64 v7, v[8:9]
.LBB397_19:
	s_or_b64 exec, exec, s[0:1]
	v_cmp_gt_u32_e32 vcc, 30, v0
	v_mov_b32_e32 v9, v6
	v_mov_b32_e32 v8, v5
	s_waitcnt lgkmcnt(0)
	s_barrier
	s_and_saveexec_b64 s[0:1], vcc
	s_cbranch_execz .LBB397_21
; %bb.20:
	s_movk_i32 s2, 0xe8
	v_mad_u32_u24 v8, v0, s2, v7
	ds_read2_b64 v[8:11], v8 offset1:1
	s_waitcnt lgkmcnt(0)
	v_add_f32_e32 v8, v10, v8
	v_add_f32_e32 v9, v11, v9
.LBB397_21:
	s_or_b64 exec, exec, s[0:1]
	s_branch .LBB397_34
.LBB397_22:
                                        ; implicit-def: $vgpr9
                                        ; implicit-def: $vgpr8
	s_cbranch_execz .LBB397_34
; %bb.23:
	s_movk_i32 s0, 0x1a4
	v_cmp_gt_u32_e32 vcc, s0, v0
	s_and_saveexec_b64 s[0:1], vcc
	s_cbranch_execz .LBB397_25
; %bb.24:
	ds_read_b64 v[8:9], v7 offset:3840
	ds_read_b64 v[10:11], v7
	s_waitcnt lgkmcnt(0)
	v_add_f32_e32 v8, v8, v10
	v_add_f32_e32 v9, v9, v11
	ds_write_b64 v7, v[8:9]
.LBB397_25:
	s_or_b64 exec, exec, s[0:1]
	s_movk_i32 s0, 0xf0
	v_cmp_gt_u32_e32 vcc, s0, v0
	s_waitcnt lgkmcnt(0)
	s_barrier
	s_and_saveexec_b64 s[0:1], vcc
	s_cbranch_execz .LBB397_27
; %bb.26:
	ds_read2_b64 v[8:11], v7 offset1:240
	s_waitcnt lgkmcnt(0)
	v_add_f32_e32 v8, v10, v8
	v_add_f32_e32 v9, v11, v9
	ds_write_b64 v7, v[8:9]
.LBB397_27:
	s_or_b64 exec, exec, s[0:1]
	s_movk_i32 s0, 0x78
	v_cmp_gt_u32_e32 vcc, s0, v0
	s_waitcnt lgkmcnt(0)
	s_barrier
	s_and_saveexec_b64 s[0:1], vcc
	s_cbranch_execz .LBB397_29
; %bb.28:
	ds_read2_b64 v[8:11], v7 offset1:120
	s_waitcnt lgkmcnt(0)
	v_add_f32_e32 v8, v10, v8
	v_add_f32_e32 v9, v11, v9
	ds_write_b64 v7, v[8:9]
.LBB397_29:
	s_or_b64 exec, exec, s[0:1]
	v_cmp_gt_u32_e32 vcc, 60, v0
	s_waitcnt lgkmcnt(0)
	s_barrier
	s_and_saveexec_b64 s[0:1], vcc
	s_cbranch_execz .LBB397_31
; %bb.30:
	ds_read2_b64 v[8:11], v7 offset1:60
	s_waitcnt lgkmcnt(0)
	v_add_f32_e32 v8, v10, v8
	v_add_f32_e32 v9, v11, v9
	ds_write_b64 v7, v[8:9]
.LBB397_31:
	s_or_b64 exec, exec, s[0:1]
	v_cmp_gt_u32_e32 vcc, 30, v0
	s_waitcnt lgkmcnt(0)
	s_and_saveexec_b64 s[0:1], vcc
	s_cbranch_execz .LBB397_33
; %bb.32:
	ds_read2_b64 v[5:8], v7 offset1:30
	s_waitcnt lgkmcnt(0)
	v_add_f32_e32 v5, v7, v5
	v_add_f32_e32 v6, v8, v6
.LBB397_33:
	s_or_b64 exec, exec, s[0:1]
	v_mov_b32_e32 v9, v6
	v_mov_b32_e32 v8, v5
.LBB397_34:
	v_cmp_gt_u32_e32 vcc, 30, v0
	s_and_b64 exec, exec, vcc
	s_cbranch_execz .LBB397_39
; %bb.35:
	v_cmp_eq_f32_e32 vcc, 0, v1
	v_cmp_eq_f32_e64 s[0:1], 0, v2
	v_mul_f32_e64 v5, v9, -v4
	v_mul_f32_e32 v6, v3, v9
	s_and_b64 s[0:1], vcc, s[0:1]
	v_fmac_f32_e32 v5, v3, v8
	v_fmac_f32_e32 v6, v4, v8
	s_and_saveexec_b64 s[2:3], s[0:1]
	s_xor_b64 s[0:1], exec, s[2:3]
	s_cbranch_execz .LBB397_37
; %bb.36:
	v_mad_u64_u32 v[0:1], s[2:3], s6, 30, v[0:1]
	v_mov_b32_e32 v1, 0
	v_mov_b32_e32 v2, s13
	v_lshlrev_b64 v[0:1], 3, v[0:1]
	v_add_co_u32_e32 v0, vcc, s12, v0
	v_addc_co_u32_e32 v1, vcc, v2, v1, vcc
	global_store_dwordx2 v[0:1], v[5:6], off
                                        ; implicit-def: $vgpr0
                                        ; implicit-def: $vgpr1_vgpr2
                                        ; implicit-def: $vgpr5
.LBB397_37:
	s_andn2_saveexec_b64 s[0:1], s[0:1]
	s_cbranch_execz .LBB397_39
; %bb.38:
	v_mad_u64_u32 v[3:4], s[0:1], s6, 30, v[0:1]
	v_mov_b32_e32 v4, 0
	v_mov_b32_e32 v0, s13
	v_lshlrev_b64 v[3:4], 3, v[3:4]
	v_add_co_u32_e32 v3, vcc, s12, v3
	v_addc_co_u32_e32 v4, vcc, v0, v4, vcc
	global_load_dwordx2 v[7:8], v[3:4], off
	s_waitcnt vmcnt(0)
	v_fmac_f32_e32 v5, v1, v7
	v_fmac_f32_e32 v6, v2, v7
	v_fma_f32 v5, -v2, v8, v5
	v_fmac_f32_e32 v6, v1, v8
	global_store_dwordx2 v[3:4], v[5:6], off
.LBB397_39:
	s_endpgm
	.section	.rodata,"a",@progbits
	.p2align	6, 0x0
	.amdhsa_kernel _ZN9rocsparseL20bsrxmvn_17_32_kernelILj30E21rocsparse_complex_numIfEiifS2_S2_EEvT2_20rocsparse_direction_NS_24const_host_device_scalarIT0_EES3_PKS3_PKT1_SC_S9_PKT3_PKT4_S7_PT5_21rocsparse_index_base_b
		.amdhsa_group_segment_fixed_size 7200
		.amdhsa_private_segment_fixed_size 0
		.amdhsa_kernarg_size 96
		.amdhsa_user_sgpr_count 6
		.amdhsa_user_sgpr_private_segment_buffer 1
		.amdhsa_user_sgpr_dispatch_ptr 0
		.amdhsa_user_sgpr_queue_ptr 0
		.amdhsa_user_sgpr_kernarg_segment_ptr 1
		.amdhsa_user_sgpr_dispatch_id 0
		.amdhsa_user_sgpr_flat_scratch_init 0
		.amdhsa_user_sgpr_private_segment_size 0
		.amdhsa_uses_dynamic_stack 0
		.amdhsa_system_sgpr_private_segment_wavefront_offset 0
		.amdhsa_system_sgpr_workgroup_id_x 1
		.amdhsa_system_sgpr_workgroup_id_y 0
		.amdhsa_system_sgpr_workgroup_id_z 0
		.amdhsa_system_sgpr_workgroup_info 0
		.amdhsa_system_vgpr_workitem_id 0
		.amdhsa_next_free_vgpr 29
		.amdhsa_next_free_sgpr 61
		.amdhsa_reserve_vcc 1
		.amdhsa_reserve_flat_scratch 0
		.amdhsa_float_round_mode_32 0
		.amdhsa_float_round_mode_16_64 0
		.amdhsa_float_denorm_mode_32 3
		.amdhsa_float_denorm_mode_16_64 3
		.amdhsa_dx10_clamp 1
		.amdhsa_ieee_mode 1
		.amdhsa_fp16_overflow 0
		.amdhsa_exception_fp_ieee_invalid_op 0
		.amdhsa_exception_fp_denorm_src 0
		.amdhsa_exception_fp_ieee_div_zero 0
		.amdhsa_exception_fp_ieee_overflow 0
		.amdhsa_exception_fp_ieee_underflow 0
		.amdhsa_exception_fp_ieee_inexact 0
		.amdhsa_exception_int_div_zero 0
	.end_amdhsa_kernel
	.section	.text._ZN9rocsparseL20bsrxmvn_17_32_kernelILj30E21rocsparse_complex_numIfEiifS2_S2_EEvT2_20rocsparse_direction_NS_24const_host_device_scalarIT0_EES3_PKS3_PKT1_SC_S9_PKT3_PKT4_S7_PT5_21rocsparse_index_base_b,"axG",@progbits,_ZN9rocsparseL20bsrxmvn_17_32_kernelILj30E21rocsparse_complex_numIfEiifS2_S2_EEvT2_20rocsparse_direction_NS_24const_host_device_scalarIT0_EES3_PKS3_PKT1_SC_S9_PKT3_PKT4_S7_PT5_21rocsparse_index_base_b,comdat
.Lfunc_end397:
	.size	_ZN9rocsparseL20bsrxmvn_17_32_kernelILj30E21rocsparse_complex_numIfEiifS2_S2_EEvT2_20rocsparse_direction_NS_24const_host_device_scalarIT0_EES3_PKS3_PKT1_SC_S9_PKT3_PKT4_S7_PT5_21rocsparse_index_base_b, .Lfunc_end397-_ZN9rocsparseL20bsrxmvn_17_32_kernelILj30E21rocsparse_complex_numIfEiifS2_S2_EEvT2_20rocsparse_direction_NS_24const_host_device_scalarIT0_EES3_PKS3_PKT1_SC_S9_PKT3_PKT4_S7_PT5_21rocsparse_index_base_b
                                        ; -- End function
	.set _ZN9rocsparseL20bsrxmvn_17_32_kernelILj30E21rocsparse_complex_numIfEiifS2_S2_EEvT2_20rocsparse_direction_NS_24const_host_device_scalarIT0_EES3_PKS3_PKT1_SC_S9_PKT3_PKT4_S7_PT5_21rocsparse_index_base_b.num_vgpr, 16
	.set _ZN9rocsparseL20bsrxmvn_17_32_kernelILj30E21rocsparse_complex_numIfEiifS2_S2_EEvT2_20rocsparse_direction_NS_24const_host_device_scalarIT0_EES3_PKS3_PKT1_SC_S9_PKT3_PKT4_S7_PT5_21rocsparse_index_base_b.num_agpr, 0
	.set _ZN9rocsparseL20bsrxmvn_17_32_kernelILj30E21rocsparse_complex_numIfEiifS2_S2_EEvT2_20rocsparse_direction_NS_24const_host_device_scalarIT0_EES3_PKS3_PKT1_SC_S9_PKT3_PKT4_S7_PT5_21rocsparse_index_base_b.numbered_sgpr, 18
	.set _ZN9rocsparseL20bsrxmvn_17_32_kernelILj30E21rocsparse_complex_numIfEiifS2_S2_EEvT2_20rocsparse_direction_NS_24const_host_device_scalarIT0_EES3_PKS3_PKT1_SC_S9_PKT3_PKT4_S7_PT5_21rocsparse_index_base_b.num_named_barrier, 0
	.set _ZN9rocsparseL20bsrxmvn_17_32_kernelILj30E21rocsparse_complex_numIfEiifS2_S2_EEvT2_20rocsparse_direction_NS_24const_host_device_scalarIT0_EES3_PKS3_PKT1_SC_S9_PKT3_PKT4_S7_PT5_21rocsparse_index_base_b.private_seg_size, 0
	.set _ZN9rocsparseL20bsrxmvn_17_32_kernelILj30E21rocsparse_complex_numIfEiifS2_S2_EEvT2_20rocsparse_direction_NS_24const_host_device_scalarIT0_EES3_PKS3_PKT1_SC_S9_PKT3_PKT4_S7_PT5_21rocsparse_index_base_b.uses_vcc, 1
	.set _ZN9rocsparseL20bsrxmvn_17_32_kernelILj30E21rocsparse_complex_numIfEiifS2_S2_EEvT2_20rocsparse_direction_NS_24const_host_device_scalarIT0_EES3_PKS3_PKT1_SC_S9_PKT3_PKT4_S7_PT5_21rocsparse_index_base_b.uses_flat_scratch, 0
	.set _ZN9rocsparseL20bsrxmvn_17_32_kernelILj30E21rocsparse_complex_numIfEiifS2_S2_EEvT2_20rocsparse_direction_NS_24const_host_device_scalarIT0_EES3_PKS3_PKT1_SC_S9_PKT3_PKT4_S7_PT5_21rocsparse_index_base_b.has_dyn_sized_stack, 0
	.set _ZN9rocsparseL20bsrxmvn_17_32_kernelILj30E21rocsparse_complex_numIfEiifS2_S2_EEvT2_20rocsparse_direction_NS_24const_host_device_scalarIT0_EES3_PKS3_PKT1_SC_S9_PKT3_PKT4_S7_PT5_21rocsparse_index_base_b.has_recursion, 0
	.set _ZN9rocsparseL20bsrxmvn_17_32_kernelILj30E21rocsparse_complex_numIfEiifS2_S2_EEvT2_20rocsparse_direction_NS_24const_host_device_scalarIT0_EES3_PKS3_PKT1_SC_S9_PKT3_PKT4_S7_PT5_21rocsparse_index_base_b.has_indirect_call, 0
	.section	.AMDGPU.csdata,"",@progbits
; Kernel info:
; codeLenInByte = 1412
; TotalNumSgprs: 22
; NumVgprs: 16
; ScratchSize: 0
; MemoryBound: 0
; FloatMode: 240
; IeeeMode: 1
; LDSByteSize: 7200 bytes/workgroup (compile time only)
; SGPRBlocks: 8
; VGPRBlocks: 7
; NumSGPRsForWavesPerEU: 65
; NumVGPRsForWavesPerEU: 29
; Occupancy: 8
; WaveLimiterHint : 1
; COMPUTE_PGM_RSRC2:SCRATCH_EN: 0
; COMPUTE_PGM_RSRC2:USER_SGPR: 6
; COMPUTE_PGM_RSRC2:TRAP_HANDLER: 0
; COMPUTE_PGM_RSRC2:TGID_X_EN: 1
; COMPUTE_PGM_RSRC2:TGID_Y_EN: 0
; COMPUTE_PGM_RSRC2:TGID_Z_EN: 0
; COMPUTE_PGM_RSRC2:TIDIG_COMP_CNT: 0
	.section	.text._ZN9rocsparseL20bsrxmvn_17_32_kernelILj31E21rocsparse_complex_numIfEiifS2_S2_EEvT2_20rocsparse_direction_NS_24const_host_device_scalarIT0_EES3_PKS3_PKT1_SC_S9_PKT3_PKT4_S7_PT5_21rocsparse_index_base_b,"axG",@progbits,_ZN9rocsparseL20bsrxmvn_17_32_kernelILj31E21rocsparse_complex_numIfEiifS2_S2_EEvT2_20rocsparse_direction_NS_24const_host_device_scalarIT0_EES3_PKS3_PKT1_SC_S9_PKT3_PKT4_S7_PT5_21rocsparse_index_base_b,comdat
	.globl	_ZN9rocsparseL20bsrxmvn_17_32_kernelILj31E21rocsparse_complex_numIfEiifS2_S2_EEvT2_20rocsparse_direction_NS_24const_host_device_scalarIT0_EES3_PKS3_PKT1_SC_S9_PKT3_PKT4_S7_PT5_21rocsparse_index_base_b ; -- Begin function _ZN9rocsparseL20bsrxmvn_17_32_kernelILj31E21rocsparse_complex_numIfEiifS2_S2_EEvT2_20rocsparse_direction_NS_24const_host_device_scalarIT0_EES3_PKS3_PKT1_SC_S9_PKT3_PKT4_S7_PT5_21rocsparse_index_base_b
	.p2align	8
	.type	_ZN9rocsparseL20bsrxmvn_17_32_kernelILj31E21rocsparse_complex_numIfEiifS2_S2_EEvT2_20rocsparse_direction_NS_24const_host_device_scalarIT0_EES3_PKS3_PKT1_SC_S9_PKT3_PKT4_S7_PT5_21rocsparse_index_base_b,@function
_ZN9rocsparseL20bsrxmvn_17_32_kernelILj31E21rocsparse_complex_numIfEiifS2_S2_EEvT2_20rocsparse_direction_NS_24const_host_device_scalarIT0_EES3_PKS3_PKT1_SC_S9_PKT3_PKT4_S7_PT5_21rocsparse_index_base_b: ; @_ZN9rocsparseL20bsrxmvn_17_32_kernelILj31E21rocsparse_complex_numIfEiifS2_S2_EEvT2_20rocsparse_direction_NS_24const_host_device_scalarIT0_EES3_PKS3_PKT1_SC_S9_PKT3_PKT4_S7_PT5_21rocsparse_index_base_b
; %bb.0:
	s_load_dwordx2 s[0:1], s[4:5], 0x8
	s_load_dwordx2 s[14:15], s[4:5], 0x58
	s_add_u32 s7, s4, 8
	s_addc_u32 s8, s5, 0
	s_add_u32 s9, s4, 0x48
	s_load_dwordx2 s[2:3], s[4:5], 0x48
	s_addc_u32 s10, s5, 0
	s_waitcnt lgkmcnt(0)
	s_bitcmp1_b32 s15, 0
	s_cselect_b32 s1, s8, s1
	s_cselect_b32 s0, s7, s0
	v_mov_b32_e32 v1, s0
	v_mov_b32_e32 v2, s1
	flat_load_dwordx2 v[3:4], v[1:2]
	s_cselect_b32 s0, s10, s3
	s_cselect_b32 s1, s9, s2
	v_mov_b32_e32 v1, s1
	v_mov_b32_e32 v2, s0
	flat_load_dwordx2 v[1:2], v[1:2]
	s_waitcnt vmcnt(0) lgkmcnt(0)
	v_cmp_eq_f32_e32 vcc, 0, v3
	v_cmp_eq_f32_e64 s[0:1], 0, v4
	s_and_b64 s[8:9], vcc, s[0:1]
	s_mov_b64 s[0:1], -1
	s_and_saveexec_b64 s[2:3], s[8:9]
; %bb.1:
	v_cmp_neq_f32_e32 vcc, 1.0, v1
	v_cmp_neq_f32_e64 s[0:1], 0, v2
	s_or_b64 s[0:1], vcc, s[0:1]
	s_orn2_b64 s[0:1], s[0:1], exec
; %bb.2:
	s_or_b64 exec, exec, s[2:3]
	s_and_saveexec_b64 s[2:3], s[0:1]
	s_cbranch_execz .LBB398_39
; %bb.3:
	s_load_dwordx4 s[0:3], s[4:5], 0x18
	s_load_dwordx2 s[8:9], s[4:5], 0x28
	s_waitcnt lgkmcnt(0)
	s_cmp_eq_u64 s[0:1], 0
	s_cbranch_scc1 .LBB398_5
; %bb.4:
	s_ashr_i32 s7, s6, 31
	s_lshl_b64 s[6:7], s[6:7], 2
	s_add_u32 s0, s0, s6
	s_addc_u32 s1, s1, s7
	s_load_dword s0, s[0:1], 0x0
	s_waitcnt lgkmcnt(0)
	s_sub_i32 s6, s0, s14
.LBB398_5:
	s_load_dword s0, s[4:5], 0x4
	s_load_dwordx2 s[12:13], s[4:5], 0x50
	v_mul_u32_u24_e32 v7, 0x843, v0
	v_mov_b32_e32 v5, 31
	v_mul_lo_u16_sdwa v5, v7, v5 dst_sel:DWORD dst_unused:UNUSED_PAD src0_sel:WORD_1 src1_sel:DWORD
	s_waitcnt lgkmcnt(0)
	s_cmp_eq_u32 s0, 1
	s_cselect_b64 vcc, -1, 0
	s_cmp_lg_u32 s0, 1
	s_cselect_b64 s[16:17], -1, 0
	s_ashr_i32 s7, s6, 31
	s_lshl_b64 s[0:1], s[6:7], 2
	s_add_u32 s2, s2, s0
	s_addc_u32 s3, s3, s1
	s_load_dword s7, s[2:3], 0x0
	s_add_u32 s2, s2, 4
	s_addc_u32 s3, s3, 0
	s_add_u32 s0, s8, s0
	s_addc_u32 s1, s9, s1
	s_cmp_eq_u64 s[8:9], 0
	s_cselect_b32 s1, s3, s1
	s_cselect_b32 s0, s2, s0
	s_load_dword s0, s[0:1], 0x0
	v_sub_u16_e32 v12, v0, v5
	v_mov_b32_e32 v6, 0
	v_mov_b32_e32 v5, 0
	s_waitcnt lgkmcnt(0)
	s_cmp_ge_i32 s7, s0
	s_cbranch_scc1 .LBB398_10
; %bb.6:
	s_load_dwordx4 s[8:11], s[4:5], 0x30
	s_load_dwordx2 s[2:3], s[4:5], 0x40
	s_sub_i32 s4, s0, s14
	s_mov_b32 s0, 0xffff
	s_movk_i32 s1, 0x3c1
	v_and_b32_sdwa v5, s0, v7 dst_sel:DWORD dst_unused:UNUSED_PAD src0_sel:DWORD src1_sel:WORD_1
	v_subrev_u32_e32 v6, 31, v5
	v_cmp_gt_u32_e64 s[0:1], s1, v0
	s_sub_i32 s5, s7, s14
	v_cndmask_b32_e64 v5, v6, v5, s[0:1]
	s_mul_i32 s1, s5, 0xf04
	s_mul_hi_i32 s0, s5, 0xf04
	s_waitcnt lgkmcnt(0)
	s_add_u32 s1, s10, s1
	v_cndmask_b32_e32 v7, v12, v5, vcc
	s_addc_u32 s0, s11, s0
	v_lshlrev_b32_e32 v5, 2, v0
	v_mov_b32_e32 v9, s0
	v_add_co_u32_e32 v8, vcc, s1, v5
	v_addc_co_u32_e32 v9, vcc, 0, v9, vcc
	s_movk_i32 s0, 0x3c0
	v_mov_b32_e32 v6, 0
	v_cmp_lt_u32_e32 vcc, s0, v0
	v_cndmask_b32_e64 v13, 0, 1, vcc
	v_mov_b32_e32 v5, v6
	s_branch .LBB398_8
.LBB398_7:                              ;   in Loop: Header=BB398_8 Depth=1
	s_or_b64 exec, exec, s[0:1]
	s_add_i32 s5, s5, 1
	s_cmp_lt_i32 s5, s4
	s_cbranch_scc0 .LBB398_10
.LBB398_8:                              ; =>This Inner Loop Header: Depth=1
	v_add_u32_e32 v10, s5, v13
	v_cmp_gt_i32_e32 vcc, s4, v10
	s_and_saveexec_b64 s[0:1], vcc
	s_cbranch_execz .LBB398_7
; %bb.9:                                ;   in Loop: Header=BB398_8 Depth=1
	v_ashrrev_i32_e32 v11, 31, v10
	v_lshlrev_b64 v[10:11], 2, v[10:11]
	v_mov_b32_e32 v14, s9
	v_add_co_u32_e32 v10, vcc, s8, v10
	v_addc_co_u32_e32 v11, vcc, v14, v11, vcc
	global_load_dword v10, v[10:11], off
	v_mov_b32_e32 v15, s3
	global_load_dword v14, v[8:9], off
	s_waitcnt vmcnt(1)
	v_subrev_u32_e32 v10, s14, v10
	v_mad_u64_u32 v[10:11], s[10:11], v10, 31, v[7:8]
	v_ashrrev_i32_e32 v11, 31, v10
	v_lshlrev_b64 v[10:11], 3, v[10:11]
	v_add_co_u32_e32 v10, vcc, s2, v10
	v_addc_co_u32_e32 v11, vcc, v15, v11, vcc
	global_load_dwordx2 v[10:11], v[10:11], off
	v_add_co_u32_e32 v8, vcc, 0xf04, v8
	v_addc_co_u32_e32 v9, vcc, 0, v9, vcc
	s_waitcnt vmcnt(0)
	v_fmac_f32_e32 v5, v14, v10
	v_fmac_f32_e32 v6, 0, v10
	;; [unrolled: 1-line block ×4, first 2 shown]
	s_branch .LBB398_7
.LBB398_10:
	v_lshlrev_b32_e32 v7, 3, v0
	s_and_b64 vcc, exec, s[16:17]
	ds_write_b64 v7, v[5:6]
	s_waitcnt lgkmcnt(0)
	s_barrier
	s_cbranch_vccz .LBB398_22
; %bb.11:
	v_cmp_gt_u16_e32 vcc, 15, v12
	s_and_saveexec_b64 s[0:1], vcc
	s_cbranch_execz .LBB398_13
; %bb.12:
	ds_read2_b64 v[8:11], v7 offset1:16
	s_waitcnt lgkmcnt(0)
	v_add_f32_e32 v8, v10, v8
	v_add_f32_e32 v9, v11, v9
	ds_write_b64 v7, v[8:9]
.LBB398_13:
	s_or_b64 exec, exec, s[0:1]
	v_cmp_gt_u16_e32 vcc, 8, v12
	s_waitcnt lgkmcnt(0)
	s_barrier
	s_and_saveexec_b64 s[0:1], vcc
	s_cbranch_execz .LBB398_15
; %bb.14:
	ds_read2_b64 v[8:11], v7 offset1:8
	s_waitcnt lgkmcnt(0)
	v_add_f32_e32 v8, v10, v8
	v_add_f32_e32 v9, v11, v9
	ds_write_b64 v7, v[8:9]
.LBB398_15:
	s_or_b64 exec, exec, s[0:1]
	v_cmp_gt_u16_e32 vcc, 4, v12
	s_waitcnt lgkmcnt(0)
	s_barrier
	s_and_saveexec_b64 s[0:1], vcc
	s_cbranch_execz .LBB398_17
; %bb.16:
	ds_read2_b64 v[8:11], v7 offset1:4
	s_waitcnt lgkmcnt(0)
	v_add_f32_e32 v8, v10, v8
	v_add_f32_e32 v9, v11, v9
	ds_write_b64 v7, v[8:9]
.LBB398_17:
	s_or_b64 exec, exec, s[0:1]
	v_cmp_gt_u16_e32 vcc, 2, v12
	s_waitcnt lgkmcnt(0)
	s_barrier
	s_and_saveexec_b64 s[0:1], vcc
	s_cbranch_execz .LBB398_19
; %bb.18:
	ds_read2_b64 v[8:11], v7 offset1:2
	s_waitcnt lgkmcnt(0)
	v_add_f32_e32 v8, v10, v8
	v_add_f32_e32 v9, v11, v9
	ds_write_b64 v7, v[8:9]
.LBB398_19:
	s_or_b64 exec, exec, s[0:1]
	v_cmp_gt_u32_e32 vcc, 31, v0
	v_mov_b32_e32 v9, v6
	v_mov_b32_e32 v8, v5
	s_waitcnt lgkmcnt(0)
	s_barrier
	s_and_saveexec_b64 s[0:1], vcc
	s_cbranch_execz .LBB398_21
; %bb.20:
	s_movk_i32 s2, 0xf0
	v_mad_u32_u24 v8, v0, s2, v7
	ds_read2_b64 v[8:11], v8 offset1:1
	s_waitcnt lgkmcnt(0)
	v_add_f32_e32 v8, v10, v8
	v_add_f32_e32 v9, v11, v9
.LBB398_21:
	s_or_b64 exec, exec, s[0:1]
	s_branch .LBB398_34
.LBB398_22:
                                        ; implicit-def: $vgpr9
                                        ; implicit-def: $vgpr8
	s_cbranch_execz .LBB398_34
; %bb.23:
	s_movk_i32 s0, 0x1d1
	v_cmp_gt_u32_e32 vcc, s0, v0
	s_and_saveexec_b64 s[0:1], vcc
	s_cbranch_execz .LBB398_25
; %bb.24:
	ds_read_b64 v[8:9], v7 offset:3968
	ds_read_b64 v[10:11], v7
	s_waitcnt lgkmcnt(0)
	v_add_f32_e32 v8, v8, v10
	v_add_f32_e32 v9, v9, v11
	ds_write_b64 v7, v[8:9]
.LBB398_25:
	s_or_b64 exec, exec, s[0:1]
	s_movk_i32 s0, 0xf8
	v_cmp_gt_u32_e32 vcc, s0, v0
	s_waitcnt lgkmcnt(0)
	s_barrier
	s_and_saveexec_b64 s[0:1], vcc
	s_cbranch_execz .LBB398_27
; %bb.26:
	ds_read2_b64 v[8:11], v7 offset1:248
	s_waitcnt lgkmcnt(0)
	v_add_f32_e32 v8, v10, v8
	v_add_f32_e32 v9, v11, v9
	ds_write_b64 v7, v[8:9]
.LBB398_27:
	s_or_b64 exec, exec, s[0:1]
	s_movk_i32 s0, 0x7c
	v_cmp_gt_u32_e32 vcc, s0, v0
	s_waitcnt lgkmcnt(0)
	s_barrier
	s_and_saveexec_b64 s[0:1], vcc
	s_cbranch_execz .LBB398_29
; %bb.28:
	ds_read2_b64 v[8:11], v7 offset1:124
	s_waitcnt lgkmcnt(0)
	v_add_f32_e32 v8, v10, v8
	v_add_f32_e32 v9, v11, v9
	ds_write_b64 v7, v[8:9]
.LBB398_29:
	s_or_b64 exec, exec, s[0:1]
	v_cmp_gt_u32_e32 vcc, 62, v0
	s_waitcnt lgkmcnt(0)
	s_barrier
	s_and_saveexec_b64 s[0:1], vcc
	s_cbranch_execz .LBB398_31
; %bb.30:
	ds_read2_b64 v[8:11], v7 offset1:62
	s_waitcnt lgkmcnt(0)
	v_add_f32_e32 v8, v10, v8
	v_add_f32_e32 v9, v11, v9
	ds_write_b64 v7, v[8:9]
.LBB398_31:
	s_or_b64 exec, exec, s[0:1]
	v_cmp_gt_u32_e32 vcc, 31, v0
	s_waitcnt lgkmcnt(0)
	s_and_saveexec_b64 s[0:1], vcc
	s_cbranch_execz .LBB398_33
; %bb.32:
	ds_read2_b64 v[5:8], v7 offset1:31
	s_waitcnt lgkmcnt(0)
	v_add_f32_e32 v5, v7, v5
	v_add_f32_e32 v6, v8, v6
.LBB398_33:
	s_or_b64 exec, exec, s[0:1]
	v_mov_b32_e32 v9, v6
	v_mov_b32_e32 v8, v5
.LBB398_34:
	v_cmp_gt_u32_e32 vcc, 31, v0
	s_and_b64 exec, exec, vcc
	s_cbranch_execz .LBB398_39
; %bb.35:
	v_cmp_eq_f32_e32 vcc, 0, v1
	v_cmp_eq_f32_e64 s[0:1], 0, v2
	v_mul_f32_e64 v5, v9, -v4
	v_mul_f32_e32 v6, v3, v9
	s_and_b64 s[0:1], vcc, s[0:1]
	v_fmac_f32_e32 v5, v3, v8
	v_fmac_f32_e32 v6, v4, v8
	s_and_saveexec_b64 s[2:3], s[0:1]
	s_xor_b64 s[0:1], exec, s[2:3]
	s_cbranch_execz .LBB398_37
; %bb.36:
	v_mad_u64_u32 v[0:1], s[2:3], s6, 31, v[0:1]
	v_mov_b32_e32 v1, 0
	v_mov_b32_e32 v2, s13
	v_lshlrev_b64 v[0:1], 3, v[0:1]
	v_add_co_u32_e32 v0, vcc, s12, v0
	v_addc_co_u32_e32 v1, vcc, v2, v1, vcc
	global_store_dwordx2 v[0:1], v[5:6], off
                                        ; implicit-def: $vgpr0
                                        ; implicit-def: $vgpr1_vgpr2
                                        ; implicit-def: $vgpr5
.LBB398_37:
	s_andn2_saveexec_b64 s[0:1], s[0:1]
	s_cbranch_execz .LBB398_39
; %bb.38:
	v_mad_u64_u32 v[3:4], s[0:1], s6, 31, v[0:1]
	v_mov_b32_e32 v4, 0
	v_mov_b32_e32 v0, s13
	v_lshlrev_b64 v[3:4], 3, v[3:4]
	v_add_co_u32_e32 v3, vcc, s12, v3
	v_addc_co_u32_e32 v4, vcc, v0, v4, vcc
	global_load_dwordx2 v[7:8], v[3:4], off
	s_waitcnt vmcnt(0)
	v_fmac_f32_e32 v5, v1, v7
	v_fmac_f32_e32 v6, v2, v7
	v_fma_f32 v5, -v2, v8, v5
	v_fmac_f32_e32 v6, v1, v8
	global_store_dwordx2 v[3:4], v[5:6], off
.LBB398_39:
	s_endpgm
	.section	.rodata,"a",@progbits
	.p2align	6, 0x0
	.amdhsa_kernel _ZN9rocsparseL20bsrxmvn_17_32_kernelILj31E21rocsparse_complex_numIfEiifS2_S2_EEvT2_20rocsparse_direction_NS_24const_host_device_scalarIT0_EES3_PKS3_PKT1_SC_S9_PKT3_PKT4_S7_PT5_21rocsparse_index_base_b
		.amdhsa_group_segment_fixed_size 7688
		.amdhsa_private_segment_fixed_size 0
		.amdhsa_kernarg_size 96
		.amdhsa_user_sgpr_count 6
		.amdhsa_user_sgpr_private_segment_buffer 1
		.amdhsa_user_sgpr_dispatch_ptr 0
		.amdhsa_user_sgpr_queue_ptr 0
		.amdhsa_user_sgpr_kernarg_segment_ptr 1
		.amdhsa_user_sgpr_dispatch_id 0
		.amdhsa_user_sgpr_flat_scratch_init 0
		.amdhsa_user_sgpr_private_segment_size 0
		.amdhsa_uses_dynamic_stack 0
		.amdhsa_system_sgpr_private_segment_wavefront_offset 0
		.amdhsa_system_sgpr_workgroup_id_x 1
		.amdhsa_system_sgpr_workgroup_id_y 0
		.amdhsa_system_sgpr_workgroup_id_z 0
		.amdhsa_system_sgpr_workgroup_info 0
		.amdhsa_system_vgpr_workitem_id 0
		.amdhsa_next_free_vgpr 29
		.amdhsa_next_free_sgpr 61
		.amdhsa_reserve_vcc 1
		.amdhsa_reserve_flat_scratch 0
		.amdhsa_float_round_mode_32 0
		.amdhsa_float_round_mode_16_64 0
		.amdhsa_float_denorm_mode_32 3
		.amdhsa_float_denorm_mode_16_64 3
		.amdhsa_dx10_clamp 1
		.amdhsa_ieee_mode 1
		.amdhsa_fp16_overflow 0
		.amdhsa_exception_fp_ieee_invalid_op 0
		.amdhsa_exception_fp_denorm_src 0
		.amdhsa_exception_fp_ieee_div_zero 0
		.amdhsa_exception_fp_ieee_overflow 0
		.amdhsa_exception_fp_ieee_underflow 0
		.amdhsa_exception_fp_ieee_inexact 0
		.amdhsa_exception_int_div_zero 0
	.end_amdhsa_kernel
	.section	.text._ZN9rocsparseL20bsrxmvn_17_32_kernelILj31E21rocsparse_complex_numIfEiifS2_S2_EEvT2_20rocsparse_direction_NS_24const_host_device_scalarIT0_EES3_PKS3_PKT1_SC_S9_PKT3_PKT4_S7_PT5_21rocsparse_index_base_b,"axG",@progbits,_ZN9rocsparseL20bsrxmvn_17_32_kernelILj31E21rocsparse_complex_numIfEiifS2_S2_EEvT2_20rocsparse_direction_NS_24const_host_device_scalarIT0_EES3_PKS3_PKT1_SC_S9_PKT3_PKT4_S7_PT5_21rocsparse_index_base_b,comdat
.Lfunc_end398:
	.size	_ZN9rocsparseL20bsrxmvn_17_32_kernelILj31E21rocsparse_complex_numIfEiifS2_S2_EEvT2_20rocsparse_direction_NS_24const_host_device_scalarIT0_EES3_PKS3_PKT1_SC_S9_PKT3_PKT4_S7_PT5_21rocsparse_index_base_b, .Lfunc_end398-_ZN9rocsparseL20bsrxmvn_17_32_kernelILj31E21rocsparse_complex_numIfEiifS2_S2_EEvT2_20rocsparse_direction_NS_24const_host_device_scalarIT0_EES3_PKS3_PKT1_SC_S9_PKT3_PKT4_S7_PT5_21rocsparse_index_base_b
                                        ; -- End function
	.set _ZN9rocsparseL20bsrxmvn_17_32_kernelILj31E21rocsparse_complex_numIfEiifS2_S2_EEvT2_20rocsparse_direction_NS_24const_host_device_scalarIT0_EES3_PKS3_PKT1_SC_S9_PKT3_PKT4_S7_PT5_21rocsparse_index_base_b.num_vgpr, 16
	.set _ZN9rocsparseL20bsrxmvn_17_32_kernelILj31E21rocsparse_complex_numIfEiifS2_S2_EEvT2_20rocsparse_direction_NS_24const_host_device_scalarIT0_EES3_PKS3_PKT1_SC_S9_PKT3_PKT4_S7_PT5_21rocsparse_index_base_b.num_agpr, 0
	.set _ZN9rocsparseL20bsrxmvn_17_32_kernelILj31E21rocsparse_complex_numIfEiifS2_S2_EEvT2_20rocsparse_direction_NS_24const_host_device_scalarIT0_EES3_PKS3_PKT1_SC_S9_PKT3_PKT4_S7_PT5_21rocsparse_index_base_b.numbered_sgpr, 18
	.set _ZN9rocsparseL20bsrxmvn_17_32_kernelILj31E21rocsparse_complex_numIfEiifS2_S2_EEvT2_20rocsparse_direction_NS_24const_host_device_scalarIT0_EES3_PKS3_PKT1_SC_S9_PKT3_PKT4_S7_PT5_21rocsparse_index_base_b.num_named_barrier, 0
	.set _ZN9rocsparseL20bsrxmvn_17_32_kernelILj31E21rocsparse_complex_numIfEiifS2_S2_EEvT2_20rocsparse_direction_NS_24const_host_device_scalarIT0_EES3_PKS3_PKT1_SC_S9_PKT3_PKT4_S7_PT5_21rocsparse_index_base_b.private_seg_size, 0
	.set _ZN9rocsparseL20bsrxmvn_17_32_kernelILj31E21rocsparse_complex_numIfEiifS2_S2_EEvT2_20rocsparse_direction_NS_24const_host_device_scalarIT0_EES3_PKS3_PKT1_SC_S9_PKT3_PKT4_S7_PT5_21rocsparse_index_base_b.uses_vcc, 1
	.set _ZN9rocsparseL20bsrxmvn_17_32_kernelILj31E21rocsparse_complex_numIfEiifS2_S2_EEvT2_20rocsparse_direction_NS_24const_host_device_scalarIT0_EES3_PKS3_PKT1_SC_S9_PKT3_PKT4_S7_PT5_21rocsparse_index_base_b.uses_flat_scratch, 0
	.set _ZN9rocsparseL20bsrxmvn_17_32_kernelILj31E21rocsparse_complex_numIfEiifS2_S2_EEvT2_20rocsparse_direction_NS_24const_host_device_scalarIT0_EES3_PKS3_PKT1_SC_S9_PKT3_PKT4_S7_PT5_21rocsparse_index_base_b.has_dyn_sized_stack, 0
	.set _ZN9rocsparseL20bsrxmvn_17_32_kernelILj31E21rocsparse_complex_numIfEiifS2_S2_EEvT2_20rocsparse_direction_NS_24const_host_device_scalarIT0_EES3_PKS3_PKT1_SC_S9_PKT3_PKT4_S7_PT5_21rocsparse_index_base_b.has_recursion, 0
	.set _ZN9rocsparseL20bsrxmvn_17_32_kernelILj31E21rocsparse_complex_numIfEiifS2_S2_EEvT2_20rocsparse_direction_NS_24const_host_device_scalarIT0_EES3_PKS3_PKT1_SC_S9_PKT3_PKT4_S7_PT5_21rocsparse_index_base_b.has_indirect_call, 0
	.section	.AMDGPU.csdata,"",@progbits
; Kernel info:
; codeLenInByte = 1412
; TotalNumSgprs: 22
; NumVgprs: 16
; ScratchSize: 0
; MemoryBound: 0
; FloatMode: 240
; IeeeMode: 1
; LDSByteSize: 7688 bytes/workgroup (compile time only)
; SGPRBlocks: 8
; VGPRBlocks: 7
; NumSGPRsForWavesPerEU: 65
; NumVGPRsForWavesPerEU: 29
; Occupancy: 8
; WaveLimiterHint : 1
; COMPUTE_PGM_RSRC2:SCRATCH_EN: 0
; COMPUTE_PGM_RSRC2:USER_SGPR: 6
; COMPUTE_PGM_RSRC2:TRAP_HANDLER: 0
; COMPUTE_PGM_RSRC2:TGID_X_EN: 1
; COMPUTE_PGM_RSRC2:TGID_Y_EN: 0
; COMPUTE_PGM_RSRC2:TGID_Z_EN: 0
; COMPUTE_PGM_RSRC2:TIDIG_COMP_CNT: 0
	.section	.text._ZN9rocsparseL20bsrxmvn_17_32_kernelILj32E21rocsparse_complex_numIfEiifS2_S2_EEvT2_20rocsparse_direction_NS_24const_host_device_scalarIT0_EES3_PKS3_PKT1_SC_S9_PKT3_PKT4_S7_PT5_21rocsparse_index_base_b,"axG",@progbits,_ZN9rocsparseL20bsrxmvn_17_32_kernelILj32E21rocsparse_complex_numIfEiifS2_S2_EEvT2_20rocsparse_direction_NS_24const_host_device_scalarIT0_EES3_PKS3_PKT1_SC_S9_PKT3_PKT4_S7_PT5_21rocsparse_index_base_b,comdat
	.globl	_ZN9rocsparseL20bsrxmvn_17_32_kernelILj32E21rocsparse_complex_numIfEiifS2_S2_EEvT2_20rocsparse_direction_NS_24const_host_device_scalarIT0_EES3_PKS3_PKT1_SC_S9_PKT3_PKT4_S7_PT5_21rocsparse_index_base_b ; -- Begin function _ZN9rocsparseL20bsrxmvn_17_32_kernelILj32E21rocsparse_complex_numIfEiifS2_S2_EEvT2_20rocsparse_direction_NS_24const_host_device_scalarIT0_EES3_PKS3_PKT1_SC_S9_PKT3_PKT4_S7_PT5_21rocsparse_index_base_b
	.p2align	8
	.type	_ZN9rocsparseL20bsrxmvn_17_32_kernelILj32E21rocsparse_complex_numIfEiifS2_S2_EEvT2_20rocsparse_direction_NS_24const_host_device_scalarIT0_EES3_PKS3_PKT1_SC_S9_PKT3_PKT4_S7_PT5_21rocsparse_index_base_b,@function
_ZN9rocsparseL20bsrxmvn_17_32_kernelILj32E21rocsparse_complex_numIfEiifS2_S2_EEvT2_20rocsparse_direction_NS_24const_host_device_scalarIT0_EES3_PKS3_PKT1_SC_S9_PKT3_PKT4_S7_PT5_21rocsparse_index_base_b: ; @_ZN9rocsparseL20bsrxmvn_17_32_kernelILj32E21rocsparse_complex_numIfEiifS2_S2_EEvT2_20rocsparse_direction_NS_24const_host_device_scalarIT0_EES3_PKS3_PKT1_SC_S9_PKT3_PKT4_S7_PT5_21rocsparse_index_base_b
; %bb.0:
	s_load_dwordx2 s[0:1], s[4:5], 0x8
	s_load_dwordx2 s[8:9], s[4:5], 0x58
	s_add_u32 s7, s4, 8
	s_addc_u32 s10, s5, 0
	s_add_u32 s11, s4, 0x48
	s_load_dwordx2 s[2:3], s[4:5], 0x48
	s_addc_u32 s12, s5, 0
	s_waitcnt lgkmcnt(0)
	s_bitcmp1_b32 s9, 0
	s_cselect_b32 s1, s10, s1
	s_cselect_b32 s0, s7, s0
	v_mov_b32_e32 v1, s0
	v_mov_b32_e32 v2, s1
	flat_load_dwordx2 v[3:4], v[1:2]
	s_cselect_b32 s0, s12, s3
	s_cselect_b32 s1, s11, s2
	v_mov_b32_e32 v1, s1
	v_mov_b32_e32 v2, s0
	flat_load_dwordx2 v[1:2], v[1:2]
	s_waitcnt vmcnt(0) lgkmcnt(0)
	v_cmp_eq_f32_e32 vcc, 0, v3
	v_cmp_eq_f32_e64 s[0:1], 0, v4
	s_and_b64 s[10:11], vcc, s[0:1]
	s_mov_b64 s[0:1], -1
	s_and_saveexec_b64 s[2:3], s[10:11]
; %bb.1:
	v_cmp_neq_f32_e32 vcc, 1.0, v1
	v_cmp_neq_f32_e64 s[0:1], 0, v2
	s_or_b64 s[0:1], vcc, s[0:1]
	s_orn2_b64 s[0:1], s[0:1], exec
; %bb.2:
	s_or_b64 exec, exec, s[2:3]
	s_and_saveexec_b64 s[2:3], s[0:1]
	s_cbranch_execz .LBB399_37
; %bb.3:
	s_load_dwordx4 s[0:3], s[4:5], 0x18
	s_load_dwordx2 s[10:11], s[4:5], 0x28
	s_waitcnt lgkmcnt(0)
	s_cmp_eq_u64 s[0:1], 0
	s_cbranch_scc1 .LBB399_5
; %bb.4:
	s_ashr_i32 s7, s6, 31
	s_lshl_b64 s[6:7], s[6:7], 2
	s_add_u32 s0, s0, s6
	s_addc_u32 s1, s1, s7
	s_load_dword s0, s[0:1], 0x0
	s_waitcnt lgkmcnt(0)
	s_sub_i32 s6, s0, s8
.LBB399_5:
	s_load_dword s0, s[4:5], 0x4
	v_and_b32_e32 v9, 31, v0
	v_mov_b32_e32 v6, 0
	v_mov_b32_e32 v5, 0
	s_waitcnt lgkmcnt(0)
	s_cmp_eq_u32 s0, 1
	s_cselect_b64 vcc, -1, 0
	s_cmp_lg_u32 s0, 1
	s_cselect_b64 s[0:1], -1, 0
	s_ashr_i32 s7, s6, 31
	s_lshl_b64 s[12:13], s[6:7], 2
	s_add_u32 s2, s2, s12
	s_addc_u32 s3, s3, s13
	s_load_dword s9, s[2:3], 0x0
	s_add_u32 s2, s2, 4
	s_addc_u32 s3, s3, 0
	s_add_u32 s7, s10, s12
	s_addc_u32 s12, s11, s13
	s_cmp_eq_u64 s[10:11], 0
	s_cselect_b32 s11, s3, s12
	s_cselect_b32 s10, s2, s7
	s_load_dword s7, s[10:11], 0x0
	s_load_dwordx2 s[2:3], s[4:5], 0x50
	s_waitcnt lgkmcnt(0)
	s_cmp_ge_i32 s9, s7
	s_cbranch_scc1 .LBB399_8
; %bb.6:
	s_load_dwordx4 s[12:15], s[4:5], 0x30
	s_load_dwordx2 s[10:11], s[4:5], 0x40
	s_sub_i32 s4, s9, s8
	s_ashr_i32 s5, s4, 31
	s_sub_i32 s7, s7, s8
	s_lshl_b64 s[16:17], s[4:5], 12
	s_waitcnt lgkmcnt(0)
	s_add_u32 s9, s14, s16
	v_lshrrev_b32_e32 v5, 5, v0
	s_addc_u32 s14, s15, s17
	v_cndmask_b32_e32 v10, v9, v5, vcc
	v_lshlrev_b32_e32 v5, 2, v0
	v_mov_b32_e32 v8, s14
	s_lshl_b64 s[14:15], s[4:5], 2
	v_mov_b32_e32 v6, 0
	v_add_co_u32_e32 v7, vcc, s9, v5
	s_add_u32 s12, s12, s14
	v_addc_co_u32_e32 v8, vcc, 0, v8, vcc
	s_addc_u32 s13, s13, s15
	v_mov_b32_e32 v11, s11
	v_mov_b32_e32 v5, v6
.LBB399_7:                              ; =>This Inner Loop Header: Depth=1
	s_load_dword s5, s[12:13], 0x0
	global_load_dword v14, v[7:8], off
	s_add_i32 s4, s4, 1
	s_waitcnt lgkmcnt(0)
	s_sub_i32 s5, s5, s8
	v_lshl_or_b32 v12, s5, 5, v10
	v_ashrrev_i32_e32 v13, 31, v12
	v_lshlrev_b64 v[12:13], 3, v[12:13]
	s_add_u32 s12, s12, 4
	v_add_co_u32_e32 v12, vcc, s10, v12
	v_addc_co_u32_e32 v13, vcc, v11, v13, vcc
	global_load_dwordx2 v[12:13], v[12:13], off
	v_add_co_u32_e32 v7, vcc, 0x1000, v7
	s_addc_u32 s13, s13, 0
	v_addc_co_u32_e32 v8, vcc, 0, v8, vcc
	s_cmp_lt_i32 s4, s7
	s_waitcnt vmcnt(0)
	v_fmac_f32_e32 v5, v14, v12
	v_fmac_f32_e32 v6, 0, v12
	;; [unrolled: 1-line block ×4, first 2 shown]
	s_cbranch_scc1 .LBB399_7
.LBB399_8:
	v_lshlrev_b32_e32 v7, 3, v0
	s_and_b64 vcc, exec, s[0:1]
	ds_write_b64 v7, v[5:6]
	s_waitcnt lgkmcnt(0)
	s_barrier
	s_cbranch_vccz .LBB399_20
; %bb.9:
	v_cmp_gt_u32_e32 vcc, 16, v9
	s_and_saveexec_b64 s[0:1], vcc
	s_cbranch_execz .LBB399_11
; %bb.10:
	ds_read2_b64 v[10:13], v7 offset1:16
	s_waitcnt lgkmcnt(0)
	v_add_f32_e32 v10, v12, v10
	v_add_f32_e32 v11, v13, v11
	ds_write_b64 v7, v[10:11]
.LBB399_11:
	s_or_b64 exec, exec, s[0:1]
	v_cmp_gt_u32_e32 vcc, 8, v9
	s_waitcnt lgkmcnt(0)
	s_barrier
	s_and_saveexec_b64 s[0:1], vcc
	s_cbranch_execz .LBB399_13
; %bb.12:
	ds_read2_b64 v[10:13], v7 offset1:8
	s_waitcnt lgkmcnt(0)
	v_add_f32_e32 v10, v12, v10
	v_add_f32_e32 v11, v13, v11
	ds_write_b64 v7, v[10:11]
.LBB399_13:
	s_or_b64 exec, exec, s[0:1]
	v_cmp_gt_u32_e32 vcc, 4, v9
	s_waitcnt lgkmcnt(0)
	s_barrier
	s_and_saveexec_b64 s[0:1], vcc
	s_cbranch_execz .LBB399_15
; %bb.14:
	ds_read2_b64 v[10:13], v7 offset1:4
	s_waitcnt lgkmcnt(0)
	v_add_f32_e32 v10, v12, v10
	v_add_f32_e32 v11, v13, v11
	ds_write_b64 v7, v[10:11]
.LBB399_15:
	s_or_b64 exec, exec, s[0:1]
	v_cmp_gt_u32_e32 vcc, 2, v9
	s_waitcnt lgkmcnt(0)
	s_barrier
	s_and_saveexec_b64 s[0:1], vcc
	s_cbranch_execz .LBB399_17
; %bb.16:
	ds_read2_b64 v[8:11], v7 offset1:2
	s_waitcnt lgkmcnt(0)
	v_add_f32_e32 v8, v10, v8
	v_add_f32_e32 v9, v11, v9
	ds_write_b64 v7, v[8:9]
.LBB399_17:
	s_or_b64 exec, exec, s[0:1]
	v_cmp_gt_u32_e32 vcc, 32, v0
	v_mov_b32_e32 v9, v6
	v_mov_b32_e32 v8, v5
	s_waitcnt lgkmcnt(0)
	s_barrier
	s_and_saveexec_b64 s[0:1], vcc
	s_cbranch_execz .LBB399_19
; %bb.18:
	s_movk_i32 s4, 0xf8
	v_mad_u32_u24 v8, v0, s4, v7
	ds_read2_b64 v[8:11], v8 offset1:1
	s_waitcnt lgkmcnt(0)
	v_add_f32_e32 v8, v10, v8
	v_add_f32_e32 v9, v11, v9
.LBB399_19:
	s_or_b64 exec, exec, s[0:1]
	s_branch .LBB399_32
.LBB399_20:
                                        ; implicit-def: $vgpr9
                                        ; implicit-def: $vgpr8
	s_cbranch_execz .LBB399_32
; %bb.21:
	s_movk_i32 s0, 0x200
	v_cmp_gt_u32_e32 vcc, s0, v0
	s_and_saveexec_b64 s[0:1], vcc
	s_cbranch_execz .LBB399_23
; %bb.22:
	ds_read2st64_b64 v[8:11], v7 offset1:8
	s_waitcnt lgkmcnt(0)
	v_add_f32_e32 v8, v10, v8
	v_add_f32_e32 v9, v11, v9
	ds_write_b64 v7, v[8:9]
.LBB399_23:
	s_or_b64 exec, exec, s[0:1]
	s_movk_i32 s0, 0x100
	v_cmp_gt_u32_e32 vcc, s0, v0
	s_waitcnt lgkmcnt(0)
	s_barrier
	s_and_saveexec_b64 s[0:1], vcc
	s_cbranch_execz .LBB399_25
; %bb.24:
	ds_read2st64_b64 v[8:11], v7 offset1:4
	s_waitcnt lgkmcnt(0)
	v_add_f32_e32 v8, v10, v8
	v_add_f32_e32 v9, v11, v9
	ds_write_b64 v7, v[8:9]
.LBB399_25:
	s_or_b64 exec, exec, s[0:1]
	s_movk_i32 s0, 0x80
	v_cmp_gt_u32_e32 vcc, s0, v0
	s_waitcnt lgkmcnt(0)
	s_barrier
	s_and_saveexec_b64 s[0:1], vcc
	s_cbranch_execz .LBB399_27
; %bb.26:
	ds_read2st64_b64 v[8:11], v7 offset1:2
	s_waitcnt lgkmcnt(0)
	v_add_f32_e32 v8, v10, v8
	v_add_f32_e32 v9, v11, v9
	ds_write_b64 v7, v[8:9]
.LBB399_27:
	s_or_b64 exec, exec, s[0:1]
	v_cmp_gt_u32_e32 vcc, 64, v0
	s_waitcnt lgkmcnt(0)
	s_barrier
	s_and_saveexec_b64 s[0:1], vcc
	s_cbranch_execz .LBB399_29
; %bb.28:
	ds_read2st64_b64 v[8:11], v7 offset1:1
	s_waitcnt lgkmcnt(0)
	v_add_f32_e32 v8, v10, v8
	v_add_f32_e32 v9, v11, v9
	ds_write_b64 v7, v[8:9]
.LBB399_29:
	s_or_b64 exec, exec, s[0:1]
	v_cmp_gt_u32_e32 vcc, 32, v0
	s_waitcnt lgkmcnt(0)
	s_and_saveexec_b64 s[0:1], vcc
	s_cbranch_execz .LBB399_31
; %bb.30:
	ds_read2_b64 v[5:8], v7 offset1:32
	s_waitcnt lgkmcnt(0)
	v_add_f32_e32 v5, v7, v5
	v_add_f32_e32 v6, v8, v6
.LBB399_31:
	s_or_b64 exec, exec, s[0:1]
	v_mov_b32_e32 v9, v6
	v_mov_b32_e32 v8, v5
.LBB399_32:
	v_cmp_gt_u32_e32 vcc, 32, v0
	s_and_b64 exec, exec, vcc
	s_cbranch_execz .LBB399_37
; %bb.33:
	v_cmp_eq_f32_e32 vcc, 0, v1
	v_cmp_eq_f32_e64 s[0:1], 0, v2
	v_mul_f32_e64 v5, v9, -v4
	v_mul_f32_e32 v6, v3, v9
	s_and_b64 s[0:1], vcc, s[0:1]
	v_fmac_f32_e32 v5, v3, v8
	v_fmac_f32_e32 v6, v4, v8
	v_lshl_or_b32 v3, s6, 5, v0
	s_and_saveexec_b64 s[4:5], s[0:1]
	s_xor_b64 s[0:1], exec, s[4:5]
	s_cbranch_execz .LBB399_35
; %bb.34:
	v_mov_b32_e32 v4, 0
	v_lshlrev_b64 v[0:1], 3, v[3:4]
	v_mov_b32_e32 v2, s3
	v_add_co_u32_e32 v0, vcc, s2, v0
	v_addc_co_u32_e32 v1, vcc, v2, v1, vcc
	global_store_dwordx2 v[0:1], v[5:6], off
                                        ; implicit-def: $vgpr3
                                        ; implicit-def: $vgpr1_vgpr2
                                        ; implicit-def: $vgpr5
.LBB399_35:
	s_andn2_saveexec_b64 s[0:1], s[0:1]
	s_cbranch_execz .LBB399_37
; %bb.36:
	v_mov_b32_e32 v4, 0
	v_lshlrev_b64 v[3:4], 3, v[3:4]
	v_mov_b32_e32 v0, s3
	v_add_co_u32_e32 v3, vcc, s2, v3
	v_addc_co_u32_e32 v4, vcc, v0, v4, vcc
	global_load_dwordx2 v[7:8], v[3:4], off
	s_waitcnt vmcnt(0)
	v_fmac_f32_e32 v5, v1, v7
	v_fmac_f32_e32 v6, v2, v7
	v_fma_f32 v5, -v2, v8, v5
	v_fmac_f32_e32 v6, v1, v8
	global_store_dwordx2 v[3:4], v[5:6], off
.LBB399_37:
	s_endpgm
	.section	.rodata,"a",@progbits
	.p2align	6, 0x0
	.amdhsa_kernel _ZN9rocsparseL20bsrxmvn_17_32_kernelILj32E21rocsparse_complex_numIfEiifS2_S2_EEvT2_20rocsparse_direction_NS_24const_host_device_scalarIT0_EES3_PKS3_PKT1_SC_S9_PKT3_PKT4_S7_PT5_21rocsparse_index_base_b
		.amdhsa_group_segment_fixed_size 8192
		.amdhsa_private_segment_fixed_size 0
		.amdhsa_kernarg_size 96
		.amdhsa_user_sgpr_count 6
		.amdhsa_user_sgpr_private_segment_buffer 1
		.amdhsa_user_sgpr_dispatch_ptr 0
		.amdhsa_user_sgpr_queue_ptr 0
		.amdhsa_user_sgpr_kernarg_segment_ptr 1
		.amdhsa_user_sgpr_dispatch_id 0
		.amdhsa_user_sgpr_flat_scratch_init 0
		.amdhsa_user_sgpr_private_segment_size 0
		.amdhsa_uses_dynamic_stack 0
		.amdhsa_system_sgpr_private_segment_wavefront_offset 0
		.amdhsa_system_sgpr_workgroup_id_x 1
		.amdhsa_system_sgpr_workgroup_id_y 0
		.amdhsa_system_sgpr_workgroup_id_z 0
		.amdhsa_system_sgpr_workgroup_info 0
		.amdhsa_system_vgpr_workitem_id 0
		.amdhsa_next_free_vgpr 29
		.amdhsa_next_free_sgpr 61
		.amdhsa_reserve_vcc 1
		.amdhsa_reserve_flat_scratch 0
		.amdhsa_float_round_mode_32 0
		.amdhsa_float_round_mode_16_64 0
		.amdhsa_float_denorm_mode_32 3
		.amdhsa_float_denorm_mode_16_64 3
		.amdhsa_dx10_clamp 1
		.amdhsa_ieee_mode 1
		.amdhsa_fp16_overflow 0
		.amdhsa_exception_fp_ieee_invalid_op 0
		.amdhsa_exception_fp_denorm_src 0
		.amdhsa_exception_fp_ieee_div_zero 0
		.amdhsa_exception_fp_ieee_overflow 0
		.amdhsa_exception_fp_ieee_underflow 0
		.amdhsa_exception_fp_ieee_inexact 0
		.amdhsa_exception_int_div_zero 0
	.end_amdhsa_kernel
	.section	.text._ZN9rocsparseL20bsrxmvn_17_32_kernelILj32E21rocsparse_complex_numIfEiifS2_S2_EEvT2_20rocsparse_direction_NS_24const_host_device_scalarIT0_EES3_PKS3_PKT1_SC_S9_PKT3_PKT4_S7_PT5_21rocsparse_index_base_b,"axG",@progbits,_ZN9rocsparseL20bsrxmvn_17_32_kernelILj32E21rocsparse_complex_numIfEiifS2_S2_EEvT2_20rocsparse_direction_NS_24const_host_device_scalarIT0_EES3_PKS3_PKT1_SC_S9_PKT3_PKT4_S7_PT5_21rocsparse_index_base_b,comdat
.Lfunc_end399:
	.size	_ZN9rocsparseL20bsrxmvn_17_32_kernelILj32E21rocsparse_complex_numIfEiifS2_S2_EEvT2_20rocsparse_direction_NS_24const_host_device_scalarIT0_EES3_PKS3_PKT1_SC_S9_PKT3_PKT4_S7_PT5_21rocsparse_index_base_b, .Lfunc_end399-_ZN9rocsparseL20bsrxmvn_17_32_kernelILj32E21rocsparse_complex_numIfEiifS2_S2_EEvT2_20rocsparse_direction_NS_24const_host_device_scalarIT0_EES3_PKS3_PKT1_SC_S9_PKT3_PKT4_S7_PT5_21rocsparse_index_base_b
                                        ; -- End function
	.set _ZN9rocsparseL20bsrxmvn_17_32_kernelILj32E21rocsparse_complex_numIfEiifS2_S2_EEvT2_20rocsparse_direction_NS_24const_host_device_scalarIT0_EES3_PKS3_PKT1_SC_S9_PKT3_PKT4_S7_PT5_21rocsparse_index_base_b.num_vgpr, 15
	.set _ZN9rocsparseL20bsrxmvn_17_32_kernelILj32E21rocsparse_complex_numIfEiifS2_S2_EEvT2_20rocsparse_direction_NS_24const_host_device_scalarIT0_EES3_PKS3_PKT1_SC_S9_PKT3_PKT4_S7_PT5_21rocsparse_index_base_b.num_agpr, 0
	.set _ZN9rocsparseL20bsrxmvn_17_32_kernelILj32E21rocsparse_complex_numIfEiifS2_S2_EEvT2_20rocsparse_direction_NS_24const_host_device_scalarIT0_EES3_PKS3_PKT1_SC_S9_PKT3_PKT4_S7_PT5_21rocsparse_index_base_b.numbered_sgpr, 18
	.set _ZN9rocsparseL20bsrxmvn_17_32_kernelILj32E21rocsparse_complex_numIfEiifS2_S2_EEvT2_20rocsparse_direction_NS_24const_host_device_scalarIT0_EES3_PKS3_PKT1_SC_S9_PKT3_PKT4_S7_PT5_21rocsparse_index_base_b.num_named_barrier, 0
	.set _ZN9rocsparseL20bsrxmvn_17_32_kernelILj32E21rocsparse_complex_numIfEiifS2_S2_EEvT2_20rocsparse_direction_NS_24const_host_device_scalarIT0_EES3_PKS3_PKT1_SC_S9_PKT3_PKT4_S7_PT5_21rocsparse_index_base_b.private_seg_size, 0
	.set _ZN9rocsparseL20bsrxmvn_17_32_kernelILj32E21rocsparse_complex_numIfEiifS2_S2_EEvT2_20rocsparse_direction_NS_24const_host_device_scalarIT0_EES3_PKS3_PKT1_SC_S9_PKT3_PKT4_S7_PT5_21rocsparse_index_base_b.uses_vcc, 1
	.set _ZN9rocsparseL20bsrxmvn_17_32_kernelILj32E21rocsparse_complex_numIfEiifS2_S2_EEvT2_20rocsparse_direction_NS_24const_host_device_scalarIT0_EES3_PKS3_PKT1_SC_S9_PKT3_PKT4_S7_PT5_21rocsparse_index_base_b.uses_flat_scratch, 0
	.set _ZN9rocsparseL20bsrxmvn_17_32_kernelILj32E21rocsparse_complex_numIfEiifS2_S2_EEvT2_20rocsparse_direction_NS_24const_host_device_scalarIT0_EES3_PKS3_PKT1_SC_S9_PKT3_PKT4_S7_PT5_21rocsparse_index_base_b.has_dyn_sized_stack, 0
	.set _ZN9rocsparseL20bsrxmvn_17_32_kernelILj32E21rocsparse_complex_numIfEiifS2_S2_EEvT2_20rocsparse_direction_NS_24const_host_device_scalarIT0_EES3_PKS3_PKT1_SC_S9_PKT3_PKT4_S7_PT5_21rocsparse_index_base_b.has_recursion, 0
	.set _ZN9rocsparseL20bsrxmvn_17_32_kernelILj32E21rocsparse_complex_numIfEiifS2_S2_EEvT2_20rocsparse_direction_NS_24const_host_device_scalarIT0_EES3_PKS3_PKT1_SC_S9_PKT3_PKT4_S7_PT5_21rocsparse_index_base_b.has_indirect_call, 0
	.section	.AMDGPU.csdata,"",@progbits
; Kernel info:
; codeLenInByte = 1284
; TotalNumSgprs: 22
; NumVgprs: 15
; ScratchSize: 0
; MemoryBound: 0
; FloatMode: 240
; IeeeMode: 1
; LDSByteSize: 8192 bytes/workgroup (compile time only)
; SGPRBlocks: 8
; VGPRBlocks: 7
; NumSGPRsForWavesPerEU: 65
; NumVGPRsForWavesPerEU: 29
; Occupancy: 8
; WaveLimiterHint : 1
; COMPUTE_PGM_RSRC2:SCRATCH_EN: 0
; COMPUTE_PGM_RSRC2:USER_SGPR: 6
; COMPUTE_PGM_RSRC2:TRAP_HANDLER: 0
; COMPUTE_PGM_RSRC2:TGID_X_EN: 1
; COMPUTE_PGM_RSRC2:TGID_Y_EN: 0
; COMPUTE_PGM_RSRC2:TGID_Z_EN: 0
; COMPUTE_PGM_RSRC2:TIDIG_COMP_CNT: 0
	.section	.text._ZN9rocsparseL20bsrxmvn_17_32_kernelILj17E21rocsparse_complex_numIfElifS2_S2_EEvT2_20rocsparse_direction_NS_24const_host_device_scalarIT0_EES3_PKS3_PKT1_SC_S9_PKT3_PKT4_S7_PT5_21rocsparse_index_base_b,"axG",@progbits,_ZN9rocsparseL20bsrxmvn_17_32_kernelILj17E21rocsparse_complex_numIfElifS2_S2_EEvT2_20rocsparse_direction_NS_24const_host_device_scalarIT0_EES3_PKS3_PKT1_SC_S9_PKT3_PKT4_S7_PT5_21rocsparse_index_base_b,comdat
	.globl	_ZN9rocsparseL20bsrxmvn_17_32_kernelILj17E21rocsparse_complex_numIfElifS2_S2_EEvT2_20rocsparse_direction_NS_24const_host_device_scalarIT0_EES3_PKS3_PKT1_SC_S9_PKT3_PKT4_S7_PT5_21rocsparse_index_base_b ; -- Begin function _ZN9rocsparseL20bsrxmvn_17_32_kernelILj17E21rocsparse_complex_numIfElifS2_S2_EEvT2_20rocsparse_direction_NS_24const_host_device_scalarIT0_EES3_PKS3_PKT1_SC_S9_PKT3_PKT4_S7_PT5_21rocsparse_index_base_b
	.p2align	8
	.type	_ZN9rocsparseL20bsrxmvn_17_32_kernelILj17E21rocsparse_complex_numIfElifS2_S2_EEvT2_20rocsparse_direction_NS_24const_host_device_scalarIT0_EES3_PKS3_PKT1_SC_S9_PKT3_PKT4_S7_PT5_21rocsparse_index_base_b,@function
_ZN9rocsparseL20bsrxmvn_17_32_kernelILj17E21rocsparse_complex_numIfElifS2_S2_EEvT2_20rocsparse_direction_NS_24const_host_device_scalarIT0_EES3_PKS3_PKT1_SC_S9_PKT3_PKT4_S7_PT5_21rocsparse_index_base_b: ; @_ZN9rocsparseL20bsrxmvn_17_32_kernelILj17E21rocsparse_complex_numIfElifS2_S2_EEvT2_20rocsparse_direction_NS_24const_host_device_scalarIT0_EES3_PKS3_PKT1_SC_S9_PKT3_PKT4_S7_PT5_21rocsparse_index_base_b
; %bb.0:
	s_load_dwordx2 s[0:1], s[4:5], 0x8
	s_load_dwordx2 s[14:15], s[4:5], 0x58
	s_add_u32 s7, s4, 8
	s_addc_u32 s8, s5, 0
	s_add_u32 s9, s4, 0x48
	s_load_dwordx2 s[2:3], s[4:5], 0x48
	s_addc_u32 s10, s5, 0
	s_waitcnt lgkmcnt(0)
	s_bitcmp1_b32 s15, 0
	s_cselect_b32 s1, s8, s1
	s_cselect_b32 s0, s7, s0
	v_mov_b32_e32 v1, s0
	v_mov_b32_e32 v2, s1
	flat_load_dwordx2 v[3:4], v[1:2]
	s_cselect_b32 s0, s10, s3
	s_cselect_b32 s1, s9, s2
	v_mov_b32_e32 v1, s1
	v_mov_b32_e32 v2, s0
	flat_load_dwordx2 v[1:2], v[1:2]
	s_waitcnt vmcnt(0) lgkmcnt(0)
	v_cmp_eq_f32_e32 vcc, 0, v3
	v_cmp_eq_f32_e64 s[0:1], 0, v4
	s_and_b64 s[8:9], vcc, s[0:1]
	s_mov_b64 s[0:1], -1
	s_and_saveexec_b64 s[2:3], s[8:9]
; %bb.1:
	v_cmp_neq_f32_e32 vcc, 1.0, v1
	v_cmp_neq_f32_e64 s[0:1], 0, v2
	s_or_b64 s[0:1], vcc, s[0:1]
	s_orn2_b64 s[0:1], s[0:1], exec
; %bb.2:
	s_or_b64 exec, exec, s[2:3]
	s_and_saveexec_b64 s[2:3], s[0:1]
	s_cbranch_execz .LBB400_39
; %bb.3:
	s_load_dwordx4 s[0:3], s[4:5], 0x18
	s_load_dwordx2 s[8:9], s[4:5], 0x28
	s_waitcnt lgkmcnt(0)
	s_cmp_eq_u64 s[0:1], 0
	s_cbranch_scc1 .LBB400_5
; %bb.4:
	s_ashr_i32 s7, s6, 31
	s_lshl_b64 s[6:7], s[6:7], 2
	s_add_u32 s0, s0, s6
	s_addc_u32 s1, s1, s7
	s_load_dword s0, s[0:1], 0x0
	s_waitcnt lgkmcnt(0)
	s_sub_i32 s6, s0, s14
.LBB400_5:
	s_load_dword s7, s[4:5], 0x4
	s_load_dwordx2 s[12:13], s[4:5], 0x50
	v_mul_u32_u24_e32 v7, 0xf10, v0
	v_mov_b32_e32 v5, 17
	v_mul_lo_u16_sdwa v5, v7, v5 dst_sel:DWORD dst_unused:UNUSED_PAD src0_sel:WORD_1 src1_sel:DWORD
	s_waitcnt lgkmcnt(0)
	s_cmp_eq_u32 s7, 1
	s_cselect_b64 s[0:1], -1, 0
	s_cmp_lg_u32 s7, 1
	s_cselect_b64 s[16:17], -1, 0
	s_ashr_i32 s7, s6, 31
	s_lshl_b64 s[10:11], s[6:7], 3
	s_add_u32 s2, s2, s10
	s_addc_u32 s3, s3, s11
	s_add_u32 s7, s2, 8
	s_addc_u32 s15, s3, 0
	;; [unrolled: 2-line block ×3, first 2 shown]
	s_cmp_eq_u64 s[8:9], 0
	s_cselect_b32 s9, s15, s11
	s_cselect_b32 s8, s7, s10
	s_load_dwordx2 s[18:19], s[8:9], 0x0
	s_load_dwordx2 s[20:21], s[2:3], 0x0
	v_sub_u16_e32 v12, v0, v5
	s_waitcnt lgkmcnt(0)
	v_mov_b32_e32 v5, s18
	v_mov_b32_e32 v6, s19
	v_cmp_ge_i64_e32 vcc, s[20:21], v[5:6]
	v_mov_b32_e32 v6, 0
	v_mov_b32_e32 v5, 0
	s_cbranch_vccnz .LBB400_10
; %bb.6:
	v_mov_b32_e32 v5, 31
	v_mul_lo_u16_sdwa v5, v7, v5 dst_sel:DWORD dst_unused:UNUSED_PAD src0_sel:WORD_1 src1_sel:DWORD
	s_load_dwordx4 s[8:11], s[4:5], 0x30
	s_load_dwordx2 s[2:3], s[4:5], 0x40
	s_sub_u32 s4, s18, s14
	v_lshrrev_b16_e32 v5, 9, v5
	s_subb_u32 s5, s19, 0
	v_mul_lo_u16_e32 v5, 17, v5
	v_sub_u16_sdwa v5, v7, v5 dst_sel:DWORD dst_unused:UNUSED_PAD src0_sel:WORD_1 src1_sel:DWORD
	s_sub_u32 s18, s20, s14
	v_and_b32_e32 v5, 0xff, v5
	s_subb_u32 s19, s21, 0
	v_cndmask_b32_e64 v7, v12, v5, s[0:1]
	s_mul_i32 s0, s19, 0x484
	s_mul_hi_u32 s1, s18, 0x484
	s_add_i32 s1, s1, s0
	s_mul_i32 s0, s18, 0x484
	s_waitcnt lgkmcnt(0)
	s_add_u32 s0, s10, s0
	v_lshlrev_b32_e32 v5, 2, v0
	s_addc_u32 s1, s11, s1
	v_add_co_u32_e32 v8, vcc, s0, v5
	s_movk_i32 s0, 0xe3
	v_mov_b32_e32 v9, s1
	v_mul_u32_u24_sdwa v5, v0, s0 dst_sel:DWORD dst_unused:UNUSED_PAD src0_sel:WORD_0 src1_sel:DWORD
	v_addc_co_u32_e32 v9, vcc, 0, v9, vcc
	v_lshrrev_b32_e32 v13, 16, v5
	v_mov_b32_e32 v5, s21
	v_add_co_u32_e32 v10, vcc, s20, v13
	v_addc_co_u32_e32 v5, vcc, 0, v5, vcc
	v_subrev_co_u32_e32 v10, vcc, s14, v10
	v_subbrev_co_u32_e32 v11, vcc, 0, v5, vcc
	v_lshlrev_b64 v[10:11], 2, v[10:11]
	v_mov_b32_e32 v6, 0
	v_mov_b32_e32 v5, s9
	v_add_co_u32_e32 v10, vcc, s8, v10
	v_addc_co_u32_e32 v11, vcc, v5, v11, vcc
	v_mov_b32_e32 v5, v6
	s_branch .LBB400_8
.LBB400_7:                              ;   in Loop: Header=BB400_8 Depth=1
	s_or_b64 exec, exec, s[0:1]
	s_add_u32 s18, s18, 1
	v_mov_b32_e32 v15, s5
	s_addc_u32 s19, s19, 0
	v_mov_b32_e32 v14, s4
	v_cmp_lt_i64_e32 vcc, s[18:19], v[14:15]
	v_add_co_u32_e64 v10, s[0:1], 4, v10
	v_addc_co_u32_e64 v11, s[0:1], 0, v11, s[0:1]
	s_cbranch_vccz .LBB400_10
.LBB400_8:                              ; =>This Inner Loop Header: Depth=1
	v_mov_b32_e32 v15, s19
	v_add_co_u32_e32 v14, vcc, s18, v13
	v_addc_co_u32_e32 v15, vcc, 0, v15, vcc
	v_cmp_gt_i64_e32 vcc, s[4:5], v[14:15]
	s_and_saveexec_b64 s[0:1], vcc
	s_cbranch_execz .LBB400_7
; %bb.9:                                ;   in Loop: Header=BB400_8 Depth=1
	global_load_dword v14, v[10:11], off
	v_mov_b32_e32 v17, s3
	global_load_dword v16, v[8:9], off
	s_waitcnt vmcnt(1)
	v_subrev_u32_e32 v14, s14, v14
	v_mad_u64_u32 v[14:15], s[8:9], v14, 17, v[7:8]
	v_ashrrev_i32_e32 v15, 31, v14
	v_lshlrev_b64 v[14:15], 3, v[14:15]
	v_add_co_u32_e32 v14, vcc, s2, v14
	v_addc_co_u32_e32 v15, vcc, v17, v15, vcc
	global_load_dwordx2 v[14:15], v[14:15], off
	v_add_co_u32_e32 v8, vcc, 0x484, v8
	v_addc_co_u32_e32 v9, vcc, 0, v9, vcc
	s_waitcnt vmcnt(0)
	v_fmac_f32_e32 v5, v16, v14
	v_fmac_f32_e32 v6, 0, v14
	;; [unrolled: 1-line block ×4, first 2 shown]
	s_branch .LBB400_7
.LBB400_10:
	v_lshlrev_b32_e32 v7, 3, v0
	s_and_b64 vcc, exec, s[16:17]
	ds_write_b64 v7, v[5:6]
	s_waitcnt lgkmcnt(0)
	s_barrier
	s_cbranch_vccz .LBB400_22
; %bb.11:
	v_cmp_eq_u16_e32 vcc, 0, v12
	s_and_saveexec_b64 s[0:1], vcc
	s_cbranch_execz .LBB400_13
; %bb.12:
	ds_read2_b64 v[8:11], v7 offset1:16
	s_waitcnt lgkmcnt(0)
	v_add_f32_e32 v8, v10, v8
	v_add_f32_e32 v9, v11, v9
	ds_write_b64 v7, v[8:9]
.LBB400_13:
	s_or_b64 exec, exec, s[0:1]
	v_cmp_gt_u16_e32 vcc, 8, v12
	s_waitcnt lgkmcnt(0)
	s_barrier
	s_and_saveexec_b64 s[0:1], vcc
	s_cbranch_execz .LBB400_15
; %bb.14:
	ds_read2_b64 v[8:11], v7 offset1:8
	s_waitcnt lgkmcnt(0)
	v_add_f32_e32 v8, v10, v8
	v_add_f32_e32 v9, v11, v9
	ds_write_b64 v7, v[8:9]
.LBB400_15:
	s_or_b64 exec, exec, s[0:1]
	v_cmp_gt_u16_e32 vcc, 4, v12
	s_waitcnt lgkmcnt(0)
	s_barrier
	;; [unrolled: 13-line block ×3, first 2 shown]
	s_and_saveexec_b64 s[0:1], vcc
	s_cbranch_execz .LBB400_19
; %bb.18:
	ds_read2_b64 v[8:11], v7 offset1:2
	s_waitcnt lgkmcnt(0)
	v_add_f32_e32 v8, v10, v8
	v_add_f32_e32 v9, v11, v9
	ds_write_b64 v7, v[8:9]
.LBB400_19:
	s_or_b64 exec, exec, s[0:1]
	v_cmp_gt_u32_e32 vcc, 17, v0
	v_mov_b32_e32 v9, v6
	v_mov_b32_e32 v8, v5
	s_waitcnt lgkmcnt(0)
	s_barrier
	s_and_saveexec_b64 s[0:1], vcc
	s_cbranch_execz .LBB400_21
; %bb.20:
	v_lshl_add_u32 v8, v0, 7, v7
	ds_read2_b64 v[8:11], v8 offset1:1
	s_waitcnt lgkmcnt(0)
	v_add_f32_e32 v8, v10, v8
	v_add_f32_e32 v9, v11, v9
.LBB400_21:
	s_or_b64 exec, exec, s[0:1]
	v_cmp_gt_u32_e64 s[0:1], 17, v0
	s_branch .LBB400_34
.LBB400_22:
                                        ; implicit-def: $vgpr9
                                        ; implicit-def: $vgpr8
	v_cmp_gt_u32_e64 s[0:1], 17, v0
	s_cbranch_execz .LBB400_34
; %bb.23:
	s_and_saveexec_b64 s[2:3], s[0:1]
	s_cbranch_execz .LBB400_25
; %bb.24:
	ds_read_b64 v[8:9], v7 offset:2176
	ds_read_b64 v[10:11], v7
	s_waitcnt lgkmcnt(0)
	v_add_f32_e32 v8, v8, v10
	v_add_f32_e32 v9, v9, v11
	ds_write_b64 v7, v[8:9]
.LBB400_25:
	s_or_b64 exec, exec, s[2:3]
	s_movk_i32 s2, 0x88
	v_cmp_gt_u32_e32 vcc, s2, v0
	s_waitcnt lgkmcnt(0)
	s_barrier
	s_and_saveexec_b64 s[2:3], vcc
	s_cbranch_execz .LBB400_27
; %bb.26:
	ds_read2_b64 v[8:11], v7 offset1:136
	s_waitcnt lgkmcnt(0)
	v_add_f32_e32 v8, v10, v8
	v_add_f32_e32 v9, v11, v9
	ds_write_b64 v7, v[8:9]
.LBB400_27:
	s_or_b64 exec, exec, s[2:3]
	s_movk_i32 s2, 0x44
	v_cmp_gt_u32_e32 vcc, s2, v0
	s_waitcnt lgkmcnt(0)
	s_barrier
	s_and_saveexec_b64 s[2:3], vcc
	s_cbranch_execz .LBB400_29
; %bb.28:
	ds_read2_b64 v[8:11], v7 offset1:68
	s_waitcnt lgkmcnt(0)
	v_add_f32_e32 v8, v10, v8
	v_add_f32_e32 v9, v11, v9
	ds_write_b64 v7, v[8:9]
.LBB400_29:
	s_or_b64 exec, exec, s[2:3]
	v_cmp_gt_u32_e32 vcc, 34, v0
	s_waitcnt lgkmcnt(0)
	s_barrier
	s_and_saveexec_b64 s[2:3], vcc
	s_cbranch_execz .LBB400_31
; %bb.30:
	ds_read2_b64 v[8:11], v7 offset1:34
	s_waitcnt lgkmcnt(0)
	v_add_f32_e32 v8, v10, v8
	v_add_f32_e32 v9, v11, v9
	ds_write_b64 v7, v[8:9]
.LBB400_31:
	s_or_b64 exec, exec, s[2:3]
	s_waitcnt lgkmcnt(0)
	s_and_saveexec_b64 s[2:3], s[0:1]
	s_cbranch_execz .LBB400_33
; %bb.32:
	ds_read2_b64 v[5:8], v7 offset1:17
	s_waitcnt lgkmcnt(0)
	v_add_f32_e32 v5, v7, v5
	v_add_f32_e32 v6, v8, v6
.LBB400_33:
	s_or_b64 exec, exec, s[2:3]
	v_mov_b32_e32 v9, v6
	v_mov_b32_e32 v8, v5
.LBB400_34:
	v_cmp_gt_u32_e32 vcc, 17, v0
	s_and_b64 exec, exec, vcc
	s_cbranch_execz .LBB400_39
; %bb.35:
	v_cmp_eq_f32_e32 vcc, 0, v1
	v_cmp_eq_f32_e64 s[0:1], 0, v2
	v_mul_f32_e64 v5, v9, -v4
	v_mul_f32_e32 v6, v3, v9
	s_and_b64 s[0:1], vcc, s[0:1]
	v_fmac_f32_e32 v5, v3, v8
	v_fmac_f32_e32 v6, v4, v8
	s_and_saveexec_b64 s[2:3], s[0:1]
	s_xor_b64 s[0:1], exec, s[2:3]
	s_cbranch_execz .LBB400_37
; %bb.36:
	v_mad_u64_u32 v[0:1], s[2:3], s6, 17, v[0:1]
	v_mov_b32_e32 v1, 0
	v_mov_b32_e32 v2, s13
	v_lshlrev_b64 v[0:1], 3, v[0:1]
	v_add_co_u32_e32 v0, vcc, s12, v0
	v_addc_co_u32_e32 v1, vcc, v2, v1, vcc
	global_store_dwordx2 v[0:1], v[5:6], off
                                        ; implicit-def: $vgpr0
                                        ; implicit-def: $vgpr1_vgpr2
                                        ; implicit-def: $vgpr5
.LBB400_37:
	s_andn2_saveexec_b64 s[0:1], s[0:1]
	s_cbranch_execz .LBB400_39
; %bb.38:
	v_mad_u64_u32 v[3:4], s[0:1], s6, 17, v[0:1]
	v_mov_b32_e32 v4, 0
	v_mov_b32_e32 v0, s13
	v_lshlrev_b64 v[3:4], 3, v[3:4]
	v_add_co_u32_e32 v3, vcc, s12, v3
	v_addc_co_u32_e32 v4, vcc, v0, v4, vcc
	global_load_dwordx2 v[7:8], v[3:4], off
	s_waitcnt vmcnt(0)
	v_fmac_f32_e32 v5, v1, v7
	v_fmac_f32_e32 v6, v2, v7
	v_fma_f32 v5, -v2, v8, v5
	v_fmac_f32_e32 v6, v1, v8
	global_store_dwordx2 v[3:4], v[5:6], off
.LBB400_39:
	s_endpgm
	.section	.rodata,"a",@progbits
	.p2align	6, 0x0
	.amdhsa_kernel _ZN9rocsparseL20bsrxmvn_17_32_kernelILj17E21rocsparse_complex_numIfElifS2_S2_EEvT2_20rocsparse_direction_NS_24const_host_device_scalarIT0_EES3_PKS3_PKT1_SC_S9_PKT3_PKT4_S7_PT5_21rocsparse_index_base_b
		.amdhsa_group_segment_fixed_size 2312
		.amdhsa_private_segment_fixed_size 0
		.amdhsa_kernarg_size 96
		.amdhsa_user_sgpr_count 6
		.amdhsa_user_sgpr_private_segment_buffer 1
		.amdhsa_user_sgpr_dispatch_ptr 0
		.amdhsa_user_sgpr_queue_ptr 0
		.amdhsa_user_sgpr_kernarg_segment_ptr 1
		.amdhsa_user_sgpr_dispatch_id 0
		.amdhsa_user_sgpr_flat_scratch_init 0
		.amdhsa_user_sgpr_private_segment_size 0
		.amdhsa_uses_dynamic_stack 0
		.amdhsa_system_sgpr_private_segment_wavefront_offset 0
		.amdhsa_system_sgpr_workgroup_id_x 1
		.amdhsa_system_sgpr_workgroup_id_y 0
		.amdhsa_system_sgpr_workgroup_id_z 0
		.amdhsa_system_sgpr_workgroup_info 0
		.amdhsa_system_vgpr_workitem_id 0
		.amdhsa_next_free_vgpr 18
		.amdhsa_next_free_sgpr 22
		.amdhsa_reserve_vcc 1
		.amdhsa_reserve_flat_scratch 0
		.amdhsa_float_round_mode_32 0
		.amdhsa_float_round_mode_16_64 0
		.amdhsa_float_denorm_mode_32 3
		.amdhsa_float_denorm_mode_16_64 3
		.amdhsa_dx10_clamp 1
		.amdhsa_ieee_mode 1
		.amdhsa_fp16_overflow 0
		.amdhsa_exception_fp_ieee_invalid_op 0
		.amdhsa_exception_fp_denorm_src 0
		.amdhsa_exception_fp_ieee_div_zero 0
		.amdhsa_exception_fp_ieee_overflow 0
		.amdhsa_exception_fp_ieee_underflow 0
		.amdhsa_exception_fp_ieee_inexact 0
		.amdhsa_exception_int_div_zero 0
	.end_amdhsa_kernel
	.section	.text._ZN9rocsparseL20bsrxmvn_17_32_kernelILj17E21rocsparse_complex_numIfElifS2_S2_EEvT2_20rocsparse_direction_NS_24const_host_device_scalarIT0_EES3_PKS3_PKT1_SC_S9_PKT3_PKT4_S7_PT5_21rocsparse_index_base_b,"axG",@progbits,_ZN9rocsparseL20bsrxmvn_17_32_kernelILj17E21rocsparse_complex_numIfElifS2_S2_EEvT2_20rocsparse_direction_NS_24const_host_device_scalarIT0_EES3_PKS3_PKT1_SC_S9_PKT3_PKT4_S7_PT5_21rocsparse_index_base_b,comdat
.Lfunc_end400:
	.size	_ZN9rocsparseL20bsrxmvn_17_32_kernelILj17E21rocsparse_complex_numIfElifS2_S2_EEvT2_20rocsparse_direction_NS_24const_host_device_scalarIT0_EES3_PKS3_PKT1_SC_S9_PKT3_PKT4_S7_PT5_21rocsparse_index_base_b, .Lfunc_end400-_ZN9rocsparseL20bsrxmvn_17_32_kernelILj17E21rocsparse_complex_numIfElifS2_S2_EEvT2_20rocsparse_direction_NS_24const_host_device_scalarIT0_EES3_PKS3_PKT1_SC_S9_PKT3_PKT4_S7_PT5_21rocsparse_index_base_b
                                        ; -- End function
	.set _ZN9rocsparseL20bsrxmvn_17_32_kernelILj17E21rocsparse_complex_numIfElifS2_S2_EEvT2_20rocsparse_direction_NS_24const_host_device_scalarIT0_EES3_PKS3_PKT1_SC_S9_PKT3_PKT4_S7_PT5_21rocsparse_index_base_b.num_vgpr, 18
	.set _ZN9rocsparseL20bsrxmvn_17_32_kernelILj17E21rocsparse_complex_numIfElifS2_S2_EEvT2_20rocsparse_direction_NS_24const_host_device_scalarIT0_EES3_PKS3_PKT1_SC_S9_PKT3_PKT4_S7_PT5_21rocsparse_index_base_b.num_agpr, 0
	.set _ZN9rocsparseL20bsrxmvn_17_32_kernelILj17E21rocsparse_complex_numIfElifS2_S2_EEvT2_20rocsparse_direction_NS_24const_host_device_scalarIT0_EES3_PKS3_PKT1_SC_S9_PKT3_PKT4_S7_PT5_21rocsparse_index_base_b.numbered_sgpr, 22
	.set _ZN9rocsparseL20bsrxmvn_17_32_kernelILj17E21rocsparse_complex_numIfElifS2_S2_EEvT2_20rocsparse_direction_NS_24const_host_device_scalarIT0_EES3_PKS3_PKT1_SC_S9_PKT3_PKT4_S7_PT5_21rocsparse_index_base_b.num_named_barrier, 0
	.set _ZN9rocsparseL20bsrxmvn_17_32_kernelILj17E21rocsparse_complex_numIfElifS2_S2_EEvT2_20rocsparse_direction_NS_24const_host_device_scalarIT0_EES3_PKS3_PKT1_SC_S9_PKT3_PKT4_S7_PT5_21rocsparse_index_base_b.private_seg_size, 0
	.set _ZN9rocsparseL20bsrxmvn_17_32_kernelILj17E21rocsparse_complex_numIfElifS2_S2_EEvT2_20rocsparse_direction_NS_24const_host_device_scalarIT0_EES3_PKS3_PKT1_SC_S9_PKT3_PKT4_S7_PT5_21rocsparse_index_base_b.uses_vcc, 1
	.set _ZN9rocsparseL20bsrxmvn_17_32_kernelILj17E21rocsparse_complex_numIfElifS2_S2_EEvT2_20rocsparse_direction_NS_24const_host_device_scalarIT0_EES3_PKS3_PKT1_SC_S9_PKT3_PKT4_S7_PT5_21rocsparse_index_base_b.uses_flat_scratch, 0
	.set _ZN9rocsparseL20bsrxmvn_17_32_kernelILj17E21rocsparse_complex_numIfElifS2_S2_EEvT2_20rocsparse_direction_NS_24const_host_device_scalarIT0_EES3_PKS3_PKT1_SC_S9_PKT3_PKT4_S7_PT5_21rocsparse_index_base_b.has_dyn_sized_stack, 0
	.set _ZN9rocsparseL20bsrxmvn_17_32_kernelILj17E21rocsparse_complex_numIfElifS2_S2_EEvT2_20rocsparse_direction_NS_24const_host_device_scalarIT0_EES3_PKS3_PKT1_SC_S9_PKT3_PKT4_S7_PT5_21rocsparse_index_base_b.has_recursion, 0
	.set _ZN9rocsparseL20bsrxmvn_17_32_kernelILj17E21rocsparse_complex_numIfElifS2_S2_EEvT2_20rocsparse_direction_NS_24const_host_device_scalarIT0_EES3_PKS3_PKT1_SC_S9_PKT3_PKT4_S7_PT5_21rocsparse_index_base_b.has_indirect_call, 0
	.section	.AMDGPU.csdata,"",@progbits
; Kernel info:
; codeLenInByte = 1492
; TotalNumSgprs: 26
; NumVgprs: 18
; ScratchSize: 0
; MemoryBound: 0
; FloatMode: 240
; IeeeMode: 1
; LDSByteSize: 2312 bytes/workgroup (compile time only)
; SGPRBlocks: 3
; VGPRBlocks: 4
; NumSGPRsForWavesPerEU: 26
; NumVGPRsForWavesPerEU: 18
; Occupancy: 10
; WaveLimiterHint : 1
; COMPUTE_PGM_RSRC2:SCRATCH_EN: 0
; COMPUTE_PGM_RSRC2:USER_SGPR: 6
; COMPUTE_PGM_RSRC2:TRAP_HANDLER: 0
; COMPUTE_PGM_RSRC2:TGID_X_EN: 1
; COMPUTE_PGM_RSRC2:TGID_Y_EN: 0
; COMPUTE_PGM_RSRC2:TGID_Z_EN: 0
; COMPUTE_PGM_RSRC2:TIDIG_COMP_CNT: 0
	.section	.text._ZN9rocsparseL20bsrxmvn_17_32_kernelILj18E21rocsparse_complex_numIfElifS2_S2_EEvT2_20rocsparse_direction_NS_24const_host_device_scalarIT0_EES3_PKS3_PKT1_SC_S9_PKT3_PKT4_S7_PT5_21rocsparse_index_base_b,"axG",@progbits,_ZN9rocsparseL20bsrxmvn_17_32_kernelILj18E21rocsparse_complex_numIfElifS2_S2_EEvT2_20rocsparse_direction_NS_24const_host_device_scalarIT0_EES3_PKS3_PKT1_SC_S9_PKT3_PKT4_S7_PT5_21rocsparse_index_base_b,comdat
	.globl	_ZN9rocsparseL20bsrxmvn_17_32_kernelILj18E21rocsparse_complex_numIfElifS2_S2_EEvT2_20rocsparse_direction_NS_24const_host_device_scalarIT0_EES3_PKS3_PKT1_SC_S9_PKT3_PKT4_S7_PT5_21rocsparse_index_base_b ; -- Begin function _ZN9rocsparseL20bsrxmvn_17_32_kernelILj18E21rocsparse_complex_numIfElifS2_S2_EEvT2_20rocsparse_direction_NS_24const_host_device_scalarIT0_EES3_PKS3_PKT1_SC_S9_PKT3_PKT4_S7_PT5_21rocsparse_index_base_b
	.p2align	8
	.type	_ZN9rocsparseL20bsrxmvn_17_32_kernelILj18E21rocsparse_complex_numIfElifS2_S2_EEvT2_20rocsparse_direction_NS_24const_host_device_scalarIT0_EES3_PKS3_PKT1_SC_S9_PKT3_PKT4_S7_PT5_21rocsparse_index_base_b,@function
_ZN9rocsparseL20bsrxmvn_17_32_kernelILj18E21rocsparse_complex_numIfElifS2_S2_EEvT2_20rocsparse_direction_NS_24const_host_device_scalarIT0_EES3_PKS3_PKT1_SC_S9_PKT3_PKT4_S7_PT5_21rocsparse_index_base_b: ; @_ZN9rocsparseL20bsrxmvn_17_32_kernelILj18E21rocsparse_complex_numIfElifS2_S2_EEvT2_20rocsparse_direction_NS_24const_host_device_scalarIT0_EES3_PKS3_PKT1_SC_S9_PKT3_PKT4_S7_PT5_21rocsparse_index_base_b
; %bb.0:
	s_load_dwordx2 s[0:1], s[4:5], 0x8
	s_load_dwordx2 s[14:15], s[4:5], 0x58
	s_add_u32 s7, s4, 8
	s_addc_u32 s8, s5, 0
	s_add_u32 s9, s4, 0x48
	s_load_dwordx2 s[2:3], s[4:5], 0x48
	s_addc_u32 s10, s5, 0
	s_waitcnt lgkmcnt(0)
	s_bitcmp1_b32 s15, 0
	s_cselect_b32 s1, s8, s1
	s_cselect_b32 s0, s7, s0
	v_mov_b32_e32 v1, s0
	v_mov_b32_e32 v2, s1
	flat_load_dwordx2 v[3:4], v[1:2]
	s_cselect_b32 s0, s10, s3
	s_cselect_b32 s1, s9, s2
	v_mov_b32_e32 v1, s1
	v_mov_b32_e32 v2, s0
	flat_load_dwordx2 v[1:2], v[1:2]
	s_waitcnt vmcnt(0) lgkmcnt(0)
	v_cmp_eq_f32_e32 vcc, 0, v3
	v_cmp_eq_f32_e64 s[0:1], 0, v4
	s_and_b64 s[8:9], vcc, s[0:1]
	s_mov_b64 s[0:1], -1
	s_and_saveexec_b64 s[2:3], s[8:9]
; %bb.1:
	v_cmp_neq_f32_e32 vcc, 1.0, v1
	v_cmp_neq_f32_e64 s[0:1], 0, v2
	s_or_b64 s[0:1], vcc, s[0:1]
	s_orn2_b64 s[0:1], s[0:1], exec
; %bb.2:
	s_or_b64 exec, exec, s[2:3]
	s_and_saveexec_b64 s[2:3], s[0:1]
	s_cbranch_execz .LBB401_39
; %bb.3:
	s_load_dwordx4 s[0:3], s[4:5], 0x18
	s_load_dwordx2 s[8:9], s[4:5], 0x28
	s_waitcnt lgkmcnt(0)
	s_cmp_eq_u64 s[0:1], 0
	s_cbranch_scc1 .LBB401_5
; %bb.4:
	s_ashr_i32 s7, s6, 31
	s_lshl_b64 s[6:7], s[6:7], 2
	s_add_u32 s0, s0, s6
	s_addc_u32 s1, s1, s7
	s_load_dword s0, s[0:1], 0x0
	s_waitcnt lgkmcnt(0)
	s_sub_i32 s6, s0, s14
.LBB401_5:
	s_load_dword s7, s[4:5], 0x4
	s_load_dwordx2 s[12:13], s[4:5], 0x50
	v_mul_u32_u24_e32 v7, 0xe39, v0
	v_mov_b32_e32 v8, 18
	v_mul_lo_u16_sdwa v5, v7, v8 dst_sel:DWORD dst_unused:UNUSED_PAD src0_sel:WORD_1 src1_sel:DWORD
	s_waitcnt lgkmcnt(0)
	s_cmp_eq_u32 s7, 1
	s_cselect_b64 s[0:1], -1, 0
	s_cmp_lg_u32 s7, 1
	s_cselect_b64 s[16:17], -1, 0
	s_ashr_i32 s7, s6, 31
	s_lshl_b64 s[10:11], s[6:7], 3
	s_add_u32 s2, s2, s10
	s_addc_u32 s3, s3, s11
	s_add_u32 s7, s2, 8
	s_addc_u32 s15, s3, 0
	;; [unrolled: 2-line block ×3, first 2 shown]
	s_cmp_eq_u64 s[8:9], 0
	s_cselect_b32 s9, s15, s11
	s_cselect_b32 s8, s7, s10
	s_load_dwordx2 s[18:19], s[8:9], 0x0
	s_load_dwordx2 s[20:21], s[2:3], 0x0
	v_sub_u16_e32 v12, v0, v5
	s_waitcnt lgkmcnt(0)
	v_mov_b32_e32 v5, s18
	v_mov_b32_e32 v6, s19
	v_cmp_ge_i64_e32 vcc, s[20:21], v[5:6]
	v_mov_b32_e32 v6, 0
	v_mov_b32_e32 v5, 0
	s_cbranch_vccnz .LBB401_10
; %bb.6:
	v_mov_b32_e32 v5, 15
	s_load_dwordx4 s[8:11], s[4:5], 0x30
	s_load_dwordx2 s[2:3], s[4:5], 0x40
	s_sub_u32 s4, s18, s14
	v_mul_lo_u16_sdwa v5, v7, v5 dst_sel:DWORD dst_unused:UNUSED_PAD src0_sel:WORD_1 src1_sel:DWORD
	s_subb_u32 s5, s19, 0
	v_mul_lo_u16_sdwa v5, v5, v8 dst_sel:DWORD dst_unused:UNUSED_PAD src0_sel:BYTE_1 src1_sel:DWORD
	v_sub_u16_sdwa v5, v7, v5 dst_sel:DWORD dst_unused:UNUSED_PAD src0_sel:WORD_1 src1_sel:DWORD
	s_sub_u32 s18, s20, s14
	v_and_b32_e32 v5, 0xff, v5
	s_subb_u32 s19, s21, 0
	v_cndmask_b32_e64 v7, v12, v5, s[0:1]
	s_mul_i32 s0, s19, 0x510
	s_mul_hi_u32 s1, s18, 0x510
	s_add_i32 s1, s1, s0
	s_mul_i32 s0, s18, 0x510
	s_waitcnt lgkmcnt(0)
	s_add_u32 s0, s10, s0
	v_lshlrev_b32_e32 v5, 2, v0
	s_addc_u32 s1, s11, s1
	v_add_co_u32_e32 v8, vcc, s0, v5
	s_movk_i32 s0, 0x195
	v_mov_b32_e32 v9, s1
	v_mul_u32_u24_sdwa v5, v0, s0 dst_sel:DWORD dst_unused:UNUSED_PAD src0_sel:WORD_0 src1_sel:DWORD
	v_addc_co_u32_e32 v9, vcc, 0, v9, vcc
	v_lshrrev_b32_e32 v13, 17, v5
	v_mov_b32_e32 v5, s21
	v_add_co_u32_e32 v10, vcc, s20, v13
	v_addc_co_u32_e32 v5, vcc, 0, v5, vcc
	v_subrev_co_u32_e32 v10, vcc, s14, v10
	v_subbrev_co_u32_e32 v11, vcc, 0, v5, vcc
	v_lshlrev_b64 v[10:11], 2, v[10:11]
	v_mov_b32_e32 v6, 0
	v_mov_b32_e32 v5, s9
	v_add_co_u32_e32 v10, vcc, s8, v10
	v_addc_co_u32_e32 v11, vcc, v5, v11, vcc
	v_mov_b32_e32 v5, v6
	s_branch .LBB401_8
.LBB401_7:                              ;   in Loop: Header=BB401_8 Depth=1
	s_or_b64 exec, exec, s[0:1]
	s_add_u32 s18, s18, 1
	v_mov_b32_e32 v15, s5
	s_addc_u32 s19, s19, 0
	v_mov_b32_e32 v14, s4
	v_cmp_lt_i64_e32 vcc, s[18:19], v[14:15]
	v_add_co_u32_e64 v10, s[0:1], 4, v10
	v_addc_co_u32_e64 v11, s[0:1], 0, v11, s[0:1]
	s_cbranch_vccz .LBB401_10
.LBB401_8:                              ; =>This Inner Loop Header: Depth=1
	v_mov_b32_e32 v15, s19
	v_add_co_u32_e32 v14, vcc, s18, v13
	v_addc_co_u32_e32 v15, vcc, 0, v15, vcc
	v_cmp_gt_i64_e32 vcc, s[4:5], v[14:15]
	s_and_saveexec_b64 s[0:1], vcc
	s_cbranch_execz .LBB401_7
; %bb.9:                                ;   in Loop: Header=BB401_8 Depth=1
	global_load_dword v14, v[10:11], off
	v_mov_b32_e32 v17, s3
	global_load_dword v16, v[8:9], off
	s_waitcnt vmcnt(1)
	v_subrev_u32_e32 v14, s14, v14
	v_mad_u64_u32 v[14:15], s[8:9], v14, 18, v[7:8]
	v_ashrrev_i32_e32 v15, 31, v14
	v_lshlrev_b64 v[14:15], 3, v[14:15]
	v_add_co_u32_e32 v14, vcc, s2, v14
	v_addc_co_u32_e32 v15, vcc, v17, v15, vcc
	global_load_dwordx2 v[14:15], v[14:15], off
	v_add_co_u32_e32 v8, vcc, 0x510, v8
	v_addc_co_u32_e32 v9, vcc, 0, v9, vcc
	s_waitcnt vmcnt(0)
	v_fmac_f32_e32 v5, v16, v14
	v_fmac_f32_e32 v6, 0, v14
	;; [unrolled: 1-line block ×4, first 2 shown]
	s_branch .LBB401_7
.LBB401_10:
	v_lshlrev_b32_e32 v7, 3, v0
	s_and_b64 vcc, exec, s[16:17]
	ds_write_b64 v7, v[5:6]
	s_waitcnt lgkmcnt(0)
	s_barrier
	s_cbranch_vccz .LBB401_22
; %bb.11:
	v_cmp_gt_u16_e32 vcc, 2, v12
	s_and_saveexec_b64 s[0:1], vcc
	s_cbranch_execz .LBB401_13
; %bb.12:
	ds_read2_b64 v[8:11], v7 offset1:16
	s_waitcnt lgkmcnt(0)
	v_add_f32_e32 v8, v10, v8
	v_add_f32_e32 v9, v11, v9
	ds_write_b64 v7, v[8:9]
.LBB401_13:
	s_or_b64 exec, exec, s[0:1]
	v_cmp_gt_u16_e64 s[0:1], 8, v12
	s_waitcnt lgkmcnt(0)
	s_barrier
	s_and_saveexec_b64 s[2:3], s[0:1]
	s_cbranch_execz .LBB401_15
; %bb.14:
	ds_read2_b64 v[8:11], v7 offset1:8
	s_waitcnt lgkmcnt(0)
	v_add_f32_e32 v8, v10, v8
	v_add_f32_e32 v9, v11, v9
	ds_write_b64 v7, v[8:9]
.LBB401_15:
	s_or_b64 exec, exec, s[2:3]
	v_cmp_gt_u16_e64 s[0:1], 4, v12
	s_waitcnt lgkmcnt(0)
	s_barrier
	s_and_saveexec_b64 s[2:3], s[0:1]
	s_cbranch_execz .LBB401_17
; %bb.16:
	ds_read2_b64 v[8:11], v7 offset1:4
	s_waitcnt lgkmcnt(0)
	v_add_f32_e32 v8, v10, v8
	v_add_f32_e32 v9, v11, v9
	ds_write_b64 v7, v[8:9]
.LBB401_17:
	s_or_b64 exec, exec, s[2:3]
	s_waitcnt lgkmcnt(0)
	s_barrier
	s_and_saveexec_b64 s[0:1], vcc
	s_cbranch_execz .LBB401_19
; %bb.18:
	ds_read2_b64 v[8:11], v7 offset1:2
	s_waitcnt lgkmcnt(0)
	v_add_f32_e32 v8, v10, v8
	v_add_f32_e32 v9, v11, v9
	ds_write_b64 v7, v[8:9]
.LBB401_19:
	s_or_b64 exec, exec, s[0:1]
	v_cmp_gt_u32_e32 vcc, 18, v0
	v_mov_b32_e32 v9, v6
	v_mov_b32_e32 v8, v5
	s_waitcnt lgkmcnt(0)
	s_barrier
	s_and_saveexec_b64 s[0:1], vcc
	s_cbranch_execz .LBB401_21
; %bb.20:
	s_movk_i32 s2, 0x88
	v_mad_u32_u24 v8, v0, s2, v7
	ds_read2_b64 v[8:11], v8 offset1:1
	s_waitcnt lgkmcnt(0)
	v_add_f32_e32 v8, v10, v8
	v_add_f32_e32 v9, v11, v9
.LBB401_21:
	s_or_b64 exec, exec, s[0:1]
	s_branch .LBB401_34
.LBB401_22:
                                        ; implicit-def: $vgpr9
                                        ; implicit-def: $vgpr8
	s_cbranch_execz .LBB401_34
; %bb.23:
	v_cmp_gt_u32_e32 vcc, 36, v0
	s_and_saveexec_b64 s[0:1], vcc
	s_cbranch_execz .LBB401_25
; %bb.24:
	ds_read_b64 v[8:9], v7 offset:2304
	ds_read_b64 v[10:11], v7
	s_waitcnt lgkmcnt(0)
	v_add_f32_e32 v8, v8, v10
	v_add_f32_e32 v9, v9, v11
	ds_write_b64 v7, v[8:9]
.LBB401_25:
	s_or_b64 exec, exec, s[0:1]
	s_movk_i32 s0, 0x90
	v_cmp_gt_u32_e64 s[0:1], s0, v0
	s_waitcnt lgkmcnt(0)
	s_barrier
	s_and_saveexec_b64 s[2:3], s[0:1]
	s_cbranch_execz .LBB401_27
; %bb.26:
	ds_read2_b64 v[8:11], v7 offset1:144
	s_waitcnt lgkmcnt(0)
	v_add_f32_e32 v8, v10, v8
	v_add_f32_e32 v9, v11, v9
	ds_write_b64 v7, v[8:9]
.LBB401_27:
	s_or_b64 exec, exec, s[2:3]
	s_movk_i32 s0, 0x48
	v_cmp_gt_u32_e64 s[0:1], s0, v0
	s_waitcnt lgkmcnt(0)
	s_barrier
	s_and_saveexec_b64 s[2:3], s[0:1]
	s_cbranch_execz .LBB401_29
; %bb.28:
	ds_read2_b64 v[8:11], v7 offset1:72
	s_waitcnt lgkmcnt(0)
	v_add_f32_e32 v8, v10, v8
	v_add_f32_e32 v9, v11, v9
	ds_write_b64 v7, v[8:9]
.LBB401_29:
	s_or_b64 exec, exec, s[2:3]
	s_waitcnt lgkmcnt(0)
	s_barrier
	s_and_saveexec_b64 s[0:1], vcc
	s_cbranch_execz .LBB401_31
; %bb.30:
	ds_read2_b64 v[8:11], v7 offset1:36
	s_waitcnt lgkmcnt(0)
	v_add_f32_e32 v8, v10, v8
	v_add_f32_e32 v9, v11, v9
	ds_write_b64 v7, v[8:9]
.LBB401_31:
	s_or_b64 exec, exec, s[0:1]
	v_cmp_gt_u32_e32 vcc, 18, v0
	s_waitcnt lgkmcnt(0)
	s_and_saveexec_b64 s[0:1], vcc
	s_cbranch_execz .LBB401_33
; %bb.32:
	ds_read2_b64 v[5:8], v7 offset1:18
	s_waitcnt lgkmcnt(0)
	v_add_f32_e32 v5, v7, v5
	v_add_f32_e32 v6, v8, v6
.LBB401_33:
	s_or_b64 exec, exec, s[0:1]
	v_mov_b32_e32 v9, v6
	v_mov_b32_e32 v8, v5
.LBB401_34:
	v_cmp_gt_u32_e32 vcc, 18, v0
	s_and_b64 exec, exec, vcc
	s_cbranch_execz .LBB401_39
; %bb.35:
	v_cmp_eq_f32_e32 vcc, 0, v1
	v_cmp_eq_f32_e64 s[0:1], 0, v2
	v_mul_f32_e64 v5, v9, -v4
	v_mul_f32_e32 v6, v3, v9
	s_and_b64 s[0:1], vcc, s[0:1]
	v_fmac_f32_e32 v5, v3, v8
	v_fmac_f32_e32 v6, v4, v8
	s_and_saveexec_b64 s[2:3], s[0:1]
	s_xor_b64 s[0:1], exec, s[2:3]
	s_cbranch_execz .LBB401_37
; %bb.36:
	v_mad_u64_u32 v[0:1], s[2:3], s6, 18, v[0:1]
	v_mov_b32_e32 v1, 0
	v_mov_b32_e32 v2, s13
	v_lshlrev_b64 v[0:1], 3, v[0:1]
	v_add_co_u32_e32 v0, vcc, s12, v0
	v_addc_co_u32_e32 v1, vcc, v2, v1, vcc
	global_store_dwordx2 v[0:1], v[5:6], off
                                        ; implicit-def: $vgpr0
                                        ; implicit-def: $vgpr1_vgpr2
                                        ; implicit-def: $vgpr5
.LBB401_37:
	s_andn2_saveexec_b64 s[0:1], s[0:1]
	s_cbranch_execz .LBB401_39
; %bb.38:
	v_mad_u64_u32 v[3:4], s[0:1], s6, 18, v[0:1]
	v_mov_b32_e32 v4, 0
	v_mov_b32_e32 v0, s13
	v_lshlrev_b64 v[3:4], 3, v[3:4]
	v_add_co_u32_e32 v3, vcc, s12, v3
	v_addc_co_u32_e32 v4, vcc, v0, v4, vcc
	global_load_dwordx2 v[7:8], v[3:4], off
	s_waitcnt vmcnt(0)
	v_fmac_f32_e32 v5, v1, v7
	v_fmac_f32_e32 v6, v2, v7
	v_fma_f32 v5, -v2, v8, v5
	v_fmac_f32_e32 v6, v1, v8
	global_store_dwordx2 v[3:4], v[5:6], off
.LBB401_39:
	s_endpgm
	.section	.rodata,"a",@progbits
	.p2align	6, 0x0
	.amdhsa_kernel _ZN9rocsparseL20bsrxmvn_17_32_kernelILj18E21rocsparse_complex_numIfElifS2_S2_EEvT2_20rocsparse_direction_NS_24const_host_device_scalarIT0_EES3_PKS3_PKT1_SC_S9_PKT3_PKT4_S7_PT5_21rocsparse_index_base_b
		.amdhsa_group_segment_fixed_size 2592
		.amdhsa_private_segment_fixed_size 0
		.amdhsa_kernarg_size 96
		.amdhsa_user_sgpr_count 6
		.amdhsa_user_sgpr_private_segment_buffer 1
		.amdhsa_user_sgpr_dispatch_ptr 0
		.amdhsa_user_sgpr_queue_ptr 0
		.amdhsa_user_sgpr_kernarg_segment_ptr 1
		.amdhsa_user_sgpr_dispatch_id 0
		.amdhsa_user_sgpr_flat_scratch_init 0
		.amdhsa_user_sgpr_private_segment_size 0
		.amdhsa_uses_dynamic_stack 0
		.amdhsa_system_sgpr_private_segment_wavefront_offset 0
		.amdhsa_system_sgpr_workgroup_id_x 1
		.amdhsa_system_sgpr_workgroup_id_y 0
		.amdhsa_system_sgpr_workgroup_id_z 0
		.amdhsa_system_sgpr_workgroup_info 0
		.amdhsa_system_vgpr_workitem_id 0
		.amdhsa_next_free_vgpr 25
		.amdhsa_next_free_sgpr 61
		.amdhsa_reserve_vcc 1
		.amdhsa_reserve_flat_scratch 0
		.amdhsa_float_round_mode_32 0
		.amdhsa_float_round_mode_16_64 0
		.amdhsa_float_denorm_mode_32 3
		.amdhsa_float_denorm_mode_16_64 3
		.amdhsa_dx10_clamp 1
		.amdhsa_ieee_mode 1
		.amdhsa_fp16_overflow 0
		.amdhsa_exception_fp_ieee_invalid_op 0
		.amdhsa_exception_fp_denorm_src 0
		.amdhsa_exception_fp_ieee_div_zero 0
		.amdhsa_exception_fp_ieee_overflow 0
		.amdhsa_exception_fp_ieee_underflow 0
		.amdhsa_exception_fp_ieee_inexact 0
		.amdhsa_exception_int_div_zero 0
	.end_amdhsa_kernel
	.section	.text._ZN9rocsparseL20bsrxmvn_17_32_kernelILj18E21rocsparse_complex_numIfElifS2_S2_EEvT2_20rocsparse_direction_NS_24const_host_device_scalarIT0_EES3_PKS3_PKT1_SC_S9_PKT3_PKT4_S7_PT5_21rocsparse_index_base_b,"axG",@progbits,_ZN9rocsparseL20bsrxmvn_17_32_kernelILj18E21rocsparse_complex_numIfElifS2_S2_EEvT2_20rocsparse_direction_NS_24const_host_device_scalarIT0_EES3_PKS3_PKT1_SC_S9_PKT3_PKT4_S7_PT5_21rocsparse_index_base_b,comdat
.Lfunc_end401:
	.size	_ZN9rocsparseL20bsrxmvn_17_32_kernelILj18E21rocsparse_complex_numIfElifS2_S2_EEvT2_20rocsparse_direction_NS_24const_host_device_scalarIT0_EES3_PKS3_PKT1_SC_S9_PKT3_PKT4_S7_PT5_21rocsparse_index_base_b, .Lfunc_end401-_ZN9rocsparseL20bsrxmvn_17_32_kernelILj18E21rocsparse_complex_numIfElifS2_S2_EEvT2_20rocsparse_direction_NS_24const_host_device_scalarIT0_EES3_PKS3_PKT1_SC_S9_PKT3_PKT4_S7_PT5_21rocsparse_index_base_b
                                        ; -- End function
	.set _ZN9rocsparseL20bsrxmvn_17_32_kernelILj18E21rocsparse_complex_numIfElifS2_S2_EEvT2_20rocsparse_direction_NS_24const_host_device_scalarIT0_EES3_PKS3_PKT1_SC_S9_PKT3_PKT4_S7_PT5_21rocsparse_index_base_b.num_vgpr, 18
	.set _ZN9rocsparseL20bsrxmvn_17_32_kernelILj18E21rocsparse_complex_numIfElifS2_S2_EEvT2_20rocsparse_direction_NS_24const_host_device_scalarIT0_EES3_PKS3_PKT1_SC_S9_PKT3_PKT4_S7_PT5_21rocsparse_index_base_b.num_agpr, 0
	.set _ZN9rocsparseL20bsrxmvn_17_32_kernelILj18E21rocsparse_complex_numIfElifS2_S2_EEvT2_20rocsparse_direction_NS_24const_host_device_scalarIT0_EES3_PKS3_PKT1_SC_S9_PKT3_PKT4_S7_PT5_21rocsparse_index_base_b.numbered_sgpr, 22
	.set _ZN9rocsparseL20bsrxmvn_17_32_kernelILj18E21rocsparse_complex_numIfElifS2_S2_EEvT2_20rocsparse_direction_NS_24const_host_device_scalarIT0_EES3_PKS3_PKT1_SC_S9_PKT3_PKT4_S7_PT5_21rocsparse_index_base_b.num_named_barrier, 0
	.set _ZN9rocsparseL20bsrxmvn_17_32_kernelILj18E21rocsparse_complex_numIfElifS2_S2_EEvT2_20rocsparse_direction_NS_24const_host_device_scalarIT0_EES3_PKS3_PKT1_SC_S9_PKT3_PKT4_S7_PT5_21rocsparse_index_base_b.private_seg_size, 0
	.set _ZN9rocsparseL20bsrxmvn_17_32_kernelILj18E21rocsparse_complex_numIfElifS2_S2_EEvT2_20rocsparse_direction_NS_24const_host_device_scalarIT0_EES3_PKS3_PKT1_SC_S9_PKT3_PKT4_S7_PT5_21rocsparse_index_base_b.uses_vcc, 1
	.set _ZN9rocsparseL20bsrxmvn_17_32_kernelILj18E21rocsparse_complex_numIfElifS2_S2_EEvT2_20rocsparse_direction_NS_24const_host_device_scalarIT0_EES3_PKS3_PKT1_SC_S9_PKT3_PKT4_S7_PT5_21rocsparse_index_base_b.uses_flat_scratch, 0
	.set _ZN9rocsparseL20bsrxmvn_17_32_kernelILj18E21rocsparse_complex_numIfElifS2_S2_EEvT2_20rocsparse_direction_NS_24const_host_device_scalarIT0_EES3_PKS3_PKT1_SC_S9_PKT3_PKT4_S7_PT5_21rocsparse_index_base_b.has_dyn_sized_stack, 0
	.set _ZN9rocsparseL20bsrxmvn_17_32_kernelILj18E21rocsparse_complex_numIfElifS2_S2_EEvT2_20rocsparse_direction_NS_24const_host_device_scalarIT0_EES3_PKS3_PKT1_SC_S9_PKT3_PKT4_S7_PT5_21rocsparse_index_base_b.has_recursion, 0
	.set _ZN9rocsparseL20bsrxmvn_17_32_kernelILj18E21rocsparse_complex_numIfElifS2_S2_EEvT2_20rocsparse_direction_NS_24const_host_device_scalarIT0_EES3_PKS3_PKT1_SC_S9_PKT3_PKT4_S7_PT5_21rocsparse_index_base_b.has_indirect_call, 0
	.section	.AMDGPU.csdata,"",@progbits
; Kernel info:
; codeLenInByte = 1496
; TotalNumSgprs: 26
; NumVgprs: 18
; ScratchSize: 0
; MemoryBound: 0
; FloatMode: 240
; IeeeMode: 1
; LDSByteSize: 2592 bytes/workgroup (compile time only)
; SGPRBlocks: 8
; VGPRBlocks: 6
; NumSGPRsForWavesPerEU: 65
; NumVGPRsForWavesPerEU: 25
; Occupancy: 9
; WaveLimiterHint : 1
; COMPUTE_PGM_RSRC2:SCRATCH_EN: 0
; COMPUTE_PGM_RSRC2:USER_SGPR: 6
; COMPUTE_PGM_RSRC2:TRAP_HANDLER: 0
; COMPUTE_PGM_RSRC2:TGID_X_EN: 1
; COMPUTE_PGM_RSRC2:TGID_Y_EN: 0
; COMPUTE_PGM_RSRC2:TGID_Z_EN: 0
; COMPUTE_PGM_RSRC2:TIDIG_COMP_CNT: 0
	.section	.text._ZN9rocsparseL20bsrxmvn_17_32_kernelILj19E21rocsparse_complex_numIfElifS2_S2_EEvT2_20rocsparse_direction_NS_24const_host_device_scalarIT0_EES3_PKS3_PKT1_SC_S9_PKT3_PKT4_S7_PT5_21rocsparse_index_base_b,"axG",@progbits,_ZN9rocsparseL20bsrxmvn_17_32_kernelILj19E21rocsparse_complex_numIfElifS2_S2_EEvT2_20rocsparse_direction_NS_24const_host_device_scalarIT0_EES3_PKS3_PKT1_SC_S9_PKT3_PKT4_S7_PT5_21rocsparse_index_base_b,comdat
	.globl	_ZN9rocsparseL20bsrxmvn_17_32_kernelILj19E21rocsparse_complex_numIfElifS2_S2_EEvT2_20rocsparse_direction_NS_24const_host_device_scalarIT0_EES3_PKS3_PKT1_SC_S9_PKT3_PKT4_S7_PT5_21rocsparse_index_base_b ; -- Begin function _ZN9rocsparseL20bsrxmvn_17_32_kernelILj19E21rocsparse_complex_numIfElifS2_S2_EEvT2_20rocsparse_direction_NS_24const_host_device_scalarIT0_EES3_PKS3_PKT1_SC_S9_PKT3_PKT4_S7_PT5_21rocsparse_index_base_b
	.p2align	8
	.type	_ZN9rocsparseL20bsrxmvn_17_32_kernelILj19E21rocsparse_complex_numIfElifS2_S2_EEvT2_20rocsparse_direction_NS_24const_host_device_scalarIT0_EES3_PKS3_PKT1_SC_S9_PKT3_PKT4_S7_PT5_21rocsparse_index_base_b,@function
_ZN9rocsparseL20bsrxmvn_17_32_kernelILj19E21rocsparse_complex_numIfElifS2_S2_EEvT2_20rocsparse_direction_NS_24const_host_device_scalarIT0_EES3_PKS3_PKT1_SC_S9_PKT3_PKT4_S7_PT5_21rocsparse_index_base_b: ; @_ZN9rocsparseL20bsrxmvn_17_32_kernelILj19E21rocsparse_complex_numIfElifS2_S2_EEvT2_20rocsparse_direction_NS_24const_host_device_scalarIT0_EES3_PKS3_PKT1_SC_S9_PKT3_PKT4_S7_PT5_21rocsparse_index_base_b
; %bb.0:
	s_load_dwordx2 s[0:1], s[4:5], 0x8
	s_load_dwordx2 s[14:15], s[4:5], 0x58
	s_add_u32 s7, s4, 8
	s_addc_u32 s8, s5, 0
	s_add_u32 s9, s4, 0x48
	s_load_dwordx2 s[2:3], s[4:5], 0x48
	s_addc_u32 s10, s5, 0
	s_waitcnt lgkmcnt(0)
	s_bitcmp1_b32 s15, 0
	s_cselect_b32 s1, s8, s1
	s_cselect_b32 s0, s7, s0
	v_mov_b32_e32 v1, s0
	v_mov_b32_e32 v2, s1
	flat_load_dwordx2 v[3:4], v[1:2]
	s_cselect_b32 s0, s10, s3
	s_cselect_b32 s1, s9, s2
	v_mov_b32_e32 v1, s1
	v_mov_b32_e32 v2, s0
	flat_load_dwordx2 v[1:2], v[1:2]
	s_waitcnt vmcnt(0) lgkmcnt(0)
	v_cmp_eq_f32_e32 vcc, 0, v3
	v_cmp_eq_f32_e64 s[0:1], 0, v4
	s_and_b64 s[8:9], vcc, s[0:1]
	s_mov_b64 s[0:1], -1
	s_and_saveexec_b64 s[2:3], s[8:9]
; %bb.1:
	v_cmp_neq_f32_e32 vcc, 1.0, v1
	v_cmp_neq_f32_e64 s[0:1], 0, v2
	s_or_b64 s[0:1], vcc, s[0:1]
	s_orn2_b64 s[0:1], s[0:1], exec
; %bb.2:
	s_or_b64 exec, exec, s[2:3]
	s_and_saveexec_b64 s[2:3], s[0:1]
	s_cbranch_execz .LBB402_39
; %bb.3:
	s_load_dwordx4 s[0:3], s[4:5], 0x18
	s_load_dwordx2 s[8:9], s[4:5], 0x28
	s_waitcnt lgkmcnt(0)
	s_cmp_eq_u64 s[0:1], 0
	s_cbranch_scc1 .LBB402_5
; %bb.4:
	s_ashr_i32 s7, s6, 31
	s_lshl_b64 s[6:7], s[6:7], 2
	s_add_u32 s0, s0, s6
	s_addc_u32 s1, s1, s7
	s_load_dword s0, s[0:1], 0x0
	s_waitcnt lgkmcnt(0)
	s_sub_i32 s6, s0, s14
.LBB402_5:
	s_load_dword s7, s[4:5], 0x4
	s_load_dwordx2 s[12:13], s[4:5], 0x50
	v_mul_u32_u24_e32 v7, 0xd7a, v0
	v_mov_b32_e32 v8, 19
	v_mul_lo_u16_sdwa v5, v7, v8 dst_sel:DWORD dst_unused:UNUSED_PAD src0_sel:WORD_1 src1_sel:DWORD
	s_waitcnt lgkmcnt(0)
	s_cmp_eq_u32 s7, 1
	s_cselect_b64 s[0:1], -1, 0
	s_cmp_lg_u32 s7, 1
	s_cselect_b64 s[16:17], -1, 0
	s_ashr_i32 s7, s6, 31
	s_lshl_b64 s[10:11], s[6:7], 3
	s_add_u32 s2, s2, s10
	s_addc_u32 s3, s3, s11
	s_add_u32 s7, s2, 8
	s_addc_u32 s15, s3, 0
	;; [unrolled: 2-line block ×3, first 2 shown]
	s_cmp_eq_u64 s[8:9], 0
	s_cselect_b32 s9, s15, s11
	s_cselect_b32 s8, s7, s10
	s_load_dwordx2 s[18:19], s[8:9], 0x0
	s_load_dwordx2 s[20:21], s[2:3], 0x0
	v_sub_u16_e32 v14, v0, v5
	s_waitcnt lgkmcnt(0)
	v_mov_b32_e32 v5, s18
	v_mov_b32_e32 v6, s19
	v_cmp_ge_i64_e32 vcc, s[20:21], v[5:6]
	v_mov_b32_e32 v6, 0
	v_mov_b32_e32 v5, 0
	s_cbranch_vccnz .LBB402_10
; %bb.6:
	v_mov_b32_e32 v5, 14
	s_load_dwordx4 s[8:11], s[4:5], 0x30
	s_load_dwordx2 s[2:3], s[4:5], 0x40
	s_sub_u32 s4, s18, s14
	v_mul_lo_u16_sdwa v5, v7, v5 dst_sel:DWORD dst_unused:UNUSED_PAD src0_sel:WORD_1 src1_sel:DWORD
	s_subb_u32 s5, s19, 0
	v_mul_lo_u16_sdwa v5, v5, v8 dst_sel:DWORD dst_unused:UNUSED_PAD src0_sel:BYTE_1 src1_sel:DWORD
	v_sub_u16_sdwa v5, v7, v5 dst_sel:DWORD dst_unused:UNUSED_PAD src0_sel:WORD_1 src1_sel:DWORD
	s_sub_u32 s18, s20, s14
	v_and_b32_e32 v5, 0xff, v5
	s_subb_u32 s19, s21, 0
	v_cndmask_b32_e64 v7, v14, v5, s[0:1]
	s_mul_i32 s0, s19, 0x5a4
	s_mul_hi_u32 s1, s18, 0x5a4
	s_add_i32 s1, s1, s0
	s_mul_i32 s0, s18, 0x5a4
	s_waitcnt lgkmcnt(0)
	s_add_u32 s0, s10, s0
	v_lshlrev_b32_e32 v5, 2, v0
	s_addc_u32 s1, s11, s1
	v_add_co_u32_e32 v8, vcc, s0, v5
	s_movk_i32 s0, 0xb6
	v_mov_b32_e32 v9, s1
	v_mul_u32_u24_sdwa v5, v0, s0 dst_sel:DWORD dst_unused:UNUSED_PAD src0_sel:WORD_0 src1_sel:DWORD
	v_addc_co_u32_e32 v9, vcc, 0, v9, vcc
	v_lshrrev_b32_e32 v15, 16, v5
	v_mov_b32_e32 v5, s21
	v_add_co_u32_e32 v10, vcc, s20, v15
	v_addc_co_u32_e32 v5, vcc, 0, v5, vcc
	v_subrev_co_u32_e32 v10, vcc, s14, v10
	v_subbrev_co_u32_e32 v11, vcc, 0, v5, vcc
	v_lshlrev_b64 v[10:11], 2, v[10:11]
	v_mov_b32_e32 v6, 0
	v_mov_b32_e32 v5, s9
	v_add_co_u32_e32 v10, vcc, s8, v10
	v_mov_b32_e32 v13, s5
	v_addc_co_u32_e32 v11, vcc, v5, v11, vcc
	v_mov_b32_e32 v12, s4
	v_mov_b32_e32 v5, v6
	s_branch .LBB402_8
.LBB402_7:                              ;   in Loop: Header=BB402_8 Depth=1
	s_or_b64 exec, exec, s[0:1]
	s_add_u32 s18, s18, 1
	s_addc_u32 s19, s19, 0
	v_cmp_lt_i64_e32 vcc, s[18:19], v[12:13]
	v_add_co_u32_e64 v10, s[0:1], 4, v10
	v_addc_co_u32_e64 v11, s[0:1], 0, v11, s[0:1]
	s_cbranch_vccz .LBB402_10
.LBB402_8:                              ; =>This Inner Loop Header: Depth=1
	v_mov_b32_e32 v17, s19
	v_add_co_u32_e32 v16, vcc, s18, v15
	v_addc_co_u32_e32 v17, vcc, 0, v17, vcc
	v_cmp_gt_i64_e32 vcc, s[4:5], v[16:17]
	s_and_saveexec_b64 s[0:1], vcc
	s_cbranch_execz .LBB402_7
; %bb.9:                                ;   in Loop: Header=BB402_8 Depth=1
	global_load_dword v16, v[10:11], off
	v_mov_b32_e32 v19, s3
	global_load_dword v18, v[8:9], off
	s_waitcnt vmcnt(1)
	v_subrev_u32_e32 v16, s14, v16
	v_mad_u64_u32 v[16:17], s[8:9], v16, 19, v[7:8]
	v_ashrrev_i32_e32 v17, 31, v16
	v_lshlrev_b64 v[16:17], 3, v[16:17]
	v_add_co_u32_e32 v16, vcc, s2, v16
	v_addc_co_u32_e32 v17, vcc, v19, v17, vcc
	global_load_dwordx2 v[16:17], v[16:17], off
	v_add_co_u32_e32 v8, vcc, 0x5a4, v8
	v_addc_co_u32_e32 v9, vcc, 0, v9, vcc
	s_waitcnt vmcnt(0)
	v_fmac_f32_e32 v5, v18, v16
	v_fmac_f32_e32 v6, 0, v16
	;; [unrolled: 1-line block ×4, first 2 shown]
	s_branch .LBB402_7
.LBB402_10:
	v_lshlrev_b32_e32 v7, 3, v0
	s_and_b64 vcc, exec, s[16:17]
	ds_write_b64 v7, v[5:6]
	s_waitcnt lgkmcnt(0)
	s_barrier
	s_cbranch_vccz .LBB402_22
; %bb.11:
	v_cmp_gt_u16_e32 vcc, 3, v14
	s_and_saveexec_b64 s[0:1], vcc
	s_cbranch_execz .LBB402_13
; %bb.12:
	ds_read2_b64 v[8:11], v7 offset1:16
	s_waitcnt lgkmcnt(0)
	v_add_f32_e32 v8, v10, v8
	v_add_f32_e32 v9, v11, v9
	ds_write_b64 v7, v[8:9]
.LBB402_13:
	s_or_b64 exec, exec, s[0:1]
	v_cmp_gt_u16_e32 vcc, 8, v14
	s_waitcnt lgkmcnt(0)
	s_barrier
	s_and_saveexec_b64 s[0:1], vcc
	s_cbranch_execz .LBB402_15
; %bb.14:
	ds_read2_b64 v[8:11], v7 offset1:8
	s_waitcnt lgkmcnt(0)
	v_add_f32_e32 v8, v10, v8
	v_add_f32_e32 v9, v11, v9
	ds_write_b64 v7, v[8:9]
.LBB402_15:
	s_or_b64 exec, exec, s[0:1]
	v_cmp_gt_u16_e32 vcc, 4, v14
	s_waitcnt lgkmcnt(0)
	s_barrier
	;; [unrolled: 13-line block ×3, first 2 shown]
	s_and_saveexec_b64 s[0:1], vcc
	s_cbranch_execz .LBB402_19
; %bb.18:
	ds_read2_b64 v[8:11], v7 offset1:2
	s_waitcnt lgkmcnt(0)
	v_add_f32_e32 v8, v10, v8
	v_add_f32_e32 v9, v11, v9
	ds_write_b64 v7, v[8:9]
.LBB402_19:
	s_or_b64 exec, exec, s[0:1]
	v_cmp_gt_u32_e32 vcc, 19, v0
	v_mov_b32_e32 v9, v6
	v_mov_b32_e32 v8, v5
	s_waitcnt lgkmcnt(0)
	s_barrier
	s_and_saveexec_b64 s[0:1], vcc
	s_cbranch_execz .LBB402_21
; %bb.20:
	s_movk_i32 s2, 0x90
	v_mad_u32_u24 v8, v0, s2, v7
	ds_read2_b64 v[8:11], v8 offset1:1
	s_waitcnt lgkmcnt(0)
	v_add_f32_e32 v8, v10, v8
	v_add_f32_e32 v9, v11, v9
.LBB402_21:
	s_or_b64 exec, exec, s[0:1]
	s_branch .LBB402_34
.LBB402_22:
                                        ; implicit-def: $vgpr9
                                        ; implicit-def: $vgpr8
	s_cbranch_execz .LBB402_34
; %bb.23:
	v_cmp_gt_u32_e32 vcc, 57, v0
	s_and_saveexec_b64 s[0:1], vcc
	s_cbranch_execz .LBB402_25
; %bb.24:
	ds_read_b64 v[8:9], v7 offset:2432
	ds_read_b64 v[10:11], v7
	s_waitcnt lgkmcnt(0)
	v_add_f32_e32 v8, v8, v10
	v_add_f32_e32 v9, v9, v11
	ds_write_b64 v7, v[8:9]
.LBB402_25:
	s_or_b64 exec, exec, s[0:1]
	s_movk_i32 s0, 0x98
	v_cmp_gt_u32_e32 vcc, s0, v0
	s_waitcnt lgkmcnt(0)
	s_barrier
	s_and_saveexec_b64 s[0:1], vcc
	s_cbranch_execz .LBB402_27
; %bb.26:
	ds_read2_b64 v[8:11], v7 offset1:152
	s_waitcnt lgkmcnt(0)
	v_add_f32_e32 v8, v10, v8
	v_add_f32_e32 v9, v11, v9
	ds_write_b64 v7, v[8:9]
.LBB402_27:
	s_or_b64 exec, exec, s[0:1]
	s_movk_i32 s0, 0x4c
	v_cmp_gt_u32_e32 vcc, s0, v0
	s_waitcnt lgkmcnt(0)
	s_barrier
	s_and_saveexec_b64 s[0:1], vcc
	s_cbranch_execz .LBB402_29
; %bb.28:
	ds_read2_b64 v[8:11], v7 offset1:76
	s_waitcnt lgkmcnt(0)
	v_add_f32_e32 v8, v10, v8
	v_add_f32_e32 v9, v11, v9
	ds_write_b64 v7, v[8:9]
.LBB402_29:
	s_or_b64 exec, exec, s[0:1]
	v_cmp_gt_u32_e32 vcc, 38, v0
	s_waitcnt lgkmcnt(0)
	s_barrier
	s_and_saveexec_b64 s[0:1], vcc
	s_cbranch_execz .LBB402_31
; %bb.30:
	ds_read2_b64 v[8:11], v7 offset1:38
	s_waitcnt lgkmcnt(0)
	v_add_f32_e32 v8, v10, v8
	v_add_f32_e32 v9, v11, v9
	ds_write_b64 v7, v[8:9]
.LBB402_31:
	s_or_b64 exec, exec, s[0:1]
	v_cmp_gt_u32_e32 vcc, 19, v0
	s_waitcnt lgkmcnt(0)
	s_and_saveexec_b64 s[0:1], vcc
	s_cbranch_execz .LBB402_33
; %bb.32:
	ds_read2_b64 v[5:8], v7 offset1:19
	s_waitcnt lgkmcnt(0)
	v_add_f32_e32 v5, v7, v5
	v_add_f32_e32 v6, v8, v6
.LBB402_33:
	s_or_b64 exec, exec, s[0:1]
	v_mov_b32_e32 v9, v6
	v_mov_b32_e32 v8, v5
.LBB402_34:
	v_cmp_gt_u32_e32 vcc, 19, v0
	s_and_b64 exec, exec, vcc
	s_cbranch_execz .LBB402_39
; %bb.35:
	v_cmp_eq_f32_e32 vcc, 0, v1
	v_cmp_eq_f32_e64 s[0:1], 0, v2
	v_mul_f32_e64 v5, v9, -v4
	v_mul_f32_e32 v6, v3, v9
	s_and_b64 s[0:1], vcc, s[0:1]
	v_fmac_f32_e32 v5, v3, v8
	v_fmac_f32_e32 v6, v4, v8
	s_and_saveexec_b64 s[2:3], s[0:1]
	s_xor_b64 s[0:1], exec, s[2:3]
	s_cbranch_execz .LBB402_37
; %bb.36:
	v_mad_u64_u32 v[0:1], s[2:3], s6, 19, v[0:1]
	v_mov_b32_e32 v1, 0
	v_mov_b32_e32 v2, s13
	v_lshlrev_b64 v[0:1], 3, v[0:1]
	v_add_co_u32_e32 v0, vcc, s12, v0
	v_addc_co_u32_e32 v1, vcc, v2, v1, vcc
	global_store_dwordx2 v[0:1], v[5:6], off
                                        ; implicit-def: $vgpr0
                                        ; implicit-def: $vgpr1_vgpr2
                                        ; implicit-def: $vgpr5
.LBB402_37:
	s_andn2_saveexec_b64 s[0:1], s[0:1]
	s_cbranch_execz .LBB402_39
; %bb.38:
	v_mad_u64_u32 v[3:4], s[0:1], s6, 19, v[0:1]
	v_mov_b32_e32 v4, 0
	v_mov_b32_e32 v0, s13
	v_lshlrev_b64 v[3:4], 3, v[3:4]
	v_add_co_u32_e32 v3, vcc, s12, v3
	v_addc_co_u32_e32 v4, vcc, v0, v4, vcc
	global_load_dwordx2 v[7:8], v[3:4], off
	s_waitcnt vmcnt(0)
	v_fmac_f32_e32 v5, v1, v7
	v_fmac_f32_e32 v6, v2, v7
	v_fma_f32 v5, -v2, v8, v5
	v_fmac_f32_e32 v6, v1, v8
	global_store_dwordx2 v[3:4], v[5:6], off
.LBB402_39:
	s_endpgm
	.section	.rodata,"a",@progbits
	.p2align	6, 0x0
	.amdhsa_kernel _ZN9rocsparseL20bsrxmvn_17_32_kernelILj19E21rocsparse_complex_numIfElifS2_S2_EEvT2_20rocsparse_direction_NS_24const_host_device_scalarIT0_EES3_PKS3_PKT1_SC_S9_PKT3_PKT4_S7_PT5_21rocsparse_index_base_b
		.amdhsa_group_segment_fixed_size 2888
		.amdhsa_private_segment_fixed_size 0
		.amdhsa_kernarg_size 96
		.amdhsa_user_sgpr_count 6
		.amdhsa_user_sgpr_private_segment_buffer 1
		.amdhsa_user_sgpr_dispatch_ptr 0
		.amdhsa_user_sgpr_queue_ptr 0
		.amdhsa_user_sgpr_kernarg_segment_ptr 1
		.amdhsa_user_sgpr_dispatch_id 0
		.amdhsa_user_sgpr_flat_scratch_init 0
		.amdhsa_user_sgpr_private_segment_size 0
		.amdhsa_uses_dynamic_stack 0
		.amdhsa_system_sgpr_private_segment_wavefront_offset 0
		.amdhsa_system_sgpr_workgroup_id_x 1
		.amdhsa_system_sgpr_workgroup_id_y 0
		.amdhsa_system_sgpr_workgroup_id_z 0
		.amdhsa_system_sgpr_workgroup_info 0
		.amdhsa_system_vgpr_workitem_id 0
		.amdhsa_next_free_vgpr 25
		.amdhsa_next_free_sgpr 61
		.amdhsa_reserve_vcc 1
		.amdhsa_reserve_flat_scratch 0
		.amdhsa_float_round_mode_32 0
		.amdhsa_float_round_mode_16_64 0
		.amdhsa_float_denorm_mode_32 3
		.amdhsa_float_denorm_mode_16_64 3
		.amdhsa_dx10_clamp 1
		.amdhsa_ieee_mode 1
		.amdhsa_fp16_overflow 0
		.amdhsa_exception_fp_ieee_invalid_op 0
		.amdhsa_exception_fp_denorm_src 0
		.amdhsa_exception_fp_ieee_div_zero 0
		.amdhsa_exception_fp_ieee_overflow 0
		.amdhsa_exception_fp_ieee_underflow 0
		.amdhsa_exception_fp_ieee_inexact 0
		.amdhsa_exception_int_div_zero 0
	.end_amdhsa_kernel
	.section	.text._ZN9rocsparseL20bsrxmvn_17_32_kernelILj19E21rocsparse_complex_numIfElifS2_S2_EEvT2_20rocsparse_direction_NS_24const_host_device_scalarIT0_EES3_PKS3_PKT1_SC_S9_PKT3_PKT4_S7_PT5_21rocsparse_index_base_b,"axG",@progbits,_ZN9rocsparseL20bsrxmvn_17_32_kernelILj19E21rocsparse_complex_numIfElifS2_S2_EEvT2_20rocsparse_direction_NS_24const_host_device_scalarIT0_EES3_PKS3_PKT1_SC_S9_PKT3_PKT4_S7_PT5_21rocsparse_index_base_b,comdat
.Lfunc_end402:
	.size	_ZN9rocsparseL20bsrxmvn_17_32_kernelILj19E21rocsparse_complex_numIfElifS2_S2_EEvT2_20rocsparse_direction_NS_24const_host_device_scalarIT0_EES3_PKS3_PKT1_SC_S9_PKT3_PKT4_S7_PT5_21rocsparse_index_base_b, .Lfunc_end402-_ZN9rocsparseL20bsrxmvn_17_32_kernelILj19E21rocsparse_complex_numIfElifS2_S2_EEvT2_20rocsparse_direction_NS_24const_host_device_scalarIT0_EES3_PKS3_PKT1_SC_S9_PKT3_PKT4_S7_PT5_21rocsparse_index_base_b
                                        ; -- End function
	.set _ZN9rocsparseL20bsrxmvn_17_32_kernelILj19E21rocsparse_complex_numIfElifS2_S2_EEvT2_20rocsparse_direction_NS_24const_host_device_scalarIT0_EES3_PKS3_PKT1_SC_S9_PKT3_PKT4_S7_PT5_21rocsparse_index_base_b.num_vgpr, 20
	.set _ZN9rocsparseL20bsrxmvn_17_32_kernelILj19E21rocsparse_complex_numIfElifS2_S2_EEvT2_20rocsparse_direction_NS_24const_host_device_scalarIT0_EES3_PKS3_PKT1_SC_S9_PKT3_PKT4_S7_PT5_21rocsparse_index_base_b.num_agpr, 0
	.set _ZN9rocsparseL20bsrxmvn_17_32_kernelILj19E21rocsparse_complex_numIfElifS2_S2_EEvT2_20rocsparse_direction_NS_24const_host_device_scalarIT0_EES3_PKS3_PKT1_SC_S9_PKT3_PKT4_S7_PT5_21rocsparse_index_base_b.numbered_sgpr, 22
	.set _ZN9rocsparseL20bsrxmvn_17_32_kernelILj19E21rocsparse_complex_numIfElifS2_S2_EEvT2_20rocsparse_direction_NS_24const_host_device_scalarIT0_EES3_PKS3_PKT1_SC_S9_PKT3_PKT4_S7_PT5_21rocsparse_index_base_b.num_named_barrier, 0
	.set _ZN9rocsparseL20bsrxmvn_17_32_kernelILj19E21rocsparse_complex_numIfElifS2_S2_EEvT2_20rocsparse_direction_NS_24const_host_device_scalarIT0_EES3_PKS3_PKT1_SC_S9_PKT3_PKT4_S7_PT5_21rocsparse_index_base_b.private_seg_size, 0
	.set _ZN9rocsparseL20bsrxmvn_17_32_kernelILj19E21rocsparse_complex_numIfElifS2_S2_EEvT2_20rocsparse_direction_NS_24const_host_device_scalarIT0_EES3_PKS3_PKT1_SC_S9_PKT3_PKT4_S7_PT5_21rocsparse_index_base_b.uses_vcc, 1
	.set _ZN9rocsparseL20bsrxmvn_17_32_kernelILj19E21rocsparse_complex_numIfElifS2_S2_EEvT2_20rocsparse_direction_NS_24const_host_device_scalarIT0_EES3_PKS3_PKT1_SC_S9_PKT3_PKT4_S7_PT5_21rocsparse_index_base_b.uses_flat_scratch, 0
	.set _ZN9rocsparseL20bsrxmvn_17_32_kernelILj19E21rocsparse_complex_numIfElifS2_S2_EEvT2_20rocsparse_direction_NS_24const_host_device_scalarIT0_EES3_PKS3_PKT1_SC_S9_PKT3_PKT4_S7_PT5_21rocsparse_index_base_b.has_dyn_sized_stack, 0
	.set _ZN9rocsparseL20bsrxmvn_17_32_kernelILj19E21rocsparse_complex_numIfElifS2_S2_EEvT2_20rocsparse_direction_NS_24const_host_device_scalarIT0_EES3_PKS3_PKT1_SC_S9_PKT3_PKT4_S7_PT5_21rocsparse_index_base_b.has_recursion, 0
	.set _ZN9rocsparseL20bsrxmvn_17_32_kernelILj19E21rocsparse_complex_numIfElifS2_S2_EEvT2_20rocsparse_direction_NS_24const_host_device_scalarIT0_EES3_PKS3_PKT1_SC_S9_PKT3_PKT4_S7_PT5_21rocsparse_index_base_b.has_indirect_call, 0
	.section	.AMDGPU.csdata,"",@progbits
; Kernel info:
; codeLenInByte = 1488
; TotalNumSgprs: 26
; NumVgprs: 20
; ScratchSize: 0
; MemoryBound: 0
; FloatMode: 240
; IeeeMode: 1
; LDSByteSize: 2888 bytes/workgroup (compile time only)
; SGPRBlocks: 8
; VGPRBlocks: 6
; NumSGPRsForWavesPerEU: 65
; NumVGPRsForWavesPerEU: 25
; Occupancy: 9
; WaveLimiterHint : 1
; COMPUTE_PGM_RSRC2:SCRATCH_EN: 0
; COMPUTE_PGM_RSRC2:USER_SGPR: 6
; COMPUTE_PGM_RSRC2:TRAP_HANDLER: 0
; COMPUTE_PGM_RSRC2:TGID_X_EN: 1
; COMPUTE_PGM_RSRC2:TGID_Y_EN: 0
; COMPUTE_PGM_RSRC2:TGID_Z_EN: 0
; COMPUTE_PGM_RSRC2:TIDIG_COMP_CNT: 0
	.section	.text._ZN9rocsparseL20bsrxmvn_17_32_kernelILj20E21rocsparse_complex_numIfElifS2_S2_EEvT2_20rocsparse_direction_NS_24const_host_device_scalarIT0_EES3_PKS3_PKT1_SC_S9_PKT3_PKT4_S7_PT5_21rocsparse_index_base_b,"axG",@progbits,_ZN9rocsparseL20bsrxmvn_17_32_kernelILj20E21rocsparse_complex_numIfElifS2_S2_EEvT2_20rocsparse_direction_NS_24const_host_device_scalarIT0_EES3_PKS3_PKT1_SC_S9_PKT3_PKT4_S7_PT5_21rocsparse_index_base_b,comdat
	.globl	_ZN9rocsparseL20bsrxmvn_17_32_kernelILj20E21rocsparse_complex_numIfElifS2_S2_EEvT2_20rocsparse_direction_NS_24const_host_device_scalarIT0_EES3_PKS3_PKT1_SC_S9_PKT3_PKT4_S7_PT5_21rocsparse_index_base_b ; -- Begin function _ZN9rocsparseL20bsrxmvn_17_32_kernelILj20E21rocsparse_complex_numIfElifS2_S2_EEvT2_20rocsparse_direction_NS_24const_host_device_scalarIT0_EES3_PKS3_PKT1_SC_S9_PKT3_PKT4_S7_PT5_21rocsparse_index_base_b
	.p2align	8
	.type	_ZN9rocsparseL20bsrxmvn_17_32_kernelILj20E21rocsparse_complex_numIfElifS2_S2_EEvT2_20rocsparse_direction_NS_24const_host_device_scalarIT0_EES3_PKS3_PKT1_SC_S9_PKT3_PKT4_S7_PT5_21rocsparse_index_base_b,@function
_ZN9rocsparseL20bsrxmvn_17_32_kernelILj20E21rocsparse_complex_numIfElifS2_S2_EEvT2_20rocsparse_direction_NS_24const_host_device_scalarIT0_EES3_PKS3_PKT1_SC_S9_PKT3_PKT4_S7_PT5_21rocsparse_index_base_b: ; @_ZN9rocsparseL20bsrxmvn_17_32_kernelILj20E21rocsparse_complex_numIfElifS2_S2_EEvT2_20rocsparse_direction_NS_24const_host_device_scalarIT0_EES3_PKS3_PKT1_SC_S9_PKT3_PKT4_S7_PT5_21rocsparse_index_base_b
; %bb.0:
	s_load_dwordx2 s[0:1], s[4:5], 0x8
	s_load_dwordx2 s[14:15], s[4:5], 0x58
	s_add_u32 s7, s4, 8
	s_addc_u32 s8, s5, 0
	s_add_u32 s9, s4, 0x48
	s_load_dwordx2 s[2:3], s[4:5], 0x48
	s_addc_u32 s10, s5, 0
	s_waitcnt lgkmcnt(0)
	s_bitcmp1_b32 s15, 0
	s_cselect_b32 s1, s8, s1
	s_cselect_b32 s0, s7, s0
	v_mov_b32_e32 v1, s0
	v_mov_b32_e32 v2, s1
	flat_load_dwordx2 v[3:4], v[1:2]
	s_cselect_b32 s0, s10, s3
	s_cselect_b32 s1, s9, s2
	v_mov_b32_e32 v1, s1
	v_mov_b32_e32 v2, s0
	flat_load_dwordx2 v[1:2], v[1:2]
	s_waitcnt vmcnt(0) lgkmcnt(0)
	v_cmp_eq_f32_e32 vcc, 0, v3
	v_cmp_eq_f32_e64 s[0:1], 0, v4
	s_and_b64 s[8:9], vcc, s[0:1]
	s_mov_b64 s[0:1], -1
	s_and_saveexec_b64 s[2:3], s[8:9]
; %bb.1:
	v_cmp_neq_f32_e32 vcc, 1.0, v1
	v_cmp_neq_f32_e64 s[0:1], 0, v2
	s_or_b64 s[0:1], vcc, s[0:1]
	s_orn2_b64 s[0:1], s[0:1], exec
; %bb.2:
	s_or_b64 exec, exec, s[2:3]
	s_and_saveexec_b64 s[2:3], s[0:1]
	s_cbranch_execz .LBB403_39
; %bb.3:
	s_load_dwordx4 s[0:3], s[4:5], 0x18
	s_load_dwordx2 s[8:9], s[4:5], 0x28
	s_waitcnt lgkmcnt(0)
	s_cmp_eq_u64 s[0:1], 0
	s_cbranch_scc1 .LBB403_5
; %bb.4:
	s_ashr_i32 s7, s6, 31
	s_lshl_b64 s[6:7], s[6:7], 2
	s_add_u32 s0, s0, s6
	s_addc_u32 s1, s1, s7
	s_load_dword s0, s[0:1], 0x0
	s_waitcnt lgkmcnt(0)
	s_sub_i32 s6, s0, s14
.LBB403_5:
	s_load_dword s7, s[4:5], 0x4
	s_load_dwordx2 s[12:13], s[4:5], 0x50
	v_mul_u32_u24_e32 v7, 0xccd, v0
	v_mov_b32_e32 v8, 20
	v_mul_lo_u16_sdwa v5, v7, v8 dst_sel:DWORD dst_unused:UNUSED_PAD src0_sel:WORD_1 src1_sel:DWORD
	s_waitcnt lgkmcnt(0)
	s_cmp_eq_u32 s7, 1
	s_cselect_b64 s[0:1], -1, 0
	s_cmp_lg_u32 s7, 1
	s_cselect_b64 s[16:17], -1, 0
	s_ashr_i32 s7, s6, 31
	s_lshl_b64 s[10:11], s[6:7], 3
	s_add_u32 s2, s2, s10
	s_addc_u32 s3, s3, s11
	s_add_u32 s7, s2, 8
	s_addc_u32 s15, s3, 0
	;; [unrolled: 2-line block ×3, first 2 shown]
	s_cmp_eq_u64 s[8:9], 0
	s_cselect_b32 s9, s15, s11
	s_cselect_b32 s8, s7, s10
	s_load_dwordx2 s[18:19], s[8:9], 0x0
	s_load_dwordx2 s[20:21], s[2:3], 0x0
	v_sub_u16_e32 v14, v0, v5
	s_waitcnt lgkmcnt(0)
	v_mov_b32_e32 v5, s18
	v_mov_b32_e32 v6, s19
	v_cmp_ge_i64_e32 vcc, s[20:21], v[5:6]
	v_mov_b32_e32 v6, 0
	v_mov_b32_e32 v5, 0
	s_cbranch_vccnz .LBB403_10
; %bb.6:
	v_mov_b32_e32 v5, 13
	s_load_dwordx4 s[8:11], s[4:5], 0x30
	s_load_dwordx2 s[2:3], s[4:5], 0x40
	s_sub_u32 s4, s18, s14
	v_mul_lo_u16_sdwa v5, v7, v5 dst_sel:DWORD dst_unused:UNUSED_PAD src0_sel:WORD_1 src1_sel:DWORD
	s_subb_u32 s5, s19, 0
	v_mul_lo_u16_sdwa v5, v5, v8 dst_sel:DWORD dst_unused:UNUSED_PAD src0_sel:BYTE_1 src1_sel:DWORD
	v_sub_u16_sdwa v5, v7, v5 dst_sel:DWORD dst_unused:UNUSED_PAD src0_sel:WORD_1 src1_sel:DWORD
	s_sub_u32 s18, s20, s14
	v_and_b32_e32 v5, 0xff, v5
	s_subb_u32 s19, s21, 0
	v_cndmask_b32_e64 v7, v14, v5, s[0:1]
	s_mul_i32 s0, s19, 0x640
	s_mul_hi_u32 s1, s18, 0x640
	s_add_i32 s1, s1, s0
	s_mul_i32 s0, s18, 0x640
	s_waitcnt lgkmcnt(0)
	s_add_u32 s0, s10, s0
	v_lshlrev_b32_e32 v5, 2, v0
	s_addc_u32 s1, s11, s1
	v_add_co_u32_e32 v8, vcc, s0, v5
	s_movk_i32 s0, 0xa4
	v_mov_b32_e32 v9, s1
	v_mul_u32_u24_sdwa v5, v0, s0 dst_sel:DWORD dst_unused:UNUSED_PAD src0_sel:WORD_0 src1_sel:DWORD
	v_addc_co_u32_e32 v9, vcc, 0, v9, vcc
	v_lshrrev_b32_e32 v15, 16, v5
	v_mov_b32_e32 v5, s21
	v_add_co_u32_e32 v10, vcc, s20, v15
	v_addc_co_u32_e32 v5, vcc, 0, v5, vcc
	v_subrev_co_u32_e32 v10, vcc, s14, v10
	v_subbrev_co_u32_e32 v11, vcc, 0, v5, vcc
	v_lshlrev_b64 v[10:11], 2, v[10:11]
	v_mov_b32_e32 v6, 0
	v_mov_b32_e32 v5, s9
	v_add_co_u32_e32 v10, vcc, s8, v10
	v_mov_b32_e32 v13, s5
	v_addc_co_u32_e32 v11, vcc, v5, v11, vcc
	v_mov_b32_e32 v12, s4
	v_mov_b32_e32 v5, v6
	s_branch .LBB403_8
.LBB403_7:                              ;   in Loop: Header=BB403_8 Depth=1
	s_or_b64 exec, exec, s[0:1]
	s_add_u32 s18, s18, 1
	s_addc_u32 s19, s19, 0
	v_cmp_lt_i64_e32 vcc, s[18:19], v[12:13]
	v_add_co_u32_e64 v10, s[0:1], 4, v10
	v_addc_co_u32_e64 v11, s[0:1], 0, v11, s[0:1]
	s_cbranch_vccz .LBB403_10
.LBB403_8:                              ; =>This Inner Loop Header: Depth=1
	v_mov_b32_e32 v17, s19
	v_add_co_u32_e32 v16, vcc, s18, v15
	v_addc_co_u32_e32 v17, vcc, 0, v17, vcc
	v_cmp_gt_i64_e32 vcc, s[4:5], v[16:17]
	s_and_saveexec_b64 s[0:1], vcc
	s_cbranch_execz .LBB403_7
; %bb.9:                                ;   in Loop: Header=BB403_8 Depth=1
	global_load_dword v16, v[10:11], off
	v_mov_b32_e32 v19, s3
	global_load_dword v18, v[8:9], off
	s_waitcnt vmcnt(1)
	v_subrev_u32_e32 v16, s14, v16
	v_mad_u64_u32 v[16:17], s[8:9], v16, 20, v[7:8]
	v_ashrrev_i32_e32 v17, 31, v16
	v_lshlrev_b64 v[16:17], 3, v[16:17]
	v_add_co_u32_e32 v16, vcc, s2, v16
	v_addc_co_u32_e32 v17, vcc, v19, v17, vcc
	global_load_dwordx2 v[16:17], v[16:17], off
	v_add_co_u32_e32 v8, vcc, 0x640, v8
	v_addc_co_u32_e32 v9, vcc, 0, v9, vcc
	s_waitcnt vmcnt(0)
	v_fmac_f32_e32 v5, v18, v16
	v_fmac_f32_e32 v6, 0, v16
	;; [unrolled: 1-line block ×4, first 2 shown]
	s_branch .LBB403_7
.LBB403_10:
	v_lshlrev_b32_e32 v7, 3, v0
	s_and_b64 vcc, exec, s[16:17]
	ds_write_b64 v7, v[5:6]
	s_waitcnt lgkmcnt(0)
	s_barrier
	s_cbranch_vccz .LBB403_22
; %bb.11:
	v_cmp_gt_u16_e32 vcc, 4, v14
	s_and_saveexec_b64 s[0:1], vcc
	s_cbranch_execz .LBB403_13
; %bb.12:
	ds_read2_b64 v[8:11], v7 offset1:16
	s_waitcnt lgkmcnt(0)
	v_add_f32_e32 v8, v10, v8
	v_add_f32_e32 v9, v11, v9
	ds_write_b64 v7, v[8:9]
.LBB403_13:
	s_or_b64 exec, exec, s[0:1]
	v_cmp_gt_u16_e64 s[0:1], 8, v14
	s_waitcnt lgkmcnt(0)
	s_barrier
	s_and_saveexec_b64 s[2:3], s[0:1]
	s_cbranch_execz .LBB403_15
; %bb.14:
	ds_read2_b64 v[8:11], v7 offset1:8
	s_waitcnt lgkmcnt(0)
	v_add_f32_e32 v8, v10, v8
	v_add_f32_e32 v9, v11, v9
	ds_write_b64 v7, v[8:9]
.LBB403_15:
	s_or_b64 exec, exec, s[2:3]
	s_waitcnt lgkmcnt(0)
	s_barrier
	s_and_saveexec_b64 s[0:1], vcc
	s_cbranch_execz .LBB403_17
; %bb.16:
	ds_read2_b64 v[8:11], v7 offset1:4
	s_waitcnt lgkmcnt(0)
	v_add_f32_e32 v8, v10, v8
	v_add_f32_e32 v9, v11, v9
	ds_write_b64 v7, v[8:9]
.LBB403_17:
	s_or_b64 exec, exec, s[0:1]
	v_cmp_gt_u16_e32 vcc, 2, v14
	s_waitcnt lgkmcnt(0)
	s_barrier
	s_and_saveexec_b64 s[0:1], vcc
	s_cbranch_execz .LBB403_19
; %bb.18:
	ds_read2_b64 v[8:11], v7 offset1:2
	s_waitcnt lgkmcnt(0)
	v_add_f32_e32 v8, v10, v8
	v_add_f32_e32 v9, v11, v9
	ds_write_b64 v7, v[8:9]
.LBB403_19:
	s_or_b64 exec, exec, s[0:1]
	v_cmp_gt_u32_e32 vcc, 20, v0
	v_mov_b32_e32 v9, v6
	v_mov_b32_e32 v8, v5
	s_waitcnt lgkmcnt(0)
	s_barrier
	s_and_saveexec_b64 s[0:1], vcc
	s_cbranch_execz .LBB403_21
; %bb.20:
	s_movk_i32 s2, 0x98
	v_mad_u32_u24 v8, v0, s2, v7
	ds_read2_b64 v[8:11], v8 offset1:1
	s_waitcnt lgkmcnt(0)
	v_add_f32_e32 v8, v10, v8
	v_add_f32_e32 v9, v11, v9
.LBB403_21:
	s_or_b64 exec, exec, s[0:1]
	s_branch .LBB403_34
.LBB403_22:
                                        ; implicit-def: $vgpr9
                                        ; implicit-def: $vgpr8
	s_cbranch_execz .LBB403_34
; %bb.23:
	s_movk_i32 s0, 0x50
	v_cmp_gt_u32_e32 vcc, s0, v0
	s_and_saveexec_b64 s[0:1], vcc
	s_cbranch_execz .LBB403_25
; %bb.24:
	ds_read2st64_b64 v[8:11], v7 offset1:5
	s_waitcnt lgkmcnt(0)
	v_add_f32_e32 v8, v10, v8
	v_add_f32_e32 v9, v11, v9
	ds_write_b64 v7, v[8:9]
.LBB403_25:
	s_or_b64 exec, exec, s[0:1]
	s_movk_i32 s0, 0xa0
	v_cmp_gt_u32_e64 s[0:1], s0, v0
	s_waitcnt lgkmcnt(0)
	s_barrier
	s_and_saveexec_b64 s[2:3], s[0:1]
	s_cbranch_execz .LBB403_27
; %bb.26:
	ds_read2_b64 v[8:11], v7 offset1:160
	s_waitcnt lgkmcnt(0)
	v_add_f32_e32 v8, v10, v8
	v_add_f32_e32 v9, v11, v9
	ds_write_b64 v7, v[8:9]
.LBB403_27:
	s_or_b64 exec, exec, s[2:3]
	s_waitcnt lgkmcnt(0)
	s_barrier
	s_and_saveexec_b64 s[0:1], vcc
	s_cbranch_execz .LBB403_29
; %bb.28:
	ds_read2_b64 v[8:11], v7 offset1:80
	s_waitcnt lgkmcnt(0)
	v_add_f32_e32 v8, v10, v8
	v_add_f32_e32 v9, v11, v9
	ds_write_b64 v7, v[8:9]
.LBB403_29:
	s_or_b64 exec, exec, s[0:1]
	v_cmp_gt_u32_e32 vcc, 40, v0
	s_waitcnt lgkmcnt(0)
	s_barrier
	s_and_saveexec_b64 s[0:1], vcc
	s_cbranch_execz .LBB403_31
; %bb.30:
	ds_read2_b64 v[8:11], v7 offset1:40
	s_waitcnt lgkmcnt(0)
	v_add_f32_e32 v8, v10, v8
	v_add_f32_e32 v9, v11, v9
	ds_write_b64 v7, v[8:9]
.LBB403_31:
	s_or_b64 exec, exec, s[0:1]
	v_cmp_gt_u32_e32 vcc, 20, v0
	s_waitcnt lgkmcnt(0)
	s_and_saveexec_b64 s[0:1], vcc
	s_cbranch_execz .LBB403_33
; %bb.32:
	ds_read2_b64 v[5:8], v7 offset1:20
	s_waitcnt lgkmcnt(0)
	v_add_f32_e32 v5, v7, v5
	v_add_f32_e32 v6, v8, v6
.LBB403_33:
	s_or_b64 exec, exec, s[0:1]
	v_mov_b32_e32 v9, v6
	v_mov_b32_e32 v8, v5
.LBB403_34:
	v_cmp_gt_u32_e32 vcc, 20, v0
	s_and_b64 exec, exec, vcc
	s_cbranch_execz .LBB403_39
; %bb.35:
	v_cmp_eq_f32_e32 vcc, 0, v1
	v_cmp_eq_f32_e64 s[0:1], 0, v2
	v_mul_f32_e64 v5, v9, -v4
	v_mul_f32_e32 v6, v3, v9
	s_and_b64 s[0:1], vcc, s[0:1]
	v_fmac_f32_e32 v5, v3, v8
	v_fmac_f32_e32 v6, v4, v8
	s_and_saveexec_b64 s[2:3], s[0:1]
	s_xor_b64 s[0:1], exec, s[2:3]
	s_cbranch_execz .LBB403_37
; %bb.36:
	v_mad_u64_u32 v[0:1], s[2:3], s6, 20, v[0:1]
	v_mov_b32_e32 v1, 0
	v_mov_b32_e32 v2, s13
	v_lshlrev_b64 v[0:1], 3, v[0:1]
	v_add_co_u32_e32 v0, vcc, s12, v0
	v_addc_co_u32_e32 v1, vcc, v2, v1, vcc
	global_store_dwordx2 v[0:1], v[5:6], off
                                        ; implicit-def: $vgpr0
                                        ; implicit-def: $vgpr1_vgpr2
                                        ; implicit-def: $vgpr5
.LBB403_37:
	s_andn2_saveexec_b64 s[0:1], s[0:1]
	s_cbranch_execz .LBB403_39
; %bb.38:
	v_mad_u64_u32 v[3:4], s[0:1], s6, 20, v[0:1]
	v_mov_b32_e32 v4, 0
	v_mov_b32_e32 v0, s13
	v_lshlrev_b64 v[3:4], 3, v[3:4]
	v_add_co_u32_e32 v3, vcc, s12, v3
	v_addc_co_u32_e32 v4, vcc, v0, v4, vcc
	global_load_dwordx2 v[7:8], v[3:4], off
	s_waitcnt vmcnt(0)
	v_fmac_f32_e32 v5, v1, v7
	v_fmac_f32_e32 v6, v2, v7
	v_fma_f32 v5, -v2, v8, v5
	v_fmac_f32_e32 v6, v1, v8
	global_store_dwordx2 v[3:4], v[5:6], off
.LBB403_39:
	s_endpgm
	.section	.rodata,"a",@progbits
	.p2align	6, 0x0
	.amdhsa_kernel _ZN9rocsparseL20bsrxmvn_17_32_kernelILj20E21rocsparse_complex_numIfElifS2_S2_EEvT2_20rocsparse_direction_NS_24const_host_device_scalarIT0_EES3_PKS3_PKT1_SC_S9_PKT3_PKT4_S7_PT5_21rocsparse_index_base_b
		.amdhsa_group_segment_fixed_size 3200
		.amdhsa_private_segment_fixed_size 0
		.amdhsa_kernarg_size 96
		.amdhsa_user_sgpr_count 6
		.amdhsa_user_sgpr_private_segment_buffer 1
		.amdhsa_user_sgpr_dispatch_ptr 0
		.amdhsa_user_sgpr_queue_ptr 0
		.amdhsa_user_sgpr_kernarg_segment_ptr 1
		.amdhsa_user_sgpr_dispatch_id 0
		.amdhsa_user_sgpr_flat_scratch_init 0
		.amdhsa_user_sgpr_private_segment_size 0
		.amdhsa_uses_dynamic_stack 0
		.amdhsa_system_sgpr_private_segment_wavefront_offset 0
		.amdhsa_system_sgpr_workgroup_id_x 1
		.amdhsa_system_sgpr_workgroup_id_y 0
		.amdhsa_system_sgpr_workgroup_id_z 0
		.amdhsa_system_sgpr_workgroup_info 0
		.amdhsa_system_vgpr_workitem_id 0
		.amdhsa_next_free_vgpr 25
		.amdhsa_next_free_sgpr 61
		.amdhsa_reserve_vcc 1
		.amdhsa_reserve_flat_scratch 0
		.amdhsa_float_round_mode_32 0
		.amdhsa_float_round_mode_16_64 0
		.amdhsa_float_denorm_mode_32 3
		.amdhsa_float_denorm_mode_16_64 3
		.amdhsa_dx10_clamp 1
		.amdhsa_ieee_mode 1
		.amdhsa_fp16_overflow 0
		.amdhsa_exception_fp_ieee_invalid_op 0
		.amdhsa_exception_fp_denorm_src 0
		.amdhsa_exception_fp_ieee_div_zero 0
		.amdhsa_exception_fp_ieee_overflow 0
		.amdhsa_exception_fp_ieee_underflow 0
		.amdhsa_exception_fp_ieee_inexact 0
		.amdhsa_exception_int_div_zero 0
	.end_amdhsa_kernel
	.section	.text._ZN9rocsparseL20bsrxmvn_17_32_kernelILj20E21rocsparse_complex_numIfElifS2_S2_EEvT2_20rocsparse_direction_NS_24const_host_device_scalarIT0_EES3_PKS3_PKT1_SC_S9_PKT3_PKT4_S7_PT5_21rocsparse_index_base_b,"axG",@progbits,_ZN9rocsparseL20bsrxmvn_17_32_kernelILj20E21rocsparse_complex_numIfElifS2_S2_EEvT2_20rocsparse_direction_NS_24const_host_device_scalarIT0_EES3_PKS3_PKT1_SC_S9_PKT3_PKT4_S7_PT5_21rocsparse_index_base_b,comdat
.Lfunc_end403:
	.size	_ZN9rocsparseL20bsrxmvn_17_32_kernelILj20E21rocsparse_complex_numIfElifS2_S2_EEvT2_20rocsparse_direction_NS_24const_host_device_scalarIT0_EES3_PKS3_PKT1_SC_S9_PKT3_PKT4_S7_PT5_21rocsparse_index_base_b, .Lfunc_end403-_ZN9rocsparseL20bsrxmvn_17_32_kernelILj20E21rocsparse_complex_numIfElifS2_S2_EEvT2_20rocsparse_direction_NS_24const_host_device_scalarIT0_EES3_PKS3_PKT1_SC_S9_PKT3_PKT4_S7_PT5_21rocsparse_index_base_b
                                        ; -- End function
	.set _ZN9rocsparseL20bsrxmvn_17_32_kernelILj20E21rocsparse_complex_numIfElifS2_S2_EEvT2_20rocsparse_direction_NS_24const_host_device_scalarIT0_EES3_PKS3_PKT1_SC_S9_PKT3_PKT4_S7_PT5_21rocsparse_index_base_b.num_vgpr, 20
	.set _ZN9rocsparseL20bsrxmvn_17_32_kernelILj20E21rocsparse_complex_numIfElifS2_S2_EEvT2_20rocsparse_direction_NS_24const_host_device_scalarIT0_EES3_PKS3_PKT1_SC_S9_PKT3_PKT4_S7_PT5_21rocsparse_index_base_b.num_agpr, 0
	.set _ZN9rocsparseL20bsrxmvn_17_32_kernelILj20E21rocsparse_complex_numIfElifS2_S2_EEvT2_20rocsparse_direction_NS_24const_host_device_scalarIT0_EES3_PKS3_PKT1_SC_S9_PKT3_PKT4_S7_PT5_21rocsparse_index_base_b.numbered_sgpr, 22
	.set _ZN9rocsparseL20bsrxmvn_17_32_kernelILj20E21rocsparse_complex_numIfElifS2_S2_EEvT2_20rocsparse_direction_NS_24const_host_device_scalarIT0_EES3_PKS3_PKT1_SC_S9_PKT3_PKT4_S7_PT5_21rocsparse_index_base_b.num_named_barrier, 0
	.set _ZN9rocsparseL20bsrxmvn_17_32_kernelILj20E21rocsparse_complex_numIfElifS2_S2_EEvT2_20rocsparse_direction_NS_24const_host_device_scalarIT0_EES3_PKS3_PKT1_SC_S9_PKT3_PKT4_S7_PT5_21rocsparse_index_base_b.private_seg_size, 0
	.set _ZN9rocsparseL20bsrxmvn_17_32_kernelILj20E21rocsparse_complex_numIfElifS2_S2_EEvT2_20rocsparse_direction_NS_24const_host_device_scalarIT0_EES3_PKS3_PKT1_SC_S9_PKT3_PKT4_S7_PT5_21rocsparse_index_base_b.uses_vcc, 1
	.set _ZN9rocsparseL20bsrxmvn_17_32_kernelILj20E21rocsparse_complex_numIfElifS2_S2_EEvT2_20rocsparse_direction_NS_24const_host_device_scalarIT0_EES3_PKS3_PKT1_SC_S9_PKT3_PKT4_S7_PT5_21rocsparse_index_base_b.uses_flat_scratch, 0
	.set _ZN9rocsparseL20bsrxmvn_17_32_kernelILj20E21rocsparse_complex_numIfElifS2_S2_EEvT2_20rocsparse_direction_NS_24const_host_device_scalarIT0_EES3_PKS3_PKT1_SC_S9_PKT3_PKT4_S7_PT5_21rocsparse_index_base_b.has_dyn_sized_stack, 0
	.set _ZN9rocsparseL20bsrxmvn_17_32_kernelILj20E21rocsparse_complex_numIfElifS2_S2_EEvT2_20rocsparse_direction_NS_24const_host_device_scalarIT0_EES3_PKS3_PKT1_SC_S9_PKT3_PKT4_S7_PT5_21rocsparse_index_base_b.has_recursion, 0
	.set _ZN9rocsparseL20bsrxmvn_17_32_kernelILj20E21rocsparse_complex_numIfElifS2_S2_EEvT2_20rocsparse_direction_NS_24const_host_device_scalarIT0_EES3_PKS3_PKT1_SC_S9_PKT3_PKT4_S7_PT5_21rocsparse_index_base_b.has_indirect_call, 0
	.section	.AMDGPU.csdata,"",@progbits
; Kernel info:
; codeLenInByte = 1480
; TotalNumSgprs: 26
; NumVgprs: 20
; ScratchSize: 0
; MemoryBound: 0
; FloatMode: 240
; IeeeMode: 1
; LDSByteSize: 3200 bytes/workgroup (compile time only)
; SGPRBlocks: 8
; VGPRBlocks: 6
; NumSGPRsForWavesPerEU: 65
; NumVGPRsForWavesPerEU: 25
; Occupancy: 9
; WaveLimiterHint : 1
; COMPUTE_PGM_RSRC2:SCRATCH_EN: 0
; COMPUTE_PGM_RSRC2:USER_SGPR: 6
; COMPUTE_PGM_RSRC2:TRAP_HANDLER: 0
; COMPUTE_PGM_RSRC2:TGID_X_EN: 1
; COMPUTE_PGM_RSRC2:TGID_Y_EN: 0
; COMPUTE_PGM_RSRC2:TGID_Z_EN: 0
; COMPUTE_PGM_RSRC2:TIDIG_COMP_CNT: 0
	.section	.text._ZN9rocsparseL20bsrxmvn_17_32_kernelILj21E21rocsparse_complex_numIfElifS2_S2_EEvT2_20rocsparse_direction_NS_24const_host_device_scalarIT0_EES3_PKS3_PKT1_SC_S9_PKT3_PKT4_S7_PT5_21rocsparse_index_base_b,"axG",@progbits,_ZN9rocsparseL20bsrxmvn_17_32_kernelILj21E21rocsparse_complex_numIfElifS2_S2_EEvT2_20rocsparse_direction_NS_24const_host_device_scalarIT0_EES3_PKS3_PKT1_SC_S9_PKT3_PKT4_S7_PT5_21rocsparse_index_base_b,comdat
	.globl	_ZN9rocsparseL20bsrxmvn_17_32_kernelILj21E21rocsparse_complex_numIfElifS2_S2_EEvT2_20rocsparse_direction_NS_24const_host_device_scalarIT0_EES3_PKS3_PKT1_SC_S9_PKT3_PKT4_S7_PT5_21rocsparse_index_base_b ; -- Begin function _ZN9rocsparseL20bsrxmvn_17_32_kernelILj21E21rocsparse_complex_numIfElifS2_S2_EEvT2_20rocsparse_direction_NS_24const_host_device_scalarIT0_EES3_PKS3_PKT1_SC_S9_PKT3_PKT4_S7_PT5_21rocsparse_index_base_b
	.p2align	8
	.type	_ZN9rocsparseL20bsrxmvn_17_32_kernelILj21E21rocsparse_complex_numIfElifS2_S2_EEvT2_20rocsparse_direction_NS_24const_host_device_scalarIT0_EES3_PKS3_PKT1_SC_S9_PKT3_PKT4_S7_PT5_21rocsparse_index_base_b,@function
_ZN9rocsparseL20bsrxmvn_17_32_kernelILj21E21rocsparse_complex_numIfElifS2_S2_EEvT2_20rocsparse_direction_NS_24const_host_device_scalarIT0_EES3_PKS3_PKT1_SC_S9_PKT3_PKT4_S7_PT5_21rocsparse_index_base_b: ; @_ZN9rocsparseL20bsrxmvn_17_32_kernelILj21E21rocsparse_complex_numIfElifS2_S2_EEvT2_20rocsparse_direction_NS_24const_host_device_scalarIT0_EES3_PKS3_PKT1_SC_S9_PKT3_PKT4_S7_PT5_21rocsparse_index_base_b
; %bb.0:
	s_load_dwordx2 s[0:1], s[4:5], 0x8
	s_load_dwordx2 s[14:15], s[4:5], 0x58
	s_add_u32 s7, s4, 8
	s_addc_u32 s8, s5, 0
	s_add_u32 s9, s4, 0x48
	s_load_dwordx2 s[2:3], s[4:5], 0x48
	s_addc_u32 s10, s5, 0
	s_waitcnt lgkmcnt(0)
	s_bitcmp1_b32 s15, 0
	s_cselect_b32 s1, s8, s1
	s_cselect_b32 s0, s7, s0
	v_mov_b32_e32 v1, s0
	v_mov_b32_e32 v2, s1
	flat_load_dwordx2 v[3:4], v[1:2]
	s_cselect_b32 s0, s10, s3
	s_cselect_b32 s1, s9, s2
	v_mov_b32_e32 v1, s1
	v_mov_b32_e32 v2, s0
	flat_load_dwordx2 v[1:2], v[1:2]
	s_waitcnt vmcnt(0) lgkmcnt(0)
	v_cmp_eq_f32_e32 vcc, 0, v3
	v_cmp_eq_f32_e64 s[0:1], 0, v4
	s_and_b64 s[8:9], vcc, s[0:1]
	s_mov_b64 s[0:1], -1
	s_and_saveexec_b64 s[2:3], s[8:9]
; %bb.1:
	v_cmp_neq_f32_e32 vcc, 1.0, v1
	v_cmp_neq_f32_e64 s[0:1], 0, v2
	s_or_b64 s[0:1], vcc, s[0:1]
	s_orn2_b64 s[0:1], s[0:1], exec
; %bb.2:
	s_or_b64 exec, exec, s[2:3]
	s_and_saveexec_b64 s[2:3], s[0:1]
	s_cbranch_execz .LBB404_39
; %bb.3:
	s_load_dwordx4 s[0:3], s[4:5], 0x18
	s_load_dwordx2 s[8:9], s[4:5], 0x28
	s_waitcnt lgkmcnt(0)
	s_cmp_eq_u64 s[0:1], 0
	s_cbranch_scc1 .LBB404_5
; %bb.4:
	s_ashr_i32 s7, s6, 31
	s_lshl_b64 s[6:7], s[6:7], 2
	s_add_u32 s0, s0, s6
	s_addc_u32 s1, s1, s7
	s_load_dword s0, s[0:1], 0x0
	s_waitcnt lgkmcnt(0)
	s_sub_i32 s6, s0, s14
.LBB404_5:
	s_load_dword s7, s[4:5], 0x4
	s_load_dwordx2 s[12:13], s[4:5], 0x50
	v_mul_u32_u24_e32 v7, 0xc31, v0
	v_mov_b32_e32 v5, 21
	v_mul_lo_u16_sdwa v5, v7, v5 dst_sel:DWORD dst_unused:UNUSED_PAD src0_sel:WORD_1 src1_sel:DWORD
	s_waitcnt lgkmcnt(0)
	s_cmp_eq_u32 s7, 1
	s_cselect_b64 s[0:1], -1, 0
	s_cmp_lg_u32 s7, 1
	s_cselect_b64 s[16:17], -1, 0
	s_ashr_i32 s7, s6, 31
	s_lshl_b64 s[10:11], s[6:7], 3
	s_add_u32 s2, s2, s10
	s_addc_u32 s3, s3, s11
	s_add_u32 s7, s2, 8
	s_addc_u32 s15, s3, 0
	;; [unrolled: 2-line block ×3, first 2 shown]
	s_cmp_eq_u64 s[8:9], 0
	s_cselect_b32 s9, s15, s11
	s_cselect_b32 s8, s7, s10
	s_load_dwordx2 s[18:19], s[8:9], 0x0
	s_load_dwordx2 s[20:21], s[2:3], 0x0
	v_sub_u16_e32 v14, v0, v5
	s_waitcnt lgkmcnt(0)
	v_mov_b32_e32 v5, s18
	v_mov_b32_e32 v6, s19
	v_cmp_ge_i64_e32 vcc, s[20:21], v[5:6]
	v_mov_b32_e32 v6, 0
	v_mov_b32_e32 v5, 0
	s_cbranch_vccnz .LBB404_10
; %bb.6:
	v_mov_b32_e32 v5, 25
	v_mul_lo_u16_sdwa v5, v7, v5 dst_sel:DWORD dst_unused:UNUSED_PAD src0_sel:WORD_1 src1_sel:DWORD
	s_load_dwordx4 s[8:11], s[4:5], 0x30
	s_load_dwordx2 s[2:3], s[4:5], 0x40
	s_sub_u32 s4, s18, s14
	v_lshrrev_b16_e32 v5, 9, v5
	s_subb_u32 s5, s19, 0
	v_mul_lo_u16_e32 v5, 21, v5
	v_sub_u16_sdwa v5, v7, v5 dst_sel:DWORD dst_unused:UNUSED_PAD src0_sel:WORD_1 src1_sel:DWORD
	s_sub_u32 s18, s20, s14
	v_and_b32_e32 v5, 0xff, v5
	s_subb_u32 s19, s21, 0
	v_cndmask_b32_e64 v7, v14, v5, s[0:1]
	s_mul_i32 s0, s19, 0x6e4
	s_mul_hi_u32 s1, s18, 0x6e4
	s_add_i32 s1, s1, s0
	s_mul_i32 s0, s18, 0x6e4
	s_waitcnt lgkmcnt(0)
	s_add_u32 s0, s10, s0
	v_lshlrev_b32_e32 v5, 2, v0
	s_addc_u32 s1, s11, s1
	v_add_co_u32_e32 v8, vcc, s0, v5
	s_movk_i32 s0, 0x253
	v_mov_b32_e32 v9, s1
	v_mul_u32_u24_sdwa v5, v0, s0 dst_sel:DWORD dst_unused:UNUSED_PAD src0_sel:WORD_0 src1_sel:DWORD
	v_addc_co_u32_e32 v9, vcc, 0, v9, vcc
	v_lshrrev_b32_e32 v15, 18, v5
	v_mov_b32_e32 v5, s21
	v_add_co_u32_e32 v10, vcc, s20, v15
	v_addc_co_u32_e32 v5, vcc, 0, v5, vcc
	v_subrev_co_u32_e32 v10, vcc, s14, v10
	v_subbrev_co_u32_e32 v11, vcc, 0, v5, vcc
	v_lshlrev_b64 v[10:11], 2, v[10:11]
	v_mov_b32_e32 v6, 0
	v_mov_b32_e32 v5, s9
	v_add_co_u32_e32 v10, vcc, s8, v10
	v_mov_b32_e32 v13, s5
	v_addc_co_u32_e32 v11, vcc, v5, v11, vcc
	v_mov_b32_e32 v12, s4
	v_mov_b32_e32 v5, v6
	s_branch .LBB404_8
.LBB404_7:                              ;   in Loop: Header=BB404_8 Depth=1
	s_or_b64 exec, exec, s[0:1]
	s_add_u32 s18, s18, 1
	s_addc_u32 s19, s19, 0
	v_cmp_lt_i64_e32 vcc, s[18:19], v[12:13]
	v_add_co_u32_e64 v10, s[0:1], 4, v10
	v_addc_co_u32_e64 v11, s[0:1], 0, v11, s[0:1]
	s_cbranch_vccz .LBB404_10
.LBB404_8:                              ; =>This Inner Loop Header: Depth=1
	v_mov_b32_e32 v17, s19
	v_add_co_u32_e32 v16, vcc, s18, v15
	v_addc_co_u32_e32 v17, vcc, 0, v17, vcc
	v_cmp_gt_i64_e32 vcc, s[4:5], v[16:17]
	s_and_saveexec_b64 s[0:1], vcc
	s_cbranch_execz .LBB404_7
; %bb.9:                                ;   in Loop: Header=BB404_8 Depth=1
	global_load_dword v16, v[10:11], off
	v_mov_b32_e32 v19, s3
	global_load_dword v18, v[8:9], off
	s_waitcnt vmcnt(1)
	v_subrev_u32_e32 v16, s14, v16
	v_mad_u64_u32 v[16:17], s[8:9], v16, 21, v[7:8]
	v_ashrrev_i32_e32 v17, 31, v16
	v_lshlrev_b64 v[16:17], 3, v[16:17]
	v_add_co_u32_e32 v16, vcc, s2, v16
	v_addc_co_u32_e32 v17, vcc, v19, v17, vcc
	global_load_dwordx2 v[16:17], v[16:17], off
	v_add_co_u32_e32 v8, vcc, 0x6e4, v8
	v_addc_co_u32_e32 v9, vcc, 0, v9, vcc
	s_waitcnt vmcnt(0)
	v_fmac_f32_e32 v5, v18, v16
	v_fmac_f32_e32 v6, 0, v16
	;; [unrolled: 1-line block ×4, first 2 shown]
	s_branch .LBB404_7
.LBB404_10:
	v_lshlrev_b32_e32 v7, 3, v0
	s_and_b64 vcc, exec, s[16:17]
	ds_write_b64 v7, v[5:6]
	s_waitcnt lgkmcnt(0)
	s_barrier
	s_cbranch_vccz .LBB404_22
; %bb.11:
	v_cmp_gt_u16_e32 vcc, 5, v14
	s_and_saveexec_b64 s[0:1], vcc
	s_cbranch_execz .LBB404_13
; %bb.12:
	ds_read2_b64 v[8:11], v7 offset1:16
	s_waitcnt lgkmcnt(0)
	v_add_f32_e32 v8, v10, v8
	v_add_f32_e32 v9, v11, v9
	ds_write_b64 v7, v[8:9]
.LBB404_13:
	s_or_b64 exec, exec, s[0:1]
	v_cmp_gt_u16_e32 vcc, 8, v14
	s_waitcnt lgkmcnt(0)
	s_barrier
	s_and_saveexec_b64 s[0:1], vcc
	s_cbranch_execz .LBB404_15
; %bb.14:
	ds_read2_b64 v[8:11], v7 offset1:8
	s_waitcnt lgkmcnt(0)
	v_add_f32_e32 v8, v10, v8
	v_add_f32_e32 v9, v11, v9
	ds_write_b64 v7, v[8:9]
.LBB404_15:
	s_or_b64 exec, exec, s[0:1]
	v_cmp_gt_u16_e32 vcc, 4, v14
	s_waitcnt lgkmcnt(0)
	s_barrier
	;; [unrolled: 13-line block ×3, first 2 shown]
	s_and_saveexec_b64 s[0:1], vcc
	s_cbranch_execz .LBB404_19
; %bb.18:
	ds_read2_b64 v[8:11], v7 offset1:2
	s_waitcnt lgkmcnt(0)
	v_add_f32_e32 v8, v10, v8
	v_add_f32_e32 v9, v11, v9
	ds_write_b64 v7, v[8:9]
.LBB404_19:
	s_or_b64 exec, exec, s[0:1]
	v_cmp_gt_u32_e32 vcc, 21, v0
	v_mov_b32_e32 v9, v6
	v_mov_b32_e32 v8, v5
	s_waitcnt lgkmcnt(0)
	s_barrier
	s_and_saveexec_b64 s[0:1], vcc
	s_cbranch_execz .LBB404_21
; %bb.20:
	s_movk_i32 s2, 0xa0
	v_mad_u32_u24 v8, v0, s2, v7
	ds_read2_b64 v[8:11], v8 offset1:1
	s_waitcnt lgkmcnt(0)
	v_add_f32_e32 v8, v10, v8
	v_add_f32_e32 v9, v11, v9
.LBB404_21:
	s_or_b64 exec, exec, s[0:1]
	s_branch .LBB404_34
.LBB404_22:
                                        ; implicit-def: $vgpr9
                                        ; implicit-def: $vgpr8
	s_cbranch_execz .LBB404_34
; %bb.23:
	s_movk_i32 s0, 0x69
	v_cmp_gt_u32_e32 vcc, s0, v0
	s_and_saveexec_b64 s[0:1], vcc
	s_cbranch_execz .LBB404_25
; %bb.24:
	ds_read_b64 v[8:9], v7 offset:2688
	ds_read_b64 v[10:11], v7
	s_waitcnt lgkmcnt(0)
	v_add_f32_e32 v8, v8, v10
	v_add_f32_e32 v9, v9, v11
	ds_write_b64 v7, v[8:9]
.LBB404_25:
	s_or_b64 exec, exec, s[0:1]
	s_movk_i32 s0, 0xa8
	v_cmp_gt_u32_e32 vcc, s0, v0
	s_waitcnt lgkmcnt(0)
	s_barrier
	s_and_saveexec_b64 s[0:1], vcc
	s_cbranch_execz .LBB404_27
; %bb.26:
	ds_read2_b64 v[8:11], v7 offset1:168
	s_waitcnt lgkmcnt(0)
	v_add_f32_e32 v8, v10, v8
	v_add_f32_e32 v9, v11, v9
	ds_write_b64 v7, v[8:9]
.LBB404_27:
	s_or_b64 exec, exec, s[0:1]
	s_movk_i32 s0, 0x54
	v_cmp_gt_u32_e32 vcc, s0, v0
	s_waitcnt lgkmcnt(0)
	s_barrier
	s_and_saveexec_b64 s[0:1], vcc
	s_cbranch_execz .LBB404_29
; %bb.28:
	ds_read2_b64 v[8:11], v7 offset1:84
	s_waitcnt lgkmcnt(0)
	v_add_f32_e32 v8, v10, v8
	v_add_f32_e32 v9, v11, v9
	ds_write_b64 v7, v[8:9]
.LBB404_29:
	s_or_b64 exec, exec, s[0:1]
	v_cmp_gt_u32_e32 vcc, 42, v0
	s_waitcnt lgkmcnt(0)
	s_barrier
	s_and_saveexec_b64 s[0:1], vcc
	s_cbranch_execz .LBB404_31
; %bb.30:
	ds_read2_b64 v[8:11], v7 offset1:42
	s_waitcnt lgkmcnt(0)
	v_add_f32_e32 v8, v10, v8
	v_add_f32_e32 v9, v11, v9
	ds_write_b64 v7, v[8:9]
.LBB404_31:
	s_or_b64 exec, exec, s[0:1]
	v_cmp_gt_u32_e32 vcc, 21, v0
	s_waitcnt lgkmcnt(0)
	s_and_saveexec_b64 s[0:1], vcc
	s_cbranch_execz .LBB404_33
; %bb.32:
	ds_read2_b64 v[5:8], v7 offset1:21
	s_waitcnt lgkmcnt(0)
	v_add_f32_e32 v5, v7, v5
	v_add_f32_e32 v6, v8, v6
.LBB404_33:
	s_or_b64 exec, exec, s[0:1]
	v_mov_b32_e32 v9, v6
	v_mov_b32_e32 v8, v5
.LBB404_34:
	v_cmp_gt_u32_e32 vcc, 21, v0
	s_and_b64 exec, exec, vcc
	s_cbranch_execz .LBB404_39
; %bb.35:
	v_cmp_eq_f32_e32 vcc, 0, v1
	v_cmp_eq_f32_e64 s[0:1], 0, v2
	v_mul_f32_e64 v5, v9, -v4
	v_mul_f32_e32 v6, v3, v9
	s_and_b64 s[0:1], vcc, s[0:1]
	v_fmac_f32_e32 v5, v3, v8
	v_fmac_f32_e32 v6, v4, v8
	s_and_saveexec_b64 s[2:3], s[0:1]
	s_xor_b64 s[0:1], exec, s[2:3]
	s_cbranch_execz .LBB404_37
; %bb.36:
	v_mad_u64_u32 v[0:1], s[2:3], s6, 21, v[0:1]
	v_mov_b32_e32 v1, 0
	v_mov_b32_e32 v2, s13
	v_lshlrev_b64 v[0:1], 3, v[0:1]
	v_add_co_u32_e32 v0, vcc, s12, v0
	v_addc_co_u32_e32 v1, vcc, v2, v1, vcc
	global_store_dwordx2 v[0:1], v[5:6], off
                                        ; implicit-def: $vgpr0
                                        ; implicit-def: $vgpr1_vgpr2
                                        ; implicit-def: $vgpr5
.LBB404_37:
	s_andn2_saveexec_b64 s[0:1], s[0:1]
	s_cbranch_execz .LBB404_39
; %bb.38:
	v_mad_u64_u32 v[3:4], s[0:1], s6, 21, v[0:1]
	v_mov_b32_e32 v4, 0
	v_mov_b32_e32 v0, s13
	v_lshlrev_b64 v[3:4], 3, v[3:4]
	v_add_co_u32_e32 v3, vcc, s12, v3
	v_addc_co_u32_e32 v4, vcc, v0, v4, vcc
	global_load_dwordx2 v[7:8], v[3:4], off
	s_waitcnt vmcnt(0)
	v_fmac_f32_e32 v5, v1, v7
	v_fmac_f32_e32 v6, v2, v7
	v_fma_f32 v5, -v2, v8, v5
	v_fmac_f32_e32 v6, v1, v8
	global_store_dwordx2 v[3:4], v[5:6], off
.LBB404_39:
	s_endpgm
	.section	.rodata,"a",@progbits
	.p2align	6, 0x0
	.amdhsa_kernel _ZN9rocsparseL20bsrxmvn_17_32_kernelILj21E21rocsparse_complex_numIfElifS2_S2_EEvT2_20rocsparse_direction_NS_24const_host_device_scalarIT0_EES3_PKS3_PKT1_SC_S9_PKT3_PKT4_S7_PT5_21rocsparse_index_base_b
		.amdhsa_group_segment_fixed_size 3528
		.amdhsa_private_segment_fixed_size 0
		.amdhsa_kernarg_size 96
		.amdhsa_user_sgpr_count 6
		.amdhsa_user_sgpr_private_segment_buffer 1
		.amdhsa_user_sgpr_dispatch_ptr 0
		.amdhsa_user_sgpr_queue_ptr 0
		.amdhsa_user_sgpr_kernarg_segment_ptr 1
		.amdhsa_user_sgpr_dispatch_id 0
		.amdhsa_user_sgpr_flat_scratch_init 0
		.amdhsa_user_sgpr_private_segment_size 0
		.amdhsa_uses_dynamic_stack 0
		.amdhsa_system_sgpr_private_segment_wavefront_offset 0
		.amdhsa_system_sgpr_workgroup_id_x 1
		.amdhsa_system_sgpr_workgroup_id_y 0
		.amdhsa_system_sgpr_workgroup_id_z 0
		.amdhsa_system_sgpr_workgroup_info 0
		.amdhsa_system_vgpr_workitem_id 0
		.amdhsa_next_free_vgpr 25
		.amdhsa_next_free_sgpr 61
		.amdhsa_reserve_vcc 1
		.amdhsa_reserve_flat_scratch 0
		.amdhsa_float_round_mode_32 0
		.amdhsa_float_round_mode_16_64 0
		.amdhsa_float_denorm_mode_32 3
		.amdhsa_float_denorm_mode_16_64 3
		.amdhsa_dx10_clamp 1
		.amdhsa_ieee_mode 1
		.amdhsa_fp16_overflow 0
		.amdhsa_exception_fp_ieee_invalid_op 0
		.amdhsa_exception_fp_denorm_src 0
		.amdhsa_exception_fp_ieee_div_zero 0
		.amdhsa_exception_fp_ieee_overflow 0
		.amdhsa_exception_fp_ieee_underflow 0
		.amdhsa_exception_fp_ieee_inexact 0
		.amdhsa_exception_int_div_zero 0
	.end_amdhsa_kernel
	.section	.text._ZN9rocsparseL20bsrxmvn_17_32_kernelILj21E21rocsparse_complex_numIfElifS2_S2_EEvT2_20rocsparse_direction_NS_24const_host_device_scalarIT0_EES3_PKS3_PKT1_SC_S9_PKT3_PKT4_S7_PT5_21rocsparse_index_base_b,"axG",@progbits,_ZN9rocsparseL20bsrxmvn_17_32_kernelILj21E21rocsparse_complex_numIfElifS2_S2_EEvT2_20rocsparse_direction_NS_24const_host_device_scalarIT0_EES3_PKS3_PKT1_SC_S9_PKT3_PKT4_S7_PT5_21rocsparse_index_base_b,comdat
.Lfunc_end404:
	.size	_ZN9rocsparseL20bsrxmvn_17_32_kernelILj21E21rocsparse_complex_numIfElifS2_S2_EEvT2_20rocsparse_direction_NS_24const_host_device_scalarIT0_EES3_PKS3_PKT1_SC_S9_PKT3_PKT4_S7_PT5_21rocsparse_index_base_b, .Lfunc_end404-_ZN9rocsparseL20bsrxmvn_17_32_kernelILj21E21rocsparse_complex_numIfElifS2_S2_EEvT2_20rocsparse_direction_NS_24const_host_device_scalarIT0_EES3_PKS3_PKT1_SC_S9_PKT3_PKT4_S7_PT5_21rocsparse_index_base_b
                                        ; -- End function
	.set _ZN9rocsparseL20bsrxmvn_17_32_kernelILj21E21rocsparse_complex_numIfElifS2_S2_EEvT2_20rocsparse_direction_NS_24const_host_device_scalarIT0_EES3_PKS3_PKT1_SC_S9_PKT3_PKT4_S7_PT5_21rocsparse_index_base_b.num_vgpr, 20
	.set _ZN9rocsparseL20bsrxmvn_17_32_kernelILj21E21rocsparse_complex_numIfElifS2_S2_EEvT2_20rocsparse_direction_NS_24const_host_device_scalarIT0_EES3_PKS3_PKT1_SC_S9_PKT3_PKT4_S7_PT5_21rocsparse_index_base_b.num_agpr, 0
	.set _ZN9rocsparseL20bsrxmvn_17_32_kernelILj21E21rocsparse_complex_numIfElifS2_S2_EEvT2_20rocsparse_direction_NS_24const_host_device_scalarIT0_EES3_PKS3_PKT1_SC_S9_PKT3_PKT4_S7_PT5_21rocsparse_index_base_b.numbered_sgpr, 22
	.set _ZN9rocsparseL20bsrxmvn_17_32_kernelILj21E21rocsparse_complex_numIfElifS2_S2_EEvT2_20rocsparse_direction_NS_24const_host_device_scalarIT0_EES3_PKS3_PKT1_SC_S9_PKT3_PKT4_S7_PT5_21rocsparse_index_base_b.num_named_barrier, 0
	.set _ZN9rocsparseL20bsrxmvn_17_32_kernelILj21E21rocsparse_complex_numIfElifS2_S2_EEvT2_20rocsparse_direction_NS_24const_host_device_scalarIT0_EES3_PKS3_PKT1_SC_S9_PKT3_PKT4_S7_PT5_21rocsparse_index_base_b.private_seg_size, 0
	.set _ZN9rocsparseL20bsrxmvn_17_32_kernelILj21E21rocsparse_complex_numIfElifS2_S2_EEvT2_20rocsparse_direction_NS_24const_host_device_scalarIT0_EES3_PKS3_PKT1_SC_S9_PKT3_PKT4_S7_PT5_21rocsparse_index_base_b.uses_vcc, 1
	.set _ZN9rocsparseL20bsrxmvn_17_32_kernelILj21E21rocsparse_complex_numIfElifS2_S2_EEvT2_20rocsparse_direction_NS_24const_host_device_scalarIT0_EES3_PKS3_PKT1_SC_S9_PKT3_PKT4_S7_PT5_21rocsparse_index_base_b.uses_flat_scratch, 0
	.set _ZN9rocsparseL20bsrxmvn_17_32_kernelILj21E21rocsparse_complex_numIfElifS2_S2_EEvT2_20rocsparse_direction_NS_24const_host_device_scalarIT0_EES3_PKS3_PKT1_SC_S9_PKT3_PKT4_S7_PT5_21rocsparse_index_base_b.has_dyn_sized_stack, 0
	.set _ZN9rocsparseL20bsrxmvn_17_32_kernelILj21E21rocsparse_complex_numIfElifS2_S2_EEvT2_20rocsparse_direction_NS_24const_host_device_scalarIT0_EES3_PKS3_PKT1_SC_S9_PKT3_PKT4_S7_PT5_21rocsparse_index_base_b.has_recursion, 0
	.set _ZN9rocsparseL20bsrxmvn_17_32_kernelILj21E21rocsparse_complex_numIfElifS2_S2_EEvT2_20rocsparse_direction_NS_24const_host_device_scalarIT0_EES3_PKS3_PKT1_SC_S9_PKT3_PKT4_S7_PT5_21rocsparse_index_base_b.has_indirect_call, 0
	.section	.AMDGPU.csdata,"",@progbits
; Kernel info:
; codeLenInByte = 1492
; TotalNumSgprs: 26
; NumVgprs: 20
; ScratchSize: 0
; MemoryBound: 0
; FloatMode: 240
; IeeeMode: 1
; LDSByteSize: 3528 bytes/workgroup (compile time only)
; SGPRBlocks: 8
; VGPRBlocks: 6
; NumSGPRsForWavesPerEU: 65
; NumVGPRsForWavesPerEU: 25
; Occupancy: 9
; WaveLimiterHint : 1
; COMPUTE_PGM_RSRC2:SCRATCH_EN: 0
; COMPUTE_PGM_RSRC2:USER_SGPR: 6
; COMPUTE_PGM_RSRC2:TRAP_HANDLER: 0
; COMPUTE_PGM_RSRC2:TGID_X_EN: 1
; COMPUTE_PGM_RSRC2:TGID_Y_EN: 0
; COMPUTE_PGM_RSRC2:TGID_Z_EN: 0
; COMPUTE_PGM_RSRC2:TIDIG_COMP_CNT: 0
	.section	.text._ZN9rocsparseL20bsrxmvn_17_32_kernelILj22E21rocsparse_complex_numIfElifS2_S2_EEvT2_20rocsparse_direction_NS_24const_host_device_scalarIT0_EES3_PKS3_PKT1_SC_S9_PKT3_PKT4_S7_PT5_21rocsparse_index_base_b,"axG",@progbits,_ZN9rocsparseL20bsrxmvn_17_32_kernelILj22E21rocsparse_complex_numIfElifS2_S2_EEvT2_20rocsparse_direction_NS_24const_host_device_scalarIT0_EES3_PKS3_PKT1_SC_S9_PKT3_PKT4_S7_PT5_21rocsparse_index_base_b,comdat
	.globl	_ZN9rocsparseL20bsrxmvn_17_32_kernelILj22E21rocsparse_complex_numIfElifS2_S2_EEvT2_20rocsparse_direction_NS_24const_host_device_scalarIT0_EES3_PKS3_PKT1_SC_S9_PKT3_PKT4_S7_PT5_21rocsparse_index_base_b ; -- Begin function _ZN9rocsparseL20bsrxmvn_17_32_kernelILj22E21rocsparse_complex_numIfElifS2_S2_EEvT2_20rocsparse_direction_NS_24const_host_device_scalarIT0_EES3_PKS3_PKT1_SC_S9_PKT3_PKT4_S7_PT5_21rocsparse_index_base_b
	.p2align	8
	.type	_ZN9rocsparseL20bsrxmvn_17_32_kernelILj22E21rocsparse_complex_numIfElifS2_S2_EEvT2_20rocsparse_direction_NS_24const_host_device_scalarIT0_EES3_PKS3_PKT1_SC_S9_PKT3_PKT4_S7_PT5_21rocsparse_index_base_b,@function
_ZN9rocsparseL20bsrxmvn_17_32_kernelILj22E21rocsparse_complex_numIfElifS2_S2_EEvT2_20rocsparse_direction_NS_24const_host_device_scalarIT0_EES3_PKS3_PKT1_SC_S9_PKT3_PKT4_S7_PT5_21rocsparse_index_base_b: ; @_ZN9rocsparseL20bsrxmvn_17_32_kernelILj22E21rocsparse_complex_numIfElifS2_S2_EEvT2_20rocsparse_direction_NS_24const_host_device_scalarIT0_EES3_PKS3_PKT1_SC_S9_PKT3_PKT4_S7_PT5_21rocsparse_index_base_b
; %bb.0:
	s_load_dwordx2 s[0:1], s[4:5], 0x8
	s_load_dwordx2 s[14:15], s[4:5], 0x58
	s_add_u32 s7, s4, 8
	s_addc_u32 s8, s5, 0
	s_add_u32 s9, s4, 0x48
	s_load_dwordx2 s[2:3], s[4:5], 0x48
	s_addc_u32 s10, s5, 0
	s_waitcnt lgkmcnt(0)
	s_bitcmp1_b32 s15, 0
	s_cselect_b32 s1, s8, s1
	s_cselect_b32 s0, s7, s0
	v_mov_b32_e32 v1, s0
	v_mov_b32_e32 v2, s1
	flat_load_dwordx2 v[3:4], v[1:2]
	s_cselect_b32 s0, s10, s3
	s_cselect_b32 s1, s9, s2
	v_mov_b32_e32 v1, s1
	v_mov_b32_e32 v2, s0
	flat_load_dwordx2 v[1:2], v[1:2]
	s_waitcnt vmcnt(0) lgkmcnt(0)
	v_cmp_eq_f32_e32 vcc, 0, v3
	v_cmp_eq_f32_e64 s[0:1], 0, v4
	s_and_b64 s[8:9], vcc, s[0:1]
	s_mov_b64 s[0:1], -1
	s_and_saveexec_b64 s[2:3], s[8:9]
; %bb.1:
	v_cmp_neq_f32_e32 vcc, 1.0, v1
	v_cmp_neq_f32_e64 s[0:1], 0, v2
	s_or_b64 s[0:1], vcc, s[0:1]
	s_orn2_b64 s[0:1], s[0:1], exec
; %bb.2:
	s_or_b64 exec, exec, s[2:3]
	s_and_saveexec_b64 s[2:3], s[0:1]
	s_cbranch_execz .LBB405_39
; %bb.3:
	s_load_dwordx4 s[0:3], s[4:5], 0x18
	s_load_dwordx2 s[8:9], s[4:5], 0x28
	s_waitcnt lgkmcnt(0)
	s_cmp_eq_u64 s[0:1], 0
	s_cbranch_scc1 .LBB405_5
; %bb.4:
	s_ashr_i32 s7, s6, 31
	s_lshl_b64 s[6:7], s[6:7], 2
	s_add_u32 s0, s0, s6
	s_addc_u32 s1, s1, s7
	s_load_dword s0, s[0:1], 0x0
	s_waitcnt lgkmcnt(0)
	s_sub_i32 s6, s0, s14
.LBB405_5:
	s_load_dword s7, s[4:5], 0x4
	s_load_dwordx2 s[12:13], s[4:5], 0x50
	v_mul_u32_u24_e32 v7, 0xba3, v0
	v_mov_b32_e32 v8, 22
	v_mul_lo_u16_sdwa v5, v7, v8 dst_sel:DWORD dst_unused:UNUSED_PAD src0_sel:WORD_1 src1_sel:DWORD
	s_waitcnt lgkmcnt(0)
	s_cmp_eq_u32 s7, 1
	s_cselect_b64 s[0:1], -1, 0
	s_cmp_lg_u32 s7, 1
	s_cselect_b64 s[16:17], -1, 0
	s_ashr_i32 s7, s6, 31
	s_lshl_b64 s[10:11], s[6:7], 3
	s_add_u32 s2, s2, s10
	s_addc_u32 s3, s3, s11
	s_add_u32 s7, s2, 8
	s_addc_u32 s15, s3, 0
	;; [unrolled: 2-line block ×3, first 2 shown]
	s_cmp_eq_u64 s[8:9], 0
	s_cselect_b32 s9, s15, s11
	s_cselect_b32 s8, s7, s10
	s_load_dwordx2 s[18:19], s[8:9], 0x0
	s_load_dwordx2 s[20:21], s[2:3], 0x0
	v_sub_u16_e32 v14, v0, v5
	s_waitcnt lgkmcnt(0)
	v_mov_b32_e32 v5, s18
	v_mov_b32_e32 v6, s19
	v_cmp_ge_i64_e32 vcc, s[20:21], v[5:6]
	v_mov_b32_e32 v6, 0
	v_mov_b32_e32 v5, 0
	s_cbranch_vccnz .LBB405_10
; %bb.6:
	v_mov_b32_e32 v5, 12
	s_load_dwordx4 s[8:11], s[4:5], 0x30
	s_load_dwordx2 s[2:3], s[4:5], 0x40
	s_sub_u32 s4, s18, s14
	v_mul_lo_u16_sdwa v5, v7, v5 dst_sel:DWORD dst_unused:UNUSED_PAD src0_sel:WORD_1 src1_sel:DWORD
	s_subb_u32 s5, s19, 0
	v_mul_lo_u16_sdwa v5, v5, v8 dst_sel:DWORD dst_unused:UNUSED_PAD src0_sel:BYTE_1 src1_sel:DWORD
	v_sub_u16_sdwa v5, v7, v5 dst_sel:DWORD dst_unused:UNUSED_PAD src0_sel:WORD_1 src1_sel:DWORD
	s_sub_u32 s18, s20, s14
	v_and_b32_e32 v5, 0xff, v5
	s_subb_u32 s19, s21, 0
	v_cndmask_b32_e64 v7, v14, v5, s[0:1]
	s_mul_i32 s0, s19, 0x790
	s_mul_hi_u32 s1, s18, 0x790
	s_add_i32 s1, s1, s0
	s_mul_i32 s0, s18, 0x790
	s_waitcnt lgkmcnt(0)
	s_add_u32 s0, s10, s0
	v_lshlrev_b32_e32 v5, 2, v0
	s_addc_u32 s1, s11, s1
	v_add_co_u32_e32 v8, vcc, s0, v5
	s_movk_i32 s0, 0x10f
	v_mov_b32_e32 v9, s1
	v_mul_u32_u24_sdwa v5, v0, s0 dst_sel:DWORD dst_unused:UNUSED_PAD src0_sel:WORD_0 src1_sel:DWORD
	v_addc_co_u32_e32 v9, vcc, 0, v9, vcc
	v_lshrrev_b32_e32 v15, 17, v5
	v_mov_b32_e32 v5, s21
	v_add_co_u32_e32 v10, vcc, s20, v15
	v_addc_co_u32_e32 v5, vcc, 0, v5, vcc
	v_subrev_co_u32_e32 v10, vcc, s14, v10
	v_subbrev_co_u32_e32 v11, vcc, 0, v5, vcc
	v_lshlrev_b64 v[10:11], 2, v[10:11]
	v_mov_b32_e32 v6, 0
	v_mov_b32_e32 v5, s9
	v_add_co_u32_e32 v10, vcc, s8, v10
	v_mov_b32_e32 v13, s5
	v_addc_co_u32_e32 v11, vcc, v5, v11, vcc
	v_mov_b32_e32 v12, s4
	v_mov_b32_e32 v5, v6
	s_branch .LBB405_8
.LBB405_7:                              ;   in Loop: Header=BB405_8 Depth=1
	s_or_b64 exec, exec, s[0:1]
	s_add_u32 s18, s18, 1
	s_addc_u32 s19, s19, 0
	v_cmp_lt_i64_e32 vcc, s[18:19], v[12:13]
	v_add_co_u32_e64 v10, s[0:1], 4, v10
	v_addc_co_u32_e64 v11, s[0:1], 0, v11, s[0:1]
	s_cbranch_vccz .LBB405_10
.LBB405_8:                              ; =>This Inner Loop Header: Depth=1
	v_mov_b32_e32 v17, s19
	v_add_co_u32_e32 v16, vcc, s18, v15
	v_addc_co_u32_e32 v17, vcc, 0, v17, vcc
	v_cmp_gt_i64_e32 vcc, s[4:5], v[16:17]
	s_and_saveexec_b64 s[0:1], vcc
	s_cbranch_execz .LBB405_7
; %bb.9:                                ;   in Loop: Header=BB405_8 Depth=1
	global_load_dword v16, v[10:11], off
	v_mov_b32_e32 v19, s3
	global_load_dword v18, v[8:9], off
	s_waitcnt vmcnt(1)
	v_subrev_u32_e32 v16, s14, v16
	v_mad_u64_u32 v[16:17], s[8:9], v16, 22, v[7:8]
	v_ashrrev_i32_e32 v17, 31, v16
	v_lshlrev_b64 v[16:17], 3, v[16:17]
	v_add_co_u32_e32 v16, vcc, s2, v16
	v_addc_co_u32_e32 v17, vcc, v19, v17, vcc
	global_load_dwordx2 v[16:17], v[16:17], off
	v_add_co_u32_e32 v8, vcc, 0x790, v8
	v_addc_co_u32_e32 v9, vcc, 0, v9, vcc
	s_waitcnt vmcnt(0)
	v_fmac_f32_e32 v5, v18, v16
	v_fmac_f32_e32 v6, 0, v16
	;; [unrolled: 1-line block ×4, first 2 shown]
	s_branch .LBB405_7
.LBB405_10:
	v_lshlrev_b32_e32 v7, 3, v0
	s_and_b64 vcc, exec, s[16:17]
	ds_write_b64 v7, v[5:6]
	s_waitcnt lgkmcnt(0)
	s_barrier
	s_cbranch_vccz .LBB405_22
; %bb.11:
	v_cmp_gt_u16_e32 vcc, 6, v14
	s_and_saveexec_b64 s[0:1], vcc
	s_cbranch_execz .LBB405_13
; %bb.12:
	ds_read2_b64 v[8:11], v7 offset1:16
	s_waitcnt lgkmcnt(0)
	v_add_f32_e32 v8, v10, v8
	v_add_f32_e32 v9, v11, v9
	ds_write_b64 v7, v[8:9]
.LBB405_13:
	s_or_b64 exec, exec, s[0:1]
	v_cmp_gt_u16_e32 vcc, 8, v14
	s_waitcnt lgkmcnt(0)
	s_barrier
	s_and_saveexec_b64 s[0:1], vcc
	s_cbranch_execz .LBB405_15
; %bb.14:
	ds_read2_b64 v[8:11], v7 offset1:8
	s_waitcnt lgkmcnt(0)
	v_add_f32_e32 v8, v10, v8
	v_add_f32_e32 v9, v11, v9
	ds_write_b64 v7, v[8:9]
.LBB405_15:
	s_or_b64 exec, exec, s[0:1]
	v_cmp_gt_u16_e32 vcc, 4, v14
	s_waitcnt lgkmcnt(0)
	s_barrier
	;; [unrolled: 13-line block ×3, first 2 shown]
	s_and_saveexec_b64 s[0:1], vcc
	s_cbranch_execz .LBB405_19
; %bb.18:
	ds_read2_b64 v[8:11], v7 offset1:2
	s_waitcnt lgkmcnt(0)
	v_add_f32_e32 v8, v10, v8
	v_add_f32_e32 v9, v11, v9
	ds_write_b64 v7, v[8:9]
.LBB405_19:
	s_or_b64 exec, exec, s[0:1]
	v_cmp_gt_u32_e32 vcc, 22, v0
	v_mov_b32_e32 v9, v6
	v_mov_b32_e32 v8, v5
	s_waitcnt lgkmcnt(0)
	s_barrier
	s_and_saveexec_b64 s[0:1], vcc
	s_cbranch_execz .LBB405_21
; %bb.20:
	s_movk_i32 s2, 0xa8
	v_mad_u32_u24 v8, v0, s2, v7
	ds_read2_b64 v[8:11], v8 offset1:1
	s_waitcnt lgkmcnt(0)
	v_add_f32_e32 v8, v10, v8
	v_add_f32_e32 v9, v11, v9
.LBB405_21:
	s_or_b64 exec, exec, s[0:1]
	s_branch .LBB405_34
.LBB405_22:
                                        ; implicit-def: $vgpr9
                                        ; implicit-def: $vgpr8
	s_cbranch_execz .LBB405_34
; %bb.23:
	s_movk_i32 s0, 0x84
	v_cmp_gt_u32_e32 vcc, s0, v0
	s_and_saveexec_b64 s[0:1], vcc
	s_cbranch_execz .LBB405_25
; %bb.24:
	ds_read_b64 v[8:9], v7 offset:2816
	ds_read_b64 v[10:11], v7
	s_waitcnt lgkmcnt(0)
	v_add_f32_e32 v8, v8, v10
	v_add_f32_e32 v9, v9, v11
	ds_write_b64 v7, v[8:9]
.LBB405_25:
	s_or_b64 exec, exec, s[0:1]
	s_movk_i32 s0, 0xb0
	v_cmp_gt_u32_e32 vcc, s0, v0
	s_waitcnt lgkmcnt(0)
	s_barrier
	s_and_saveexec_b64 s[0:1], vcc
	s_cbranch_execz .LBB405_27
; %bb.26:
	ds_read2_b64 v[8:11], v7 offset1:176
	s_waitcnt lgkmcnt(0)
	v_add_f32_e32 v8, v10, v8
	v_add_f32_e32 v9, v11, v9
	ds_write_b64 v7, v[8:9]
.LBB405_27:
	s_or_b64 exec, exec, s[0:1]
	s_movk_i32 s0, 0x58
	v_cmp_gt_u32_e32 vcc, s0, v0
	s_waitcnt lgkmcnt(0)
	s_barrier
	s_and_saveexec_b64 s[0:1], vcc
	s_cbranch_execz .LBB405_29
; %bb.28:
	ds_read2_b64 v[8:11], v7 offset1:88
	s_waitcnt lgkmcnt(0)
	v_add_f32_e32 v8, v10, v8
	v_add_f32_e32 v9, v11, v9
	ds_write_b64 v7, v[8:9]
.LBB405_29:
	s_or_b64 exec, exec, s[0:1]
	v_cmp_gt_u32_e32 vcc, 44, v0
	s_waitcnt lgkmcnt(0)
	s_barrier
	s_and_saveexec_b64 s[0:1], vcc
	s_cbranch_execz .LBB405_31
; %bb.30:
	ds_read2_b64 v[8:11], v7 offset1:44
	s_waitcnt lgkmcnt(0)
	v_add_f32_e32 v8, v10, v8
	v_add_f32_e32 v9, v11, v9
	ds_write_b64 v7, v[8:9]
.LBB405_31:
	s_or_b64 exec, exec, s[0:1]
	v_cmp_gt_u32_e32 vcc, 22, v0
	s_waitcnt lgkmcnt(0)
	s_and_saveexec_b64 s[0:1], vcc
	s_cbranch_execz .LBB405_33
; %bb.32:
	ds_read2_b64 v[5:8], v7 offset1:22
	s_waitcnt lgkmcnt(0)
	v_add_f32_e32 v5, v7, v5
	v_add_f32_e32 v6, v8, v6
.LBB405_33:
	s_or_b64 exec, exec, s[0:1]
	v_mov_b32_e32 v9, v6
	v_mov_b32_e32 v8, v5
.LBB405_34:
	v_cmp_gt_u32_e32 vcc, 22, v0
	s_and_b64 exec, exec, vcc
	s_cbranch_execz .LBB405_39
; %bb.35:
	v_cmp_eq_f32_e32 vcc, 0, v1
	v_cmp_eq_f32_e64 s[0:1], 0, v2
	v_mul_f32_e64 v5, v9, -v4
	v_mul_f32_e32 v6, v3, v9
	s_and_b64 s[0:1], vcc, s[0:1]
	v_fmac_f32_e32 v5, v3, v8
	v_fmac_f32_e32 v6, v4, v8
	s_and_saveexec_b64 s[2:3], s[0:1]
	s_xor_b64 s[0:1], exec, s[2:3]
	s_cbranch_execz .LBB405_37
; %bb.36:
	v_mad_u64_u32 v[0:1], s[2:3], s6, 22, v[0:1]
	v_mov_b32_e32 v1, 0
	v_mov_b32_e32 v2, s13
	v_lshlrev_b64 v[0:1], 3, v[0:1]
	v_add_co_u32_e32 v0, vcc, s12, v0
	v_addc_co_u32_e32 v1, vcc, v2, v1, vcc
	global_store_dwordx2 v[0:1], v[5:6], off
                                        ; implicit-def: $vgpr0
                                        ; implicit-def: $vgpr1_vgpr2
                                        ; implicit-def: $vgpr5
.LBB405_37:
	s_andn2_saveexec_b64 s[0:1], s[0:1]
	s_cbranch_execz .LBB405_39
; %bb.38:
	v_mad_u64_u32 v[3:4], s[0:1], s6, 22, v[0:1]
	v_mov_b32_e32 v4, 0
	v_mov_b32_e32 v0, s13
	v_lshlrev_b64 v[3:4], 3, v[3:4]
	v_add_co_u32_e32 v3, vcc, s12, v3
	v_addc_co_u32_e32 v4, vcc, v0, v4, vcc
	global_load_dwordx2 v[7:8], v[3:4], off
	s_waitcnt vmcnt(0)
	v_fmac_f32_e32 v5, v1, v7
	v_fmac_f32_e32 v6, v2, v7
	v_fma_f32 v5, -v2, v8, v5
	v_fmac_f32_e32 v6, v1, v8
	global_store_dwordx2 v[3:4], v[5:6], off
.LBB405_39:
	s_endpgm
	.section	.rodata,"a",@progbits
	.p2align	6, 0x0
	.amdhsa_kernel _ZN9rocsparseL20bsrxmvn_17_32_kernelILj22E21rocsparse_complex_numIfElifS2_S2_EEvT2_20rocsparse_direction_NS_24const_host_device_scalarIT0_EES3_PKS3_PKT1_SC_S9_PKT3_PKT4_S7_PT5_21rocsparse_index_base_b
		.amdhsa_group_segment_fixed_size 3872
		.amdhsa_private_segment_fixed_size 0
		.amdhsa_kernarg_size 96
		.amdhsa_user_sgpr_count 6
		.amdhsa_user_sgpr_private_segment_buffer 1
		.amdhsa_user_sgpr_dispatch_ptr 0
		.amdhsa_user_sgpr_queue_ptr 0
		.amdhsa_user_sgpr_kernarg_segment_ptr 1
		.amdhsa_user_sgpr_dispatch_id 0
		.amdhsa_user_sgpr_flat_scratch_init 0
		.amdhsa_user_sgpr_private_segment_size 0
		.amdhsa_uses_dynamic_stack 0
		.amdhsa_system_sgpr_private_segment_wavefront_offset 0
		.amdhsa_system_sgpr_workgroup_id_x 1
		.amdhsa_system_sgpr_workgroup_id_y 0
		.amdhsa_system_sgpr_workgroup_id_z 0
		.amdhsa_system_sgpr_workgroup_info 0
		.amdhsa_system_vgpr_workitem_id 0
		.amdhsa_next_free_vgpr 20
		.amdhsa_next_free_sgpr 22
		.amdhsa_reserve_vcc 1
		.amdhsa_reserve_flat_scratch 0
		.amdhsa_float_round_mode_32 0
		.amdhsa_float_round_mode_16_64 0
		.amdhsa_float_denorm_mode_32 3
		.amdhsa_float_denorm_mode_16_64 3
		.amdhsa_dx10_clamp 1
		.amdhsa_ieee_mode 1
		.amdhsa_fp16_overflow 0
		.amdhsa_exception_fp_ieee_invalid_op 0
		.amdhsa_exception_fp_denorm_src 0
		.amdhsa_exception_fp_ieee_div_zero 0
		.amdhsa_exception_fp_ieee_overflow 0
		.amdhsa_exception_fp_ieee_underflow 0
		.amdhsa_exception_fp_ieee_inexact 0
		.amdhsa_exception_int_div_zero 0
	.end_amdhsa_kernel
	.section	.text._ZN9rocsparseL20bsrxmvn_17_32_kernelILj22E21rocsparse_complex_numIfElifS2_S2_EEvT2_20rocsparse_direction_NS_24const_host_device_scalarIT0_EES3_PKS3_PKT1_SC_S9_PKT3_PKT4_S7_PT5_21rocsparse_index_base_b,"axG",@progbits,_ZN9rocsparseL20bsrxmvn_17_32_kernelILj22E21rocsparse_complex_numIfElifS2_S2_EEvT2_20rocsparse_direction_NS_24const_host_device_scalarIT0_EES3_PKS3_PKT1_SC_S9_PKT3_PKT4_S7_PT5_21rocsparse_index_base_b,comdat
.Lfunc_end405:
	.size	_ZN9rocsparseL20bsrxmvn_17_32_kernelILj22E21rocsparse_complex_numIfElifS2_S2_EEvT2_20rocsparse_direction_NS_24const_host_device_scalarIT0_EES3_PKS3_PKT1_SC_S9_PKT3_PKT4_S7_PT5_21rocsparse_index_base_b, .Lfunc_end405-_ZN9rocsparseL20bsrxmvn_17_32_kernelILj22E21rocsparse_complex_numIfElifS2_S2_EEvT2_20rocsparse_direction_NS_24const_host_device_scalarIT0_EES3_PKS3_PKT1_SC_S9_PKT3_PKT4_S7_PT5_21rocsparse_index_base_b
                                        ; -- End function
	.set _ZN9rocsparseL20bsrxmvn_17_32_kernelILj22E21rocsparse_complex_numIfElifS2_S2_EEvT2_20rocsparse_direction_NS_24const_host_device_scalarIT0_EES3_PKS3_PKT1_SC_S9_PKT3_PKT4_S7_PT5_21rocsparse_index_base_b.num_vgpr, 20
	.set _ZN9rocsparseL20bsrxmvn_17_32_kernelILj22E21rocsparse_complex_numIfElifS2_S2_EEvT2_20rocsparse_direction_NS_24const_host_device_scalarIT0_EES3_PKS3_PKT1_SC_S9_PKT3_PKT4_S7_PT5_21rocsparse_index_base_b.num_agpr, 0
	.set _ZN9rocsparseL20bsrxmvn_17_32_kernelILj22E21rocsparse_complex_numIfElifS2_S2_EEvT2_20rocsparse_direction_NS_24const_host_device_scalarIT0_EES3_PKS3_PKT1_SC_S9_PKT3_PKT4_S7_PT5_21rocsparse_index_base_b.numbered_sgpr, 22
	.set _ZN9rocsparseL20bsrxmvn_17_32_kernelILj22E21rocsparse_complex_numIfElifS2_S2_EEvT2_20rocsparse_direction_NS_24const_host_device_scalarIT0_EES3_PKS3_PKT1_SC_S9_PKT3_PKT4_S7_PT5_21rocsparse_index_base_b.num_named_barrier, 0
	.set _ZN9rocsparseL20bsrxmvn_17_32_kernelILj22E21rocsparse_complex_numIfElifS2_S2_EEvT2_20rocsparse_direction_NS_24const_host_device_scalarIT0_EES3_PKS3_PKT1_SC_S9_PKT3_PKT4_S7_PT5_21rocsparse_index_base_b.private_seg_size, 0
	.set _ZN9rocsparseL20bsrxmvn_17_32_kernelILj22E21rocsparse_complex_numIfElifS2_S2_EEvT2_20rocsparse_direction_NS_24const_host_device_scalarIT0_EES3_PKS3_PKT1_SC_S9_PKT3_PKT4_S7_PT5_21rocsparse_index_base_b.uses_vcc, 1
	.set _ZN9rocsparseL20bsrxmvn_17_32_kernelILj22E21rocsparse_complex_numIfElifS2_S2_EEvT2_20rocsparse_direction_NS_24const_host_device_scalarIT0_EES3_PKS3_PKT1_SC_S9_PKT3_PKT4_S7_PT5_21rocsparse_index_base_b.uses_flat_scratch, 0
	.set _ZN9rocsparseL20bsrxmvn_17_32_kernelILj22E21rocsparse_complex_numIfElifS2_S2_EEvT2_20rocsparse_direction_NS_24const_host_device_scalarIT0_EES3_PKS3_PKT1_SC_S9_PKT3_PKT4_S7_PT5_21rocsparse_index_base_b.has_dyn_sized_stack, 0
	.set _ZN9rocsparseL20bsrxmvn_17_32_kernelILj22E21rocsparse_complex_numIfElifS2_S2_EEvT2_20rocsparse_direction_NS_24const_host_device_scalarIT0_EES3_PKS3_PKT1_SC_S9_PKT3_PKT4_S7_PT5_21rocsparse_index_base_b.has_recursion, 0
	.set _ZN9rocsparseL20bsrxmvn_17_32_kernelILj22E21rocsparse_complex_numIfElifS2_S2_EEvT2_20rocsparse_direction_NS_24const_host_device_scalarIT0_EES3_PKS3_PKT1_SC_S9_PKT3_PKT4_S7_PT5_21rocsparse_index_base_b.has_indirect_call, 0
	.section	.AMDGPU.csdata,"",@progbits
; Kernel info:
; codeLenInByte = 1492
; TotalNumSgprs: 26
; NumVgprs: 20
; ScratchSize: 0
; MemoryBound: 0
; FloatMode: 240
; IeeeMode: 1
; LDSByteSize: 3872 bytes/workgroup (compile time only)
; SGPRBlocks: 3
; VGPRBlocks: 4
; NumSGPRsForWavesPerEU: 26
; NumVGPRsForWavesPerEU: 20
; Occupancy: 10
; WaveLimiterHint : 1
; COMPUTE_PGM_RSRC2:SCRATCH_EN: 0
; COMPUTE_PGM_RSRC2:USER_SGPR: 6
; COMPUTE_PGM_RSRC2:TRAP_HANDLER: 0
; COMPUTE_PGM_RSRC2:TGID_X_EN: 1
; COMPUTE_PGM_RSRC2:TGID_Y_EN: 0
; COMPUTE_PGM_RSRC2:TGID_Z_EN: 0
; COMPUTE_PGM_RSRC2:TIDIG_COMP_CNT: 0
	.section	.text._ZN9rocsparseL20bsrxmvn_17_32_kernelILj23E21rocsparse_complex_numIfElifS2_S2_EEvT2_20rocsparse_direction_NS_24const_host_device_scalarIT0_EES3_PKS3_PKT1_SC_S9_PKT3_PKT4_S7_PT5_21rocsparse_index_base_b,"axG",@progbits,_ZN9rocsparseL20bsrxmvn_17_32_kernelILj23E21rocsparse_complex_numIfElifS2_S2_EEvT2_20rocsparse_direction_NS_24const_host_device_scalarIT0_EES3_PKS3_PKT1_SC_S9_PKT3_PKT4_S7_PT5_21rocsparse_index_base_b,comdat
	.globl	_ZN9rocsparseL20bsrxmvn_17_32_kernelILj23E21rocsparse_complex_numIfElifS2_S2_EEvT2_20rocsparse_direction_NS_24const_host_device_scalarIT0_EES3_PKS3_PKT1_SC_S9_PKT3_PKT4_S7_PT5_21rocsparse_index_base_b ; -- Begin function _ZN9rocsparseL20bsrxmvn_17_32_kernelILj23E21rocsparse_complex_numIfElifS2_S2_EEvT2_20rocsparse_direction_NS_24const_host_device_scalarIT0_EES3_PKS3_PKT1_SC_S9_PKT3_PKT4_S7_PT5_21rocsparse_index_base_b
	.p2align	8
	.type	_ZN9rocsparseL20bsrxmvn_17_32_kernelILj23E21rocsparse_complex_numIfElifS2_S2_EEvT2_20rocsparse_direction_NS_24const_host_device_scalarIT0_EES3_PKS3_PKT1_SC_S9_PKT3_PKT4_S7_PT5_21rocsparse_index_base_b,@function
_ZN9rocsparseL20bsrxmvn_17_32_kernelILj23E21rocsparse_complex_numIfElifS2_S2_EEvT2_20rocsparse_direction_NS_24const_host_device_scalarIT0_EES3_PKS3_PKT1_SC_S9_PKT3_PKT4_S7_PT5_21rocsparse_index_base_b: ; @_ZN9rocsparseL20bsrxmvn_17_32_kernelILj23E21rocsparse_complex_numIfElifS2_S2_EEvT2_20rocsparse_direction_NS_24const_host_device_scalarIT0_EES3_PKS3_PKT1_SC_S9_PKT3_PKT4_S7_PT5_21rocsparse_index_base_b
; %bb.0:
	s_load_dwordx2 s[0:1], s[4:5], 0x8
	s_load_dwordx2 s[14:15], s[4:5], 0x58
	s_add_u32 s7, s4, 8
	s_addc_u32 s8, s5, 0
	s_add_u32 s9, s4, 0x48
	s_load_dwordx2 s[2:3], s[4:5], 0x48
	s_addc_u32 s10, s5, 0
	s_waitcnt lgkmcnt(0)
	s_bitcmp1_b32 s15, 0
	s_cselect_b32 s1, s8, s1
	s_cselect_b32 s0, s7, s0
	v_mov_b32_e32 v1, s0
	v_mov_b32_e32 v2, s1
	flat_load_dwordx2 v[3:4], v[1:2]
	s_cselect_b32 s0, s10, s3
	s_cselect_b32 s1, s9, s2
	v_mov_b32_e32 v1, s1
	v_mov_b32_e32 v2, s0
	flat_load_dwordx2 v[1:2], v[1:2]
	s_waitcnt vmcnt(0) lgkmcnt(0)
	v_cmp_eq_f32_e32 vcc, 0, v3
	v_cmp_eq_f32_e64 s[0:1], 0, v4
	s_and_b64 s[8:9], vcc, s[0:1]
	s_mov_b64 s[0:1], -1
	s_and_saveexec_b64 s[2:3], s[8:9]
; %bb.1:
	v_cmp_neq_f32_e32 vcc, 1.0, v1
	v_cmp_neq_f32_e64 s[0:1], 0, v2
	s_or_b64 s[0:1], vcc, s[0:1]
	s_orn2_b64 s[0:1], s[0:1], exec
; %bb.2:
	s_or_b64 exec, exec, s[2:3]
	s_and_saveexec_b64 s[2:3], s[0:1]
	s_cbranch_execz .LBB406_39
; %bb.3:
	s_load_dwordx4 s[0:3], s[4:5], 0x18
	s_load_dwordx2 s[8:9], s[4:5], 0x28
	s_waitcnt lgkmcnt(0)
	s_cmp_eq_u64 s[0:1], 0
	s_cbranch_scc1 .LBB406_5
; %bb.4:
	s_ashr_i32 s7, s6, 31
	s_lshl_b64 s[6:7], s[6:7], 2
	s_add_u32 s0, s0, s6
	s_addc_u32 s1, s1, s7
	s_load_dword s0, s[0:1], 0x0
	s_waitcnt lgkmcnt(0)
	s_sub_i32 s6, s0, s14
.LBB406_5:
	s_load_dword s7, s[4:5], 0x4
	s_load_dwordx2 s[12:13], s[4:5], 0x50
	v_mul_u32_u24_e32 v7, 0xb22, v0
	v_mov_b32_e32 v5, 23
	v_mul_lo_u16_sdwa v5, v7, v5 dst_sel:DWORD dst_unused:UNUSED_PAD src0_sel:WORD_1 src1_sel:DWORD
	s_waitcnt lgkmcnt(0)
	s_cmp_eq_u32 s7, 1
	s_cselect_b64 s[0:1], -1, 0
	s_cmp_lg_u32 s7, 1
	s_cselect_b64 s[16:17], -1, 0
	s_ashr_i32 s7, s6, 31
	s_lshl_b64 s[10:11], s[6:7], 3
	s_add_u32 s2, s2, s10
	s_addc_u32 s3, s3, s11
	s_add_u32 s7, s2, 8
	s_addc_u32 s15, s3, 0
	;; [unrolled: 2-line block ×3, first 2 shown]
	s_cmp_eq_u64 s[8:9], 0
	s_cselect_b32 s9, s15, s11
	s_cselect_b32 s8, s7, s10
	s_load_dwordx2 s[18:19], s[8:9], 0x0
	s_load_dwordx2 s[20:21], s[2:3], 0x0
	v_sub_u16_e32 v14, v0, v5
	s_waitcnt lgkmcnt(0)
	v_mov_b32_e32 v5, s18
	v_mov_b32_e32 v6, s19
	v_cmp_ge_i64_e32 vcc, s[20:21], v[5:6]
	v_mov_b32_e32 v6, 0
	v_mov_b32_e32 v5, 0
	s_cbranch_vccnz .LBB406_10
; %bb.6:
	s_load_dwordx4 s[8:11], s[4:5], 0x30
	s_load_dwordx2 s[2:3], s[4:5], 0x40
	s_sub_u32 s4, s18, s14
	s_mov_b32 s7, 0xffff
	s_subb_u32 s5, s19, 0
	s_movk_i32 s15, 0x211
	v_and_b32_sdwa v5, s7, v7 dst_sel:DWORD dst_unused:UNUSED_PAD src0_sel:DWORD src1_sel:WORD_1
	v_subrev_u32_e32 v6, 23, v5
	v_cmp_gt_u32_e32 vcc, s15, v0
	s_sub_u32 s18, s20, s14
	v_cndmask_b32_e32 v5, v6, v5, vcc
	s_subb_u32 s19, s21, 0
	v_cndmask_b32_e64 v7, v14, v5, s[0:1]
	s_mul_i32 s0, s19, 0x844
	s_mul_hi_u32 s1, s18, 0x844
	s_add_i32 s1, s1, s0
	s_mul_i32 s0, s18, 0x844
	s_waitcnt lgkmcnt(0)
	s_add_u32 s0, s10, s0
	s_addc_u32 s1, s11, s1
	v_lshlrev_b32_e32 v5, 2, v0
	v_mov_b32_e32 v9, s1
	v_add_co_u32_e32 v8, vcc, s0, v5
	v_addc_co_u32_e32 v9, vcc, 0, v9, vcc
	s_movk_i32 s0, 0x210
	v_cmp_lt_u32_e32 vcc, s0, v0
	v_cndmask_b32_e64 v15, 0, 1, vcc
	v_mov_b32_e32 v5, s21
	v_add_co_u32_e32 v10, vcc, s20, v15
	v_addc_co_u32_e32 v5, vcc, 0, v5, vcc
	v_subrev_co_u32_e32 v10, vcc, s14, v10
	v_subbrev_co_u32_e32 v11, vcc, 0, v5, vcc
	v_lshlrev_b64 v[10:11], 2, v[10:11]
	v_mov_b32_e32 v6, 0
	v_mov_b32_e32 v5, s9
	v_add_co_u32_e32 v10, vcc, s8, v10
	v_mov_b32_e32 v13, s5
	v_addc_co_u32_e32 v11, vcc, v5, v11, vcc
	v_mov_b32_e32 v12, s4
	v_mov_b32_e32 v5, v6
	s_branch .LBB406_8
.LBB406_7:                              ;   in Loop: Header=BB406_8 Depth=1
	s_or_b64 exec, exec, s[0:1]
	s_add_u32 s18, s18, 1
	s_addc_u32 s19, s19, 0
	v_cmp_lt_i64_e32 vcc, s[18:19], v[12:13]
	v_add_co_u32_e64 v10, s[0:1], 4, v10
	v_addc_co_u32_e64 v11, s[0:1], 0, v11, s[0:1]
	s_cbranch_vccz .LBB406_10
.LBB406_8:                              ; =>This Inner Loop Header: Depth=1
	v_mov_b32_e32 v17, s19
	v_add_co_u32_e32 v16, vcc, s18, v15
	v_addc_co_u32_e32 v17, vcc, 0, v17, vcc
	v_cmp_gt_i64_e32 vcc, s[4:5], v[16:17]
	s_and_saveexec_b64 s[0:1], vcc
	s_cbranch_execz .LBB406_7
; %bb.9:                                ;   in Loop: Header=BB406_8 Depth=1
	global_load_dword v16, v[10:11], off
	v_mov_b32_e32 v19, s3
	global_load_dword v18, v[8:9], off
	s_waitcnt vmcnt(1)
	v_subrev_u32_e32 v16, s14, v16
	v_mad_u64_u32 v[16:17], s[8:9], v16, 23, v[7:8]
	v_ashrrev_i32_e32 v17, 31, v16
	v_lshlrev_b64 v[16:17], 3, v[16:17]
	v_add_co_u32_e32 v16, vcc, s2, v16
	v_addc_co_u32_e32 v17, vcc, v19, v17, vcc
	global_load_dwordx2 v[16:17], v[16:17], off
	v_add_co_u32_e32 v8, vcc, 0x844, v8
	v_addc_co_u32_e32 v9, vcc, 0, v9, vcc
	s_waitcnt vmcnt(0)
	v_fmac_f32_e32 v5, v18, v16
	v_fmac_f32_e32 v6, 0, v16
	;; [unrolled: 1-line block ×4, first 2 shown]
	s_branch .LBB406_7
.LBB406_10:
	v_lshlrev_b32_e32 v7, 3, v0
	s_and_b64 vcc, exec, s[16:17]
	ds_write_b64 v7, v[5:6]
	s_waitcnt lgkmcnt(0)
	s_barrier
	s_cbranch_vccz .LBB406_22
; %bb.11:
	v_cmp_gt_u16_e32 vcc, 7, v14
	s_and_saveexec_b64 s[0:1], vcc
	s_cbranch_execz .LBB406_13
; %bb.12:
	ds_read2_b64 v[8:11], v7 offset1:16
	s_waitcnt lgkmcnt(0)
	v_add_f32_e32 v8, v10, v8
	v_add_f32_e32 v9, v11, v9
	ds_write_b64 v7, v[8:9]
.LBB406_13:
	s_or_b64 exec, exec, s[0:1]
	v_cmp_gt_u16_e32 vcc, 8, v14
	s_waitcnt lgkmcnt(0)
	s_barrier
	s_and_saveexec_b64 s[0:1], vcc
	s_cbranch_execz .LBB406_15
; %bb.14:
	ds_read2_b64 v[8:11], v7 offset1:8
	s_waitcnt lgkmcnt(0)
	v_add_f32_e32 v8, v10, v8
	v_add_f32_e32 v9, v11, v9
	ds_write_b64 v7, v[8:9]
.LBB406_15:
	s_or_b64 exec, exec, s[0:1]
	v_cmp_gt_u16_e32 vcc, 4, v14
	s_waitcnt lgkmcnt(0)
	s_barrier
	;; [unrolled: 13-line block ×3, first 2 shown]
	s_and_saveexec_b64 s[0:1], vcc
	s_cbranch_execz .LBB406_19
; %bb.18:
	ds_read2_b64 v[8:11], v7 offset1:2
	s_waitcnt lgkmcnt(0)
	v_add_f32_e32 v8, v10, v8
	v_add_f32_e32 v9, v11, v9
	ds_write_b64 v7, v[8:9]
.LBB406_19:
	s_or_b64 exec, exec, s[0:1]
	v_cmp_gt_u32_e32 vcc, 23, v0
	v_mov_b32_e32 v9, v6
	v_mov_b32_e32 v8, v5
	s_waitcnt lgkmcnt(0)
	s_barrier
	s_and_saveexec_b64 s[0:1], vcc
	s_cbranch_execz .LBB406_21
; %bb.20:
	s_movk_i32 s2, 0xb0
	v_mad_u32_u24 v8, v0, s2, v7
	ds_read2_b64 v[8:11], v8 offset1:1
	s_waitcnt lgkmcnt(0)
	v_add_f32_e32 v8, v10, v8
	v_add_f32_e32 v9, v11, v9
.LBB406_21:
	s_or_b64 exec, exec, s[0:1]
	s_branch .LBB406_34
.LBB406_22:
                                        ; implicit-def: $vgpr9
                                        ; implicit-def: $vgpr8
	s_cbranch_execz .LBB406_34
; %bb.23:
	s_movk_i32 s0, 0xa1
	v_cmp_gt_u32_e32 vcc, s0, v0
	s_and_saveexec_b64 s[0:1], vcc
	s_cbranch_execz .LBB406_25
; %bb.24:
	ds_read_b64 v[8:9], v7 offset:2944
	ds_read_b64 v[10:11], v7
	s_waitcnt lgkmcnt(0)
	v_add_f32_e32 v8, v8, v10
	v_add_f32_e32 v9, v9, v11
	ds_write_b64 v7, v[8:9]
.LBB406_25:
	s_or_b64 exec, exec, s[0:1]
	s_movk_i32 s0, 0xb8
	v_cmp_gt_u32_e32 vcc, s0, v0
	s_waitcnt lgkmcnt(0)
	s_barrier
	s_and_saveexec_b64 s[0:1], vcc
	s_cbranch_execz .LBB406_27
; %bb.26:
	ds_read2_b64 v[8:11], v7 offset1:184
	s_waitcnt lgkmcnt(0)
	v_add_f32_e32 v8, v10, v8
	v_add_f32_e32 v9, v11, v9
	ds_write_b64 v7, v[8:9]
.LBB406_27:
	s_or_b64 exec, exec, s[0:1]
	s_movk_i32 s0, 0x5c
	v_cmp_gt_u32_e32 vcc, s0, v0
	s_waitcnt lgkmcnt(0)
	s_barrier
	s_and_saveexec_b64 s[0:1], vcc
	s_cbranch_execz .LBB406_29
; %bb.28:
	ds_read2_b64 v[8:11], v7 offset1:92
	s_waitcnt lgkmcnt(0)
	v_add_f32_e32 v8, v10, v8
	v_add_f32_e32 v9, v11, v9
	ds_write_b64 v7, v[8:9]
.LBB406_29:
	s_or_b64 exec, exec, s[0:1]
	v_cmp_gt_u32_e32 vcc, 46, v0
	s_waitcnt lgkmcnt(0)
	s_barrier
	s_and_saveexec_b64 s[0:1], vcc
	s_cbranch_execz .LBB406_31
; %bb.30:
	ds_read2_b64 v[8:11], v7 offset1:46
	s_waitcnt lgkmcnt(0)
	v_add_f32_e32 v8, v10, v8
	v_add_f32_e32 v9, v11, v9
	ds_write_b64 v7, v[8:9]
.LBB406_31:
	s_or_b64 exec, exec, s[0:1]
	v_cmp_gt_u32_e32 vcc, 23, v0
	s_waitcnt lgkmcnt(0)
	s_and_saveexec_b64 s[0:1], vcc
	s_cbranch_execz .LBB406_33
; %bb.32:
	ds_read2_b64 v[5:8], v7 offset1:23
	s_waitcnt lgkmcnt(0)
	v_add_f32_e32 v5, v7, v5
	v_add_f32_e32 v6, v8, v6
.LBB406_33:
	s_or_b64 exec, exec, s[0:1]
	v_mov_b32_e32 v9, v6
	v_mov_b32_e32 v8, v5
.LBB406_34:
	v_cmp_gt_u32_e32 vcc, 23, v0
	s_and_b64 exec, exec, vcc
	s_cbranch_execz .LBB406_39
; %bb.35:
	v_cmp_eq_f32_e32 vcc, 0, v1
	v_cmp_eq_f32_e64 s[0:1], 0, v2
	v_mul_f32_e64 v5, v9, -v4
	v_mul_f32_e32 v6, v3, v9
	s_and_b64 s[0:1], vcc, s[0:1]
	v_fmac_f32_e32 v5, v3, v8
	v_fmac_f32_e32 v6, v4, v8
	s_and_saveexec_b64 s[2:3], s[0:1]
	s_xor_b64 s[0:1], exec, s[2:3]
	s_cbranch_execz .LBB406_37
; %bb.36:
	v_mad_u64_u32 v[0:1], s[2:3], s6, 23, v[0:1]
	v_mov_b32_e32 v1, 0
	v_mov_b32_e32 v2, s13
	v_lshlrev_b64 v[0:1], 3, v[0:1]
	v_add_co_u32_e32 v0, vcc, s12, v0
	v_addc_co_u32_e32 v1, vcc, v2, v1, vcc
	global_store_dwordx2 v[0:1], v[5:6], off
                                        ; implicit-def: $vgpr0
                                        ; implicit-def: $vgpr1_vgpr2
                                        ; implicit-def: $vgpr5
.LBB406_37:
	s_andn2_saveexec_b64 s[0:1], s[0:1]
	s_cbranch_execz .LBB406_39
; %bb.38:
	v_mad_u64_u32 v[3:4], s[0:1], s6, 23, v[0:1]
	v_mov_b32_e32 v4, 0
	v_mov_b32_e32 v0, s13
	v_lshlrev_b64 v[3:4], 3, v[3:4]
	v_add_co_u32_e32 v3, vcc, s12, v3
	v_addc_co_u32_e32 v4, vcc, v0, v4, vcc
	global_load_dwordx2 v[7:8], v[3:4], off
	s_waitcnt vmcnt(0)
	v_fmac_f32_e32 v5, v1, v7
	v_fmac_f32_e32 v6, v2, v7
	v_fma_f32 v5, -v2, v8, v5
	v_fmac_f32_e32 v6, v1, v8
	global_store_dwordx2 v[3:4], v[5:6], off
.LBB406_39:
	s_endpgm
	.section	.rodata,"a",@progbits
	.p2align	6, 0x0
	.amdhsa_kernel _ZN9rocsparseL20bsrxmvn_17_32_kernelILj23E21rocsparse_complex_numIfElifS2_S2_EEvT2_20rocsparse_direction_NS_24const_host_device_scalarIT0_EES3_PKS3_PKT1_SC_S9_PKT3_PKT4_S7_PT5_21rocsparse_index_base_b
		.amdhsa_group_segment_fixed_size 4232
		.amdhsa_private_segment_fixed_size 0
		.amdhsa_kernarg_size 96
		.amdhsa_user_sgpr_count 6
		.amdhsa_user_sgpr_private_segment_buffer 1
		.amdhsa_user_sgpr_dispatch_ptr 0
		.amdhsa_user_sgpr_queue_ptr 0
		.amdhsa_user_sgpr_kernarg_segment_ptr 1
		.amdhsa_user_sgpr_dispatch_id 0
		.amdhsa_user_sgpr_flat_scratch_init 0
		.amdhsa_user_sgpr_private_segment_size 0
		.amdhsa_uses_dynamic_stack 0
		.amdhsa_system_sgpr_private_segment_wavefront_offset 0
		.amdhsa_system_sgpr_workgroup_id_x 1
		.amdhsa_system_sgpr_workgroup_id_y 0
		.amdhsa_system_sgpr_workgroup_id_z 0
		.amdhsa_system_sgpr_workgroup_info 0
		.amdhsa_system_vgpr_workitem_id 0
		.amdhsa_next_free_vgpr 25
		.amdhsa_next_free_sgpr 61
		.amdhsa_reserve_vcc 1
		.amdhsa_reserve_flat_scratch 0
		.amdhsa_float_round_mode_32 0
		.amdhsa_float_round_mode_16_64 0
		.amdhsa_float_denorm_mode_32 3
		.amdhsa_float_denorm_mode_16_64 3
		.amdhsa_dx10_clamp 1
		.amdhsa_ieee_mode 1
		.amdhsa_fp16_overflow 0
		.amdhsa_exception_fp_ieee_invalid_op 0
		.amdhsa_exception_fp_denorm_src 0
		.amdhsa_exception_fp_ieee_div_zero 0
		.amdhsa_exception_fp_ieee_overflow 0
		.amdhsa_exception_fp_ieee_underflow 0
		.amdhsa_exception_fp_ieee_inexact 0
		.amdhsa_exception_int_div_zero 0
	.end_amdhsa_kernel
	.section	.text._ZN9rocsparseL20bsrxmvn_17_32_kernelILj23E21rocsparse_complex_numIfElifS2_S2_EEvT2_20rocsparse_direction_NS_24const_host_device_scalarIT0_EES3_PKS3_PKT1_SC_S9_PKT3_PKT4_S7_PT5_21rocsparse_index_base_b,"axG",@progbits,_ZN9rocsparseL20bsrxmvn_17_32_kernelILj23E21rocsparse_complex_numIfElifS2_S2_EEvT2_20rocsparse_direction_NS_24const_host_device_scalarIT0_EES3_PKS3_PKT1_SC_S9_PKT3_PKT4_S7_PT5_21rocsparse_index_base_b,comdat
.Lfunc_end406:
	.size	_ZN9rocsparseL20bsrxmvn_17_32_kernelILj23E21rocsparse_complex_numIfElifS2_S2_EEvT2_20rocsparse_direction_NS_24const_host_device_scalarIT0_EES3_PKS3_PKT1_SC_S9_PKT3_PKT4_S7_PT5_21rocsparse_index_base_b, .Lfunc_end406-_ZN9rocsparseL20bsrxmvn_17_32_kernelILj23E21rocsparse_complex_numIfElifS2_S2_EEvT2_20rocsparse_direction_NS_24const_host_device_scalarIT0_EES3_PKS3_PKT1_SC_S9_PKT3_PKT4_S7_PT5_21rocsparse_index_base_b
                                        ; -- End function
	.set _ZN9rocsparseL20bsrxmvn_17_32_kernelILj23E21rocsparse_complex_numIfElifS2_S2_EEvT2_20rocsparse_direction_NS_24const_host_device_scalarIT0_EES3_PKS3_PKT1_SC_S9_PKT3_PKT4_S7_PT5_21rocsparse_index_base_b.num_vgpr, 20
	.set _ZN9rocsparseL20bsrxmvn_17_32_kernelILj23E21rocsparse_complex_numIfElifS2_S2_EEvT2_20rocsparse_direction_NS_24const_host_device_scalarIT0_EES3_PKS3_PKT1_SC_S9_PKT3_PKT4_S7_PT5_21rocsparse_index_base_b.num_agpr, 0
	.set _ZN9rocsparseL20bsrxmvn_17_32_kernelILj23E21rocsparse_complex_numIfElifS2_S2_EEvT2_20rocsparse_direction_NS_24const_host_device_scalarIT0_EES3_PKS3_PKT1_SC_S9_PKT3_PKT4_S7_PT5_21rocsparse_index_base_b.numbered_sgpr, 22
	.set _ZN9rocsparseL20bsrxmvn_17_32_kernelILj23E21rocsparse_complex_numIfElifS2_S2_EEvT2_20rocsparse_direction_NS_24const_host_device_scalarIT0_EES3_PKS3_PKT1_SC_S9_PKT3_PKT4_S7_PT5_21rocsparse_index_base_b.num_named_barrier, 0
	.set _ZN9rocsparseL20bsrxmvn_17_32_kernelILj23E21rocsparse_complex_numIfElifS2_S2_EEvT2_20rocsparse_direction_NS_24const_host_device_scalarIT0_EES3_PKS3_PKT1_SC_S9_PKT3_PKT4_S7_PT5_21rocsparse_index_base_b.private_seg_size, 0
	.set _ZN9rocsparseL20bsrxmvn_17_32_kernelILj23E21rocsparse_complex_numIfElifS2_S2_EEvT2_20rocsparse_direction_NS_24const_host_device_scalarIT0_EES3_PKS3_PKT1_SC_S9_PKT3_PKT4_S7_PT5_21rocsparse_index_base_b.uses_vcc, 1
	.set _ZN9rocsparseL20bsrxmvn_17_32_kernelILj23E21rocsparse_complex_numIfElifS2_S2_EEvT2_20rocsparse_direction_NS_24const_host_device_scalarIT0_EES3_PKS3_PKT1_SC_S9_PKT3_PKT4_S7_PT5_21rocsparse_index_base_b.uses_flat_scratch, 0
	.set _ZN9rocsparseL20bsrxmvn_17_32_kernelILj23E21rocsparse_complex_numIfElifS2_S2_EEvT2_20rocsparse_direction_NS_24const_host_device_scalarIT0_EES3_PKS3_PKT1_SC_S9_PKT3_PKT4_S7_PT5_21rocsparse_index_base_b.has_dyn_sized_stack, 0
	.set _ZN9rocsparseL20bsrxmvn_17_32_kernelILj23E21rocsparse_complex_numIfElifS2_S2_EEvT2_20rocsparse_direction_NS_24const_host_device_scalarIT0_EES3_PKS3_PKT1_SC_S9_PKT3_PKT4_S7_PT5_21rocsparse_index_base_b.has_recursion, 0
	.set _ZN9rocsparseL20bsrxmvn_17_32_kernelILj23E21rocsparse_complex_numIfElifS2_S2_EEvT2_20rocsparse_direction_NS_24const_host_device_scalarIT0_EES3_PKS3_PKT1_SC_S9_PKT3_PKT4_S7_PT5_21rocsparse_index_base_b.has_indirect_call, 0
	.section	.AMDGPU.csdata,"",@progbits
; Kernel info:
; codeLenInByte = 1488
; TotalNumSgprs: 26
; NumVgprs: 20
; ScratchSize: 0
; MemoryBound: 0
; FloatMode: 240
; IeeeMode: 1
; LDSByteSize: 4232 bytes/workgroup (compile time only)
; SGPRBlocks: 8
; VGPRBlocks: 6
; NumSGPRsForWavesPerEU: 65
; NumVGPRsForWavesPerEU: 25
; Occupancy: 9
; WaveLimiterHint : 1
; COMPUTE_PGM_RSRC2:SCRATCH_EN: 0
; COMPUTE_PGM_RSRC2:USER_SGPR: 6
; COMPUTE_PGM_RSRC2:TRAP_HANDLER: 0
; COMPUTE_PGM_RSRC2:TGID_X_EN: 1
; COMPUTE_PGM_RSRC2:TGID_Y_EN: 0
; COMPUTE_PGM_RSRC2:TGID_Z_EN: 0
; COMPUTE_PGM_RSRC2:TIDIG_COMP_CNT: 0
	.section	.text._ZN9rocsparseL20bsrxmvn_17_32_kernelILj24E21rocsparse_complex_numIfElifS2_S2_EEvT2_20rocsparse_direction_NS_24const_host_device_scalarIT0_EES3_PKS3_PKT1_SC_S9_PKT3_PKT4_S7_PT5_21rocsparse_index_base_b,"axG",@progbits,_ZN9rocsparseL20bsrxmvn_17_32_kernelILj24E21rocsparse_complex_numIfElifS2_S2_EEvT2_20rocsparse_direction_NS_24const_host_device_scalarIT0_EES3_PKS3_PKT1_SC_S9_PKT3_PKT4_S7_PT5_21rocsparse_index_base_b,comdat
	.globl	_ZN9rocsparseL20bsrxmvn_17_32_kernelILj24E21rocsparse_complex_numIfElifS2_S2_EEvT2_20rocsparse_direction_NS_24const_host_device_scalarIT0_EES3_PKS3_PKT1_SC_S9_PKT3_PKT4_S7_PT5_21rocsparse_index_base_b ; -- Begin function _ZN9rocsparseL20bsrxmvn_17_32_kernelILj24E21rocsparse_complex_numIfElifS2_S2_EEvT2_20rocsparse_direction_NS_24const_host_device_scalarIT0_EES3_PKS3_PKT1_SC_S9_PKT3_PKT4_S7_PT5_21rocsparse_index_base_b
	.p2align	8
	.type	_ZN9rocsparseL20bsrxmvn_17_32_kernelILj24E21rocsparse_complex_numIfElifS2_S2_EEvT2_20rocsparse_direction_NS_24const_host_device_scalarIT0_EES3_PKS3_PKT1_SC_S9_PKT3_PKT4_S7_PT5_21rocsparse_index_base_b,@function
_ZN9rocsparseL20bsrxmvn_17_32_kernelILj24E21rocsparse_complex_numIfElifS2_S2_EEvT2_20rocsparse_direction_NS_24const_host_device_scalarIT0_EES3_PKS3_PKT1_SC_S9_PKT3_PKT4_S7_PT5_21rocsparse_index_base_b: ; @_ZN9rocsparseL20bsrxmvn_17_32_kernelILj24E21rocsparse_complex_numIfElifS2_S2_EEvT2_20rocsparse_direction_NS_24const_host_device_scalarIT0_EES3_PKS3_PKT1_SC_S9_PKT3_PKT4_S7_PT5_21rocsparse_index_base_b
; %bb.0:
	s_load_dwordx2 s[0:1], s[4:5], 0x8
	s_load_dwordx2 s[14:15], s[4:5], 0x58
	s_add_u32 s7, s4, 8
	s_addc_u32 s8, s5, 0
	s_add_u32 s9, s4, 0x48
	s_load_dwordx2 s[2:3], s[4:5], 0x48
	s_addc_u32 s10, s5, 0
	s_waitcnt lgkmcnt(0)
	s_bitcmp1_b32 s15, 0
	s_cselect_b32 s1, s8, s1
	s_cselect_b32 s0, s7, s0
	v_mov_b32_e32 v1, s0
	v_mov_b32_e32 v2, s1
	flat_load_dwordx2 v[3:4], v[1:2]
	s_cselect_b32 s0, s10, s3
	s_cselect_b32 s1, s9, s2
	v_mov_b32_e32 v1, s1
	v_mov_b32_e32 v2, s0
	flat_load_dwordx2 v[1:2], v[1:2]
	s_waitcnt vmcnt(0) lgkmcnt(0)
	v_cmp_eq_f32_e32 vcc, 0, v3
	v_cmp_eq_f32_e64 s[0:1], 0, v4
	s_and_b64 s[8:9], vcc, s[0:1]
	s_mov_b64 s[0:1], -1
	s_and_saveexec_b64 s[2:3], s[8:9]
; %bb.1:
	v_cmp_neq_f32_e32 vcc, 1.0, v1
	v_cmp_neq_f32_e64 s[0:1], 0, v2
	s_or_b64 s[0:1], vcc, s[0:1]
	s_orn2_b64 s[0:1], s[0:1], exec
; %bb.2:
	s_or_b64 exec, exec, s[2:3]
	s_and_saveexec_b64 s[2:3], s[0:1]
	s_cbranch_execz .LBB407_39
; %bb.3:
	s_load_dwordx4 s[0:3], s[4:5], 0x18
	s_load_dwordx2 s[8:9], s[4:5], 0x28
	s_waitcnt lgkmcnt(0)
	s_cmp_eq_u64 s[0:1], 0
	s_cbranch_scc1 .LBB407_5
; %bb.4:
	s_ashr_i32 s7, s6, 31
	s_lshl_b64 s[6:7], s[6:7], 2
	s_add_u32 s0, s0, s6
	s_addc_u32 s1, s1, s7
	s_load_dword s0, s[0:1], 0x0
	s_waitcnt lgkmcnt(0)
	s_sub_i32 s6, s0, s14
.LBB407_5:
	s_load_dword s7, s[4:5], 0x4
	s_load_dwordx2 s[12:13], s[4:5], 0x50
	v_mul_u32_u24_e32 v7, 0xaab, v0
	v_mov_b32_e32 v5, 24
	v_mul_lo_u16_sdwa v5, v7, v5 dst_sel:DWORD dst_unused:UNUSED_PAD src0_sel:WORD_1 src1_sel:DWORD
	s_waitcnt lgkmcnt(0)
	s_cmp_eq_u32 s7, 1
	s_cselect_b64 s[0:1], -1, 0
	s_cmp_lg_u32 s7, 1
	s_cselect_b64 s[16:17], -1, 0
	s_ashr_i32 s7, s6, 31
	s_lshl_b64 s[10:11], s[6:7], 3
	s_add_u32 s2, s2, s10
	s_addc_u32 s3, s3, s11
	s_add_u32 s7, s2, 8
	s_addc_u32 s15, s3, 0
	;; [unrolled: 2-line block ×3, first 2 shown]
	s_cmp_eq_u64 s[8:9], 0
	s_cselect_b32 s9, s15, s11
	s_cselect_b32 s8, s7, s10
	s_load_dwordx2 s[18:19], s[8:9], 0x0
	s_load_dwordx2 s[20:21], s[2:3], 0x0
	v_sub_u16_e32 v14, v0, v5
	s_waitcnt lgkmcnt(0)
	v_mov_b32_e32 v5, s18
	v_mov_b32_e32 v6, s19
	v_cmp_ge_i64_e32 vcc, s[20:21], v[5:6]
	v_mov_b32_e32 v6, 0
	v_mov_b32_e32 v5, 0
	s_cbranch_vccnz .LBB407_10
; %bb.6:
	s_load_dwordx4 s[8:11], s[4:5], 0x30
	s_load_dwordx2 s[2:3], s[4:5], 0x40
	s_sub_u32 s4, s18, s14
	s_mov_b32 s7, 0xffff
	s_subb_u32 s5, s19, 0
	s_movk_i32 s15, 0x240
	v_and_b32_sdwa v5, s7, v7 dst_sel:DWORD dst_unused:UNUSED_PAD src0_sel:DWORD src1_sel:WORD_1
	v_subrev_u32_e32 v6, 24, v5
	v_cmp_gt_u32_e32 vcc, s15, v0
	s_sub_u32 s18, s20, s14
	v_cndmask_b32_e32 v5, v6, v5, vcc
	s_subb_u32 s19, s21, 0
	v_cndmask_b32_e64 v7, v14, v5, s[0:1]
	s_mul_i32 s0, s19, 0x900
	s_mul_hi_u32 s1, s18, 0x900
	s_add_i32 s1, s1, s0
	s_mul_i32 s0, s18, 0x900
	s_waitcnt lgkmcnt(0)
	s_add_u32 s0, s10, s0
	s_addc_u32 s1, s11, s1
	v_lshlrev_b32_e32 v5, 2, v0
	v_mov_b32_e32 v9, s1
	v_add_co_u32_e32 v8, vcc, s0, v5
	v_addc_co_u32_e32 v9, vcc, 0, v9, vcc
	s_movk_i32 s0, 0x23f
	v_cmp_lt_u32_e32 vcc, s0, v0
	v_cndmask_b32_e64 v15, 0, 1, vcc
	v_mov_b32_e32 v5, s21
	v_add_co_u32_e32 v10, vcc, s20, v15
	v_addc_co_u32_e32 v5, vcc, 0, v5, vcc
	v_subrev_co_u32_e32 v10, vcc, s14, v10
	v_subbrev_co_u32_e32 v11, vcc, 0, v5, vcc
	v_lshlrev_b64 v[10:11], 2, v[10:11]
	v_mov_b32_e32 v6, 0
	v_mov_b32_e32 v5, s9
	v_add_co_u32_e32 v10, vcc, s8, v10
	v_mov_b32_e32 v13, s5
	v_addc_co_u32_e32 v11, vcc, v5, v11, vcc
	v_mov_b32_e32 v12, s4
	v_mov_b32_e32 v5, v6
	s_branch .LBB407_8
.LBB407_7:                              ;   in Loop: Header=BB407_8 Depth=1
	s_or_b64 exec, exec, s[0:1]
	s_add_u32 s18, s18, 1
	s_addc_u32 s19, s19, 0
	v_cmp_lt_i64_e32 vcc, s[18:19], v[12:13]
	v_add_co_u32_e64 v10, s[0:1], 4, v10
	v_addc_co_u32_e64 v11, s[0:1], 0, v11, s[0:1]
	s_cbranch_vccz .LBB407_10
.LBB407_8:                              ; =>This Inner Loop Header: Depth=1
	v_mov_b32_e32 v17, s19
	v_add_co_u32_e32 v16, vcc, s18, v15
	v_addc_co_u32_e32 v17, vcc, 0, v17, vcc
	v_cmp_gt_i64_e32 vcc, s[4:5], v[16:17]
	s_and_saveexec_b64 s[0:1], vcc
	s_cbranch_execz .LBB407_7
; %bb.9:                                ;   in Loop: Header=BB407_8 Depth=1
	global_load_dword v16, v[10:11], off
	v_mov_b32_e32 v19, s3
	global_load_dword v18, v[8:9], off
	s_waitcnt vmcnt(1)
	v_subrev_u32_e32 v16, s14, v16
	v_mad_u64_u32 v[16:17], s[8:9], v16, 24, v[7:8]
	v_ashrrev_i32_e32 v17, 31, v16
	v_lshlrev_b64 v[16:17], 3, v[16:17]
	v_add_co_u32_e32 v16, vcc, s2, v16
	v_addc_co_u32_e32 v17, vcc, v19, v17, vcc
	global_load_dwordx2 v[16:17], v[16:17], off
	v_add_co_u32_e32 v8, vcc, 0x900, v8
	v_addc_co_u32_e32 v9, vcc, 0, v9, vcc
	s_waitcnt vmcnt(0)
	v_fmac_f32_e32 v5, v18, v16
	v_fmac_f32_e32 v6, 0, v16
	;; [unrolled: 1-line block ×4, first 2 shown]
	s_branch .LBB407_7
.LBB407_10:
	v_lshlrev_b32_e32 v7, 3, v0
	s_and_b64 vcc, exec, s[16:17]
	ds_write_b64 v7, v[5:6]
	s_waitcnt lgkmcnt(0)
	s_barrier
	s_cbranch_vccz .LBB407_22
; %bb.11:
	v_cmp_gt_u16_e32 vcc, 8, v14
	s_and_saveexec_b64 s[0:1], vcc
	s_cbranch_execz .LBB407_13
; %bb.12:
	ds_read2_b64 v[8:11], v7 offset1:16
	s_waitcnt lgkmcnt(0)
	v_add_f32_e32 v8, v10, v8
	v_add_f32_e32 v9, v11, v9
	ds_write_b64 v7, v[8:9]
.LBB407_13:
	s_or_b64 exec, exec, s[0:1]
	s_waitcnt lgkmcnt(0)
	s_barrier
	s_and_saveexec_b64 s[0:1], vcc
	s_cbranch_execz .LBB407_15
; %bb.14:
	ds_read2_b64 v[8:11], v7 offset1:8
	s_waitcnt lgkmcnt(0)
	v_add_f32_e32 v8, v10, v8
	v_add_f32_e32 v9, v11, v9
	ds_write_b64 v7, v[8:9]
.LBB407_15:
	s_or_b64 exec, exec, s[0:1]
	v_cmp_gt_u16_e32 vcc, 4, v14
	s_waitcnt lgkmcnt(0)
	s_barrier
	s_and_saveexec_b64 s[0:1], vcc
	s_cbranch_execz .LBB407_17
; %bb.16:
	ds_read2_b64 v[8:11], v7 offset1:4
	s_waitcnt lgkmcnt(0)
	v_add_f32_e32 v8, v10, v8
	v_add_f32_e32 v9, v11, v9
	ds_write_b64 v7, v[8:9]
.LBB407_17:
	s_or_b64 exec, exec, s[0:1]
	v_cmp_gt_u16_e32 vcc, 2, v14
	s_waitcnt lgkmcnt(0)
	s_barrier
	s_and_saveexec_b64 s[0:1], vcc
	s_cbranch_execz .LBB407_19
; %bb.18:
	ds_read2_b64 v[8:11], v7 offset1:2
	s_waitcnt lgkmcnt(0)
	v_add_f32_e32 v8, v10, v8
	v_add_f32_e32 v9, v11, v9
	ds_write_b64 v7, v[8:9]
.LBB407_19:
	s_or_b64 exec, exec, s[0:1]
	v_cmp_gt_u32_e32 vcc, 24, v0
	v_mov_b32_e32 v9, v6
	v_mov_b32_e32 v8, v5
	s_waitcnt lgkmcnt(0)
	s_barrier
	s_and_saveexec_b64 s[0:1], vcc
	s_cbranch_execz .LBB407_21
; %bb.20:
	s_movk_i32 s2, 0xb8
	v_mad_u32_u24 v8, v0, s2, v7
	ds_read2_b64 v[8:11], v8 offset1:1
	s_waitcnt lgkmcnt(0)
	v_add_f32_e32 v8, v10, v8
	v_add_f32_e32 v9, v11, v9
.LBB407_21:
	s_or_b64 exec, exec, s[0:1]
	s_branch .LBB407_34
.LBB407_22:
                                        ; implicit-def: $vgpr9
                                        ; implicit-def: $vgpr8
	s_cbranch_execz .LBB407_34
; %bb.23:
	s_movk_i32 s0, 0xc0
	v_cmp_gt_u32_e32 vcc, s0, v0
	s_and_saveexec_b64 s[0:1], vcc
	s_cbranch_execz .LBB407_25
; %bb.24:
	ds_read2st64_b64 v[8:11], v7 offset1:6
	s_waitcnt lgkmcnt(0)
	v_add_f32_e32 v8, v10, v8
	v_add_f32_e32 v9, v11, v9
	ds_write_b64 v7, v[8:9]
.LBB407_25:
	s_or_b64 exec, exec, s[0:1]
	s_waitcnt lgkmcnt(0)
	s_barrier
	s_and_saveexec_b64 s[0:1], vcc
	s_cbranch_execz .LBB407_27
; %bb.26:
	ds_read2st64_b64 v[8:11], v7 offset1:3
	s_waitcnt lgkmcnt(0)
	v_add_f32_e32 v8, v10, v8
	v_add_f32_e32 v9, v11, v9
	ds_write_b64 v7, v[8:9]
.LBB407_27:
	s_or_b64 exec, exec, s[0:1]
	s_movk_i32 s0, 0x60
	v_cmp_gt_u32_e32 vcc, s0, v0
	s_waitcnt lgkmcnt(0)
	s_barrier
	s_and_saveexec_b64 s[0:1], vcc
	s_cbranch_execz .LBB407_29
; %bb.28:
	ds_read2_b64 v[8:11], v7 offset1:96
	s_waitcnt lgkmcnt(0)
	v_add_f32_e32 v8, v10, v8
	v_add_f32_e32 v9, v11, v9
	ds_write_b64 v7, v[8:9]
.LBB407_29:
	s_or_b64 exec, exec, s[0:1]
	v_cmp_gt_u32_e32 vcc, 48, v0
	s_waitcnt lgkmcnt(0)
	s_barrier
	s_and_saveexec_b64 s[0:1], vcc
	s_cbranch_execz .LBB407_31
; %bb.30:
	ds_read2_b64 v[8:11], v7 offset1:48
	s_waitcnt lgkmcnt(0)
	v_add_f32_e32 v8, v10, v8
	v_add_f32_e32 v9, v11, v9
	ds_write_b64 v7, v[8:9]
.LBB407_31:
	s_or_b64 exec, exec, s[0:1]
	v_cmp_gt_u32_e32 vcc, 24, v0
	s_waitcnt lgkmcnt(0)
	s_and_saveexec_b64 s[0:1], vcc
	s_cbranch_execz .LBB407_33
; %bb.32:
	ds_read2_b64 v[5:8], v7 offset1:24
	s_waitcnt lgkmcnt(0)
	v_add_f32_e32 v5, v7, v5
	v_add_f32_e32 v6, v8, v6
.LBB407_33:
	s_or_b64 exec, exec, s[0:1]
	v_mov_b32_e32 v9, v6
	v_mov_b32_e32 v8, v5
.LBB407_34:
	v_cmp_gt_u32_e32 vcc, 24, v0
	s_and_b64 exec, exec, vcc
	s_cbranch_execz .LBB407_39
; %bb.35:
	v_cmp_eq_f32_e32 vcc, 0, v1
	v_cmp_eq_f32_e64 s[0:1], 0, v2
	v_mul_f32_e64 v5, v9, -v4
	v_mul_f32_e32 v6, v3, v9
	s_and_b64 s[0:1], vcc, s[0:1]
	v_fmac_f32_e32 v5, v3, v8
	v_fmac_f32_e32 v6, v4, v8
	s_and_saveexec_b64 s[2:3], s[0:1]
	s_xor_b64 s[0:1], exec, s[2:3]
	s_cbranch_execz .LBB407_37
; %bb.36:
	v_mad_u64_u32 v[0:1], s[2:3], s6, 24, v[0:1]
	v_mov_b32_e32 v1, 0
	v_mov_b32_e32 v2, s13
	v_lshlrev_b64 v[0:1], 3, v[0:1]
	v_add_co_u32_e32 v0, vcc, s12, v0
	v_addc_co_u32_e32 v1, vcc, v2, v1, vcc
	global_store_dwordx2 v[0:1], v[5:6], off
                                        ; implicit-def: $vgpr0
                                        ; implicit-def: $vgpr1_vgpr2
                                        ; implicit-def: $vgpr5
.LBB407_37:
	s_andn2_saveexec_b64 s[0:1], s[0:1]
	s_cbranch_execz .LBB407_39
; %bb.38:
	v_mad_u64_u32 v[3:4], s[0:1], s6, 24, v[0:1]
	v_mov_b32_e32 v4, 0
	v_mov_b32_e32 v0, s13
	v_lshlrev_b64 v[3:4], 3, v[3:4]
	v_add_co_u32_e32 v3, vcc, s12, v3
	v_addc_co_u32_e32 v4, vcc, v0, v4, vcc
	global_load_dwordx2 v[7:8], v[3:4], off
	s_waitcnt vmcnt(0)
	v_fmac_f32_e32 v5, v1, v7
	v_fmac_f32_e32 v6, v2, v7
	v_fma_f32 v5, -v2, v8, v5
	v_fmac_f32_e32 v6, v1, v8
	global_store_dwordx2 v[3:4], v[5:6], off
.LBB407_39:
	s_endpgm
	.section	.rodata,"a",@progbits
	.p2align	6, 0x0
	.amdhsa_kernel _ZN9rocsparseL20bsrxmvn_17_32_kernelILj24E21rocsparse_complex_numIfElifS2_S2_EEvT2_20rocsparse_direction_NS_24const_host_device_scalarIT0_EES3_PKS3_PKT1_SC_S9_PKT3_PKT4_S7_PT5_21rocsparse_index_base_b
		.amdhsa_group_segment_fixed_size 4608
		.amdhsa_private_segment_fixed_size 0
		.amdhsa_kernarg_size 96
		.amdhsa_user_sgpr_count 6
		.amdhsa_user_sgpr_private_segment_buffer 1
		.amdhsa_user_sgpr_dispatch_ptr 0
		.amdhsa_user_sgpr_queue_ptr 0
		.amdhsa_user_sgpr_kernarg_segment_ptr 1
		.amdhsa_user_sgpr_dispatch_id 0
		.amdhsa_user_sgpr_flat_scratch_init 0
		.amdhsa_user_sgpr_private_segment_size 0
		.amdhsa_uses_dynamic_stack 0
		.amdhsa_system_sgpr_private_segment_wavefront_offset 0
		.amdhsa_system_sgpr_workgroup_id_x 1
		.amdhsa_system_sgpr_workgroup_id_y 0
		.amdhsa_system_sgpr_workgroup_id_z 0
		.amdhsa_system_sgpr_workgroup_info 0
		.amdhsa_system_vgpr_workitem_id 0
		.amdhsa_next_free_vgpr 25
		.amdhsa_next_free_sgpr 61
		.amdhsa_reserve_vcc 1
		.amdhsa_reserve_flat_scratch 0
		.amdhsa_float_round_mode_32 0
		.amdhsa_float_round_mode_16_64 0
		.amdhsa_float_denorm_mode_32 3
		.amdhsa_float_denorm_mode_16_64 3
		.amdhsa_dx10_clamp 1
		.amdhsa_ieee_mode 1
		.amdhsa_fp16_overflow 0
		.amdhsa_exception_fp_ieee_invalid_op 0
		.amdhsa_exception_fp_denorm_src 0
		.amdhsa_exception_fp_ieee_div_zero 0
		.amdhsa_exception_fp_ieee_overflow 0
		.amdhsa_exception_fp_ieee_underflow 0
		.amdhsa_exception_fp_ieee_inexact 0
		.amdhsa_exception_int_div_zero 0
	.end_amdhsa_kernel
	.section	.text._ZN9rocsparseL20bsrxmvn_17_32_kernelILj24E21rocsparse_complex_numIfElifS2_S2_EEvT2_20rocsparse_direction_NS_24const_host_device_scalarIT0_EES3_PKS3_PKT1_SC_S9_PKT3_PKT4_S7_PT5_21rocsparse_index_base_b,"axG",@progbits,_ZN9rocsparseL20bsrxmvn_17_32_kernelILj24E21rocsparse_complex_numIfElifS2_S2_EEvT2_20rocsparse_direction_NS_24const_host_device_scalarIT0_EES3_PKS3_PKT1_SC_S9_PKT3_PKT4_S7_PT5_21rocsparse_index_base_b,comdat
.Lfunc_end407:
	.size	_ZN9rocsparseL20bsrxmvn_17_32_kernelILj24E21rocsparse_complex_numIfElifS2_S2_EEvT2_20rocsparse_direction_NS_24const_host_device_scalarIT0_EES3_PKS3_PKT1_SC_S9_PKT3_PKT4_S7_PT5_21rocsparse_index_base_b, .Lfunc_end407-_ZN9rocsparseL20bsrxmvn_17_32_kernelILj24E21rocsparse_complex_numIfElifS2_S2_EEvT2_20rocsparse_direction_NS_24const_host_device_scalarIT0_EES3_PKS3_PKT1_SC_S9_PKT3_PKT4_S7_PT5_21rocsparse_index_base_b
                                        ; -- End function
	.set _ZN9rocsparseL20bsrxmvn_17_32_kernelILj24E21rocsparse_complex_numIfElifS2_S2_EEvT2_20rocsparse_direction_NS_24const_host_device_scalarIT0_EES3_PKS3_PKT1_SC_S9_PKT3_PKT4_S7_PT5_21rocsparse_index_base_b.num_vgpr, 20
	.set _ZN9rocsparseL20bsrxmvn_17_32_kernelILj24E21rocsparse_complex_numIfElifS2_S2_EEvT2_20rocsparse_direction_NS_24const_host_device_scalarIT0_EES3_PKS3_PKT1_SC_S9_PKT3_PKT4_S7_PT5_21rocsparse_index_base_b.num_agpr, 0
	.set _ZN9rocsparseL20bsrxmvn_17_32_kernelILj24E21rocsparse_complex_numIfElifS2_S2_EEvT2_20rocsparse_direction_NS_24const_host_device_scalarIT0_EES3_PKS3_PKT1_SC_S9_PKT3_PKT4_S7_PT5_21rocsparse_index_base_b.numbered_sgpr, 22
	.set _ZN9rocsparseL20bsrxmvn_17_32_kernelILj24E21rocsparse_complex_numIfElifS2_S2_EEvT2_20rocsparse_direction_NS_24const_host_device_scalarIT0_EES3_PKS3_PKT1_SC_S9_PKT3_PKT4_S7_PT5_21rocsparse_index_base_b.num_named_barrier, 0
	.set _ZN9rocsparseL20bsrxmvn_17_32_kernelILj24E21rocsparse_complex_numIfElifS2_S2_EEvT2_20rocsparse_direction_NS_24const_host_device_scalarIT0_EES3_PKS3_PKT1_SC_S9_PKT3_PKT4_S7_PT5_21rocsparse_index_base_b.private_seg_size, 0
	.set _ZN9rocsparseL20bsrxmvn_17_32_kernelILj24E21rocsparse_complex_numIfElifS2_S2_EEvT2_20rocsparse_direction_NS_24const_host_device_scalarIT0_EES3_PKS3_PKT1_SC_S9_PKT3_PKT4_S7_PT5_21rocsparse_index_base_b.uses_vcc, 1
	.set _ZN9rocsparseL20bsrxmvn_17_32_kernelILj24E21rocsparse_complex_numIfElifS2_S2_EEvT2_20rocsparse_direction_NS_24const_host_device_scalarIT0_EES3_PKS3_PKT1_SC_S9_PKT3_PKT4_S7_PT5_21rocsparse_index_base_b.uses_flat_scratch, 0
	.set _ZN9rocsparseL20bsrxmvn_17_32_kernelILj24E21rocsparse_complex_numIfElifS2_S2_EEvT2_20rocsparse_direction_NS_24const_host_device_scalarIT0_EES3_PKS3_PKT1_SC_S9_PKT3_PKT4_S7_PT5_21rocsparse_index_base_b.has_dyn_sized_stack, 0
	.set _ZN9rocsparseL20bsrxmvn_17_32_kernelILj24E21rocsparse_complex_numIfElifS2_S2_EEvT2_20rocsparse_direction_NS_24const_host_device_scalarIT0_EES3_PKS3_PKT1_SC_S9_PKT3_PKT4_S7_PT5_21rocsparse_index_base_b.has_recursion, 0
	.set _ZN9rocsparseL20bsrxmvn_17_32_kernelILj24E21rocsparse_complex_numIfElifS2_S2_EEvT2_20rocsparse_direction_NS_24const_host_device_scalarIT0_EES3_PKS3_PKT1_SC_S9_PKT3_PKT4_S7_PT5_21rocsparse_index_base_b.has_indirect_call, 0
	.section	.AMDGPU.csdata,"",@progbits
; Kernel info:
; codeLenInByte = 1468
; TotalNumSgprs: 26
; NumVgprs: 20
; ScratchSize: 0
; MemoryBound: 0
; FloatMode: 240
; IeeeMode: 1
; LDSByteSize: 4608 bytes/workgroup (compile time only)
; SGPRBlocks: 8
; VGPRBlocks: 6
; NumSGPRsForWavesPerEU: 65
; NumVGPRsForWavesPerEU: 25
; Occupancy: 9
; WaveLimiterHint : 1
; COMPUTE_PGM_RSRC2:SCRATCH_EN: 0
; COMPUTE_PGM_RSRC2:USER_SGPR: 6
; COMPUTE_PGM_RSRC2:TRAP_HANDLER: 0
; COMPUTE_PGM_RSRC2:TGID_X_EN: 1
; COMPUTE_PGM_RSRC2:TGID_Y_EN: 0
; COMPUTE_PGM_RSRC2:TGID_Z_EN: 0
; COMPUTE_PGM_RSRC2:TIDIG_COMP_CNT: 0
	.section	.text._ZN9rocsparseL20bsrxmvn_17_32_kernelILj25E21rocsparse_complex_numIfElifS2_S2_EEvT2_20rocsparse_direction_NS_24const_host_device_scalarIT0_EES3_PKS3_PKT1_SC_S9_PKT3_PKT4_S7_PT5_21rocsparse_index_base_b,"axG",@progbits,_ZN9rocsparseL20bsrxmvn_17_32_kernelILj25E21rocsparse_complex_numIfElifS2_S2_EEvT2_20rocsparse_direction_NS_24const_host_device_scalarIT0_EES3_PKS3_PKT1_SC_S9_PKT3_PKT4_S7_PT5_21rocsparse_index_base_b,comdat
	.globl	_ZN9rocsparseL20bsrxmvn_17_32_kernelILj25E21rocsparse_complex_numIfElifS2_S2_EEvT2_20rocsparse_direction_NS_24const_host_device_scalarIT0_EES3_PKS3_PKT1_SC_S9_PKT3_PKT4_S7_PT5_21rocsparse_index_base_b ; -- Begin function _ZN9rocsparseL20bsrxmvn_17_32_kernelILj25E21rocsparse_complex_numIfElifS2_S2_EEvT2_20rocsparse_direction_NS_24const_host_device_scalarIT0_EES3_PKS3_PKT1_SC_S9_PKT3_PKT4_S7_PT5_21rocsparse_index_base_b
	.p2align	8
	.type	_ZN9rocsparseL20bsrxmvn_17_32_kernelILj25E21rocsparse_complex_numIfElifS2_S2_EEvT2_20rocsparse_direction_NS_24const_host_device_scalarIT0_EES3_PKS3_PKT1_SC_S9_PKT3_PKT4_S7_PT5_21rocsparse_index_base_b,@function
_ZN9rocsparseL20bsrxmvn_17_32_kernelILj25E21rocsparse_complex_numIfElifS2_S2_EEvT2_20rocsparse_direction_NS_24const_host_device_scalarIT0_EES3_PKS3_PKT1_SC_S9_PKT3_PKT4_S7_PT5_21rocsparse_index_base_b: ; @_ZN9rocsparseL20bsrxmvn_17_32_kernelILj25E21rocsparse_complex_numIfElifS2_S2_EEvT2_20rocsparse_direction_NS_24const_host_device_scalarIT0_EES3_PKS3_PKT1_SC_S9_PKT3_PKT4_S7_PT5_21rocsparse_index_base_b
; %bb.0:
	s_load_dwordx2 s[0:1], s[4:5], 0x8
	s_load_dwordx2 s[14:15], s[4:5], 0x58
	s_add_u32 s7, s4, 8
	s_addc_u32 s8, s5, 0
	s_add_u32 s9, s4, 0x48
	s_load_dwordx2 s[2:3], s[4:5], 0x48
	s_addc_u32 s10, s5, 0
	s_waitcnt lgkmcnt(0)
	s_bitcmp1_b32 s15, 0
	s_cselect_b32 s1, s8, s1
	s_cselect_b32 s0, s7, s0
	v_mov_b32_e32 v1, s0
	v_mov_b32_e32 v2, s1
	flat_load_dwordx2 v[3:4], v[1:2]
	s_cselect_b32 s0, s10, s3
	s_cselect_b32 s1, s9, s2
	v_mov_b32_e32 v1, s1
	v_mov_b32_e32 v2, s0
	flat_load_dwordx2 v[1:2], v[1:2]
	s_waitcnt vmcnt(0) lgkmcnt(0)
	v_cmp_eq_f32_e32 vcc, 0, v3
	v_cmp_eq_f32_e64 s[0:1], 0, v4
	s_and_b64 s[8:9], vcc, s[0:1]
	s_mov_b64 s[0:1], -1
	s_and_saveexec_b64 s[2:3], s[8:9]
; %bb.1:
	v_cmp_neq_f32_e32 vcc, 1.0, v1
	v_cmp_neq_f32_e64 s[0:1], 0, v2
	s_or_b64 s[0:1], vcc, s[0:1]
	s_orn2_b64 s[0:1], s[0:1], exec
; %bb.2:
	s_or_b64 exec, exec, s[2:3]
	s_and_saveexec_b64 s[2:3], s[0:1]
	s_cbranch_execz .LBB408_39
; %bb.3:
	s_load_dwordx4 s[0:3], s[4:5], 0x18
	s_load_dwordx2 s[8:9], s[4:5], 0x28
	s_waitcnt lgkmcnt(0)
	s_cmp_eq_u64 s[0:1], 0
	s_cbranch_scc1 .LBB408_5
; %bb.4:
	s_ashr_i32 s7, s6, 31
	s_lshl_b64 s[6:7], s[6:7], 2
	s_add_u32 s0, s0, s6
	s_addc_u32 s1, s1, s7
	s_load_dword s0, s[0:1], 0x0
	s_waitcnt lgkmcnt(0)
	s_sub_i32 s6, s0, s14
.LBB408_5:
	s_load_dword s7, s[4:5], 0x4
	s_load_dwordx2 s[12:13], s[4:5], 0x50
	v_mul_u32_u24_e32 v7, 0xa3e, v0
	v_mov_b32_e32 v5, 25
	v_mul_lo_u16_sdwa v5, v7, v5 dst_sel:DWORD dst_unused:UNUSED_PAD src0_sel:WORD_1 src1_sel:DWORD
	s_waitcnt lgkmcnt(0)
	s_cmp_eq_u32 s7, 1
	s_cselect_b64 s[0:1], -1, 0
	s_cmp_lg_u32 s7, 1
	s_cselect_b64 s[16:17], -1, 0
	s_ashr_i32 s7, s6, 31
	s_lshl_b64 s[10:11], s[6:7], 3
	s_add_u32 s2, s2, s10
	s_addc_u32 s3, s3, s11
	s_add_u32 s7, s2, 8
	s_addc_u32 s15, s3, 0
	;; [unrolled: 2-line block ×3, first 2 shown]
	s_cmp_eq_u64 s[8:9], 0
	s_cselect_b32 s9, s15, s11
	s_cselect_b32 s8, s7, s10
	s_load_dwordx2 s[18:19], s[8:9], 0x0
	s_load_dwordx2 s[20:21], s[2:3], 0x0
	v_sub_u16_e32 v14, v0, v5
	s_waitcnt lgkmcnt(0)
	v_mov_b32_e32 v5, s18
	v_mov_b32_e32 v6, s19
	v_cmp_ge_i64_e32 vcc, s[20:21], v[5:6]
	v_mov_b32_e32 v6, 0
	v_mov_b32_e32 v5, 0
	s_cbranch_vccnz .LBB408_10
; %bb.6:
	s_load_dwordx4 s[8:11], s[4:5], 0x30
	s_load_dwordx2 s[2:3], s[4:5], 0x40
	s_sub_u32 s4, s18, s14
	s_mov_b32 s7, 0xffff
	s_subb_u32 s5, s19, 0
	s_movk_i32 s15, 0x271
	v_and_b32_sdwa v5, s7, v7 dst_sel:DWORD dst_unused:UNUSED_PAD src0_sel:DWORD src1_sel:WORD_1
	v_subrev_u32_e32 v6, 25, v5
	v_cmp_gt_u32_e32 vcc, s15, v0
	s_sub_u32 s18, s20, s14
	v_cndmask_b32_e32 v5, v6, v5, vcc
	s_subb_u32 s19, s21, 0
	v_cndmask_b32_e64 v7, v14, v5, s[0:1]
	s_mul_i32 s0, s19, 0x9c4
	s_mul_hi_u32 s1, s18, 0x9c4
	s_add_i32 s1, s1, s0
	s_mul_i32 s0, s18, 0x9c4
	s_waitcnt lgkmcnt(0)
	s_add_u32 s0, s10, s0
	s_addc_u32 s1, s11, s1
	v_lshlrev_b32_e32 v5, 2, v0
	v_mov_b32_e32 v9, s1
	v_add_co_u32_e32 v8, vcc, s0, v5
	v_addc_co_u32_e32 v9, vcc, 0, v9, vcc
	s_movk_i32 s0, 0x270
	v_cmp_lt_u32_e32 vcc, s0, v0
	v_cndmask_b32_e64 v15, 0, 1, vcc
	v_mov_b32_e32 v5, s21
	v_add_co_u32_e32 v10, vcc, s20, v15
	v_addc_co_u32_e32 v5, vcc, 0, v5, vcc
	v_subrev_co_u32_e32 v10, vcc, s14, v10
	v_subbrev_co_u32_e32 v11, vcc, 0, v5, vcc
	v_lshlrev_b64 v[10:11], 2, v[10:11]
	v_mov_b32_e32 v6, 0
	v_mov_b32_e32 v5, s9
	v_add_co_u32_e32 v10, vcc, s8, v10
	v_mov_b32_e32 v13, s5
	v_addc_co_u32_e32 v11, vcc, v5, v11, vcc
	v_mov_b32_e32 v12, s4
	v_mov_b32_e32 v5, v6
	s_branch .LBB408_8
.LBB408_7:                              ;   in Loop: Header=BB408_8 Depth=1
	s_or_b64 exec, exec, s[0:1]
	s_add_u32 s18, s18, 1
	s_addc_u32 s19, s19, 0
	v_cmp_lt_i64_e32 vcc, s[18:19], v[12:13]
	v_add_co_u32_e64 v10, s[0:1], 4, v10
	v_addc_co_u32_e64 v11, s[0:1], 0, v11, s[0:1]
	s_cbranch_vccz .LBB408_10
.LBB408_8:                              ; =>This Inner Loop Header: Depth=1
	v_mov_b32_e32 v17, s19
	v_add_co_u32_e32 v16, vcc, s18, v15
	v_addc_co_u32_e32 v17, vcc, 0, v17, vcc
	v_cmp_gt_i64_e32 vcc, s[4:5], v[16:17]
	s_and_saveexec_b64 s[0:1], vcc
	s_cbranch_execz .LBB408_7
; %bb.9:                                ;   in Loop: Header=BB408_8 Depth=1
	global_load_dword v16, v[10:11], off
	v_mov_b32_e32 v19, s3
	global_load_dword v18, v[8:9], off
	s_waitcnt vmcnt(1)
	v_subrev_u32_e32 v16, s14, v16
	v_mad_u64_u32 v[16:17], s[8:9], v16, 25, v[7:8]
	v_ashrrev_i32_e32 v17, 31, v16
	v_lshlrev_b64 v[16:17], 3, v[16:17]
	v_add_co_u32_e32 v16, vcc, s2, v16
	v_addc_co_u32_e32 v17, vcc, v19, v17, vcc
	global_load_dwordx2 v[16:17], v[16:17], off
	v_add_co_u32_e32 v8, vcc, 0x9c4, v8
	v_addc_co_u32_e32 v9, vcc, 0, v9, vcc
	s_waitcnt vmcnt(0)
	v_fmac_f32_e32 v5, v18, v16
	v_fmac_f32_e32 v6, 0, v16
	;; [unrolled: 1-line block ×4, first 2 shown]
	s_branch .LBB408_7
.LBB408_10:
	v_lshlrev_b32_e32 v7, 3, v0
	s_and_b64 vcc, exec, s[16:17]
	ds_write_b64 v7, v[5:6]
	s_waitcnt lgkmcnt(0)
	s_barrier
	s_cbranch_vccz .LBB408_22
; %bb.11:
	v_cmp_gt_u16_e32 vcc, 9, v14
	s_and_saveexec_b64 s[0:1], vcc
	s_cbranch_execz .LBB408_13
; %bb.12:
	ds_read2_b64 v[8:11], v7 offset1:16
	s_waitcnt lgkmcnt(0)
	v_add_f32_e32 v8, v10, v8
	v_add_f32_e32 v9, v11, v9
	ds_write_b64 v7, v[8:9]
.LBB408_13:
	s_or_b64 exec, exec, s[0:1]
	v_cmp_gt_u16_e32 vcc, 8, v14
	s_waitcnt lgkmcnt(0)
	s_barrier
	s_and_saveexec_b64 s[0:1], vcc
	s_cbranch_execz .LBB408_15
; %bb.14:
	ds_read2_b64 v[8:11], v7 offset1:8
	s_waitcnt lgkmcnt(0)
	v_add_f32_e32 v8, v10, v8
	v_add_f32_e32 v9, v11, v9
	ds_write_b64 v7, v[8:9]
.LBB408_15:
	s_or_b64 exec, exec, s[0:1]
	v_cmp_gt_u16_e32 vcc, 4, v14
	s_waitcnt lgkmcnt(0)
	s_barrier
	;; [unrolled: 13-line block ×3, first 2 shown]
	s_and_saveexec_b64 s[0:1], vcc
	s_cbranch_execz .LBB408_19
; %bb.18:
	ds_read2_b64 v[8:11], v7 offset1:2
	s_waitcnt lgkmcnt(0)
	v_add_f32_e32 v8, v10, v8
	v_add_f32_e32 v9, v11, v9
	ds_write_b64 v7, v[8:9]
.LBB408_19:
	s_or_b64 exec, exec, s[0:1]
	v_cmp_gt_u32_e32 vcc, 25, v0
	v_mov_b32_e32 v9, v6
	v_mov_b32_e32 v8, v5
	s_waitcnt lgkmcnt(0)
	s_barrier
	s_and_saveexec_b64 s[0:1], vcc
	s_cbranch_execz .LBB408_21
; %bb.20:
	s_movk_i32 s2, 0xc0
	v_mad_u32_u24 v8, v0, s2, v7
	ds_read2_b64 v[8:11], v8 offset1:1
	s_waitcnt lgkmcnt(0)
	v_add_f32_e32 v8, v10, v8
	v_add_f32_e32 v9, v11, v9
.LBB408_21:
	s_or_b64 exec, exec, s[0:1]
	s_branch .LBB408_34
.LBB408_22:
                                        ; implicit-def: $vgpr9
                                        ; implicit-def: $vgpr8
	s_cbranch_execz .LBB408_34
; %bb.23:
	s_movk_i32 s0, 0xe1
	v_cmp_gt_u32_e32 vcc, s0, v0
	s_and_saveexec_b64 s[0:1], vcc
	s_cbranch_execz .LBB408_25
; %bb.24:
	ds_read_b64 v[8:9], v7 offset:3200
	ds_read_b64 v[10:11], v7
	s_waitcnt lgkmcnt(0)
	v_add_f32_e32 v8, v8, v10
	v_add_f32_e32 v9, v9, v11
	ds_write_b64 v7, v[8:9]
.LBB408_25:
	s_or_b64 exec, exec, s[0:1]
	s_movk_i32 s0, 0xc8
	v_cmp_gt_u32_e32 vcc, s0, v0
	s_waitcnt lgkmcnt(0)
	s_barrier
	s_and_saveexec_b64 s[0:1], vcc
	s_cbranch_execz .LBB408_27
; %bb.26:
	ds_read2_b64 v[8:11], v7 offset1:200
	s_waitcnt lgkmcnt(0)
	v_add_f32_e32 v8, v10, v8
	v_add_f32_e32 v9, v11, v9
	ds_write_b64 v7, v[8:9]
.LBB408_27:
	s_or_b64 exec, exec, s[0:1]
	s_movk_i32 s0, 0x64
	v_cmp_gt_u32_e32 vcc, s0, v0
	s_waitcnt lgkmcnt(0)
	s_barrier
	s_and_saveexec_b64 s[0:1], vcc
	s_cbranch_execz .LBB408_29
; %bb.28:
	ds_read2_b64 v[8:11], v7 offset1:100
	s_waitcnt lgkmcnt(0)
	v_add_f32_e32 v8, v10, v8
	v_add_f32_e32 v9, v11, v9
	ds_write_b64 v7, v[8:9]
.LBB408_29:
	s_or_b64 exec, exec, s[0:1]
	v_cmp_gt_u32_e32 vcc, 50, v0
	s_waitcnt lgkmcnt(0)
	s_barrier
	s_and_saveexec_b64 s[0:1], vcc
	s_cbranch_execz .LBB408_31
; %bb.30:
	ds_read2_b64 v[8:11], v7 offset1:50
	s_waitcnt lgkmcnt(0)
	v_add_f32_e32 v8, v10, v8
	v_add_f32_e32 v9, v11, v9
	ds_write_b64 v7, v[8:9]
.LBB408_31:
	s_or_b64 exec, exec, s[0:1]
	v_cmp_gt_u32_e32 vcc, 25, v0
	s_waitcnt lgkmcnt(0)
	s_and_saveexec_b64 s[0:1], vcc
	s_cbranch_execz .LBB408_33
; %bb.32:
	ds_read2_b64 v[5:8], v7 offset1:25
	s_waitcnt lgkmcnt(0)
	v_add_f32_e32 v5, v7, v5
	v_add_f32_e32 v6, v8, v6
.LBB408_33:
	s_or_b64 exec, exec, s[0:1]
	v_mov_b32_e32 v9, v6
	v_mov_b32_e32 v8, v5
.LBB408_34:
	v_cmp_gt_u32_e32 vcc, 25, v0
	s_and_b64 exec, exec, vcc
	s_cbranch_execz .LBB408_39
; %bb.35:
	v_cmp_eq_f32_e32 vcc, 0, v1
	v_cmp_eq_f32_e64 s[0:1], 0, v2
	v_mul_f32_e64 v5, v9, -v4
	v_mul_f32_e32 v6, v3, v9
	s_and_b64 s[0:1], vcc, s[0:1]
	v_fmac_f32_e32 v5, v3, v8
	v_fmac_f32_e32 v6, v4, v8
	s_and_saveexec_b64 s[2:3], s[0:1]
	s_xor_b64 s[0:1], exec, s[2:3]
	s_cbranch_execz .LBB408_37
; %bb.36:
	v_mad_u64_u32 v[0:1], s[2:3], s6, 25, v[0:1]
	v_mov_b32_e32 v1, 0
	v_mov_b32_e32 v2, s13
	v_lshlrev_b64 v[0:1], 3, v[0:1]
	v_add_co_u32_e32 v0, vcc, s12, v0
	v_addc_co_u32_e32 v1, vcc, v2, v1, vcc
	global_store_dwordx2 v[0:1], v[5:6], off
                                        ; implicit-def: $vgpr0
                                        ; implicit-def: $vgpr1_vgpr2
                                        ; implicit-def: $vgpr5
.LBB408_37:
	s_andn2_saveexec_b64 s[0:1], s[0:1]
	s_cbranch_execz .LBB408_39
; %bb.38:
	v_mad_u64_u32 v[3:4], s[0:1], s6, 25, v[0:1]
	v_mov_b32_e32 v4, 0
	v_mov_b32_e32 v0, s13
	v_lshlrev_b64 v[3:4], 3, v[3:4]
	v_add_co_u32_e32 v3, vcc, s12, v3
	v_addc_co_u32_e32 v4, vcc, v0, v4, vcc
	global_load_dwordx2 v[7:8], v[3:4], off
	s_waitcnt vmcnt(0)
	v_fmac_f32_e32 v5, v1, v7
	v_fmac_f32_e32 v6, v2, v7
	v_fma_f32 v5, -v2, v8, v5
	v_fmac_f32_e32 v6, v1, v8
	global_store_dwordx2 v[3:4], v[5:6], off
.LBB408_39:
	s_endpgm
	.section	.rodata,"a",@progbits
	.p2align	6, 0x0
	.amdhsa_kernel _ZN9rocsparseL20bsrxmvn_17_32_kernelILj25E21rocsparse_complex_numIfElifS2_S2_EEvT2_20rocsparse_direction_NS_24const_host_device_scalarIT0_EES3_PKS3_PKT1_SC_S9_PKT3_PKT4_S7_PT5_21rocsparse_index_base_b
		.amdhsa_group_segment_fixed_size 5000
		.amdhsa_private_segment_fixed_size 0
		.amdhsa_kernarg_size 96
		.amdhsa_user_sgpr_count 6
		.amdhsa_user_sgpr_private_segment_buffer 1
		.amdhsa_user_sgpr_dispatch_ptr 0
		.amdhsa_user_sgpr_queue_ptr 0
		.amdhsa_user_sgpr_kernarg_segment_ptr 1
		.amdhsa_user_sgpr_dispatch_id 0
		.amdhsa_user_sgpr_flat_scratch_init 0
		.amdhsa_user_sgpr_private_segment_size 0
		.amdhsa_uses_dynamic_stack 0
		.amdhsa_system_sgpr_private_segment_wavefront_offset 0
		.amdhsa_system_sgpr_workgroup_id_x 1
		.amdhsa_system_sgpr_workgroup_id_y 0
		.amdhsa_system_sgpr_workgroup_id_z 0
		.amdhsa_system_sgpr_workgroup_info 0
		.amdhsa_system_vgpr_workitem_id 0
		.amdhsa_next_free_vgpr 20
		.amdhsa_next_free_sgpr 22
		.amdhsa_reserve_vcc 1
		.amdhsa_reserve_flat_scratch 0
		.amdhsa_float_round_mode_32 0
		.amdhsa_float_round_mode_16_64 0
		.amdhsa_float_denorm_mode_32 3
		.amdhsa_float_denorm_mode_16_64 3
		.amdhsa_dx10_clamp 1
		.amdhsa_ieee_mode 1
		.amdhsa_fp16_overflow 0
		.amdhsa_exception_fp_ieee_invalid_op 0
		.amdhsa_exception_fp_denorm_src 0
		.amdhsa_exception_fp_ieee_div_zero 0
		.amdhsa_exception_fp_ieee_overflow 0
		.amdhsa_exception_fp_ieee_underflow 0
		.amdhsa_exception_fp_ieee_inexact 0
		.amdhsa_exception_int_div_zero 0
	.end_amdhsa_kernel
	.section	.text._ZN9rocsparseL20bsrxmvn_17_32_kernelILj25E21rocsparse_complex_numIfElifS2_S2_EEvT2_20rocsparse_direction_NS_24const_host_device_scalarIT0_EES3_PKS3_PKT1_SC_S9_PKT3_PKT4_S7_PT5_21rocsparse_index_base_b,"axG",@progbits,_ZN9rocsparseL20bsrxmvn_17_32_kernelILj25E21rocsparse_complex_numIfElifS2_S2_EEvT2_20rocsparse_direction_NS_24const_host_device_scalarIT0_EES3_PKS3_PKT1_SC_S9_PKT3_PKT4_S7_PT5_21rocsparse_index_base_b,comdat
.Lfunc_end408:
	.size	_ZN9rocsparseL20bsrxmvn_17_32_kernelILj25E21rocsparse_complex_numIfElifS2_S2_EEvT2_20rocsparse_direction_NS_24const_host_device_scalarIT0_EES3_PKS3_PKT1_SC_S9_PKT3_PKT4_S7_PT5_21rocsparse_index_base_b, .Lfunc_end408-_ZN9rocsparseL20bsrxmvn_17_32_kernelILj25E21rocsparse_complex_numIfElifS2_S2_EEvT2_20rocsparse_direction_NS_24const_host_device_scalarIT0_EES3_PKS3_PKT1_SC_S9_PKT3_PKT4_S7_PT5_21rocsparse_index_base_b
                                        ; -- End function
	.set _ZN9rocsparseL20bsrxmvn_17_32_kernelILj25E21rocsparse_complex_numIfElifS2_S2_EEvT2_20rocsparse_direction_NS_24const_host_device_scalarIT0_EES3_PKS3_PKT1_SC_S9_PKT3_PKT4_S7_PT5_21rocsparse_index_base_b.num_vgpr, 20
	.set _ZN9rocsparseL20bsrxmvn_17_32_kernelILj25E21rocsparse_complex_numIfElifS2_S2_EEvT2_20rocsparse_direction_NS_24const_host_device_scalarIT0_EES3_PKS3_PKT1_SC_S9_PKT3_PKT4_S7_PT5_21rocsparse_index_base_b.num_agpr, 0
	.set _ZN9rocsparseL20bsrxmvn_17_32_kernelILj25E21rocsparse_complex_numIfElifS2_S2_EEvT2_20rocsparse_direction_NS_24const_host_device_scalarIT0_EES3_PKS3_PKT1_SC_S9_PKT3_PKT4_S7_PT5_21rocsparse_index_base_b.numbered_sgpr, 22
	.set _ZN9rocsparseL20bsrxmvn_17_32_kernelILj25E21rocsparse_complex_numIfElifS2_S2_EEvT2_20rocsparse_direction_NS_24const_host_device_scalarIT0_EES3_PKS3_PKT1_SC_S9_PKT3_PKT4_S7_PT5_21rocsparse_index_base_b.num_named_barrier, 0
	.set _ZN9rocsparseL20bsrxmvn_17_32_kernelILj25E21rocsparse_complex_numIfElifS2_S2_EEvT2_20rocsparse_direction_NS_24const_host_device_scalarIT0_EES3_PKS3_PKT1_SC_S9_PKT3_PKT4_S7_PT5_21rocsparse_index_base_b.private_seg_size, 0
	.set _ZN9rocsparseL20bsrxmvn_17_32_kernelILj25E21rocsparse_complex_numIfElifS2_S2_EEvT2_20rocsparse_direction_NS_24const_host_device_scalarIT0_EES3_PKS3_PKT1_SC_S9_PKT3_PKT4_S7_PT5_21rocsparse_index_base_b.uses_vcc, 1
	.set _ZN9rocsparseL20bsrxmvn_17_32_kernelILj25E21rocsparse_complex_numIfElifS2_S2_EEvT2_20rocsparse_direction_NS_24const_host_device_scalarIT0_EES3_PKS3_PKT1_SC_S9_PKT3_PKT4_S7_PT5_21rocsparse_index_base_b.uses_flat_scratch, 0
	.set _ZN9rocsparseL20bsrxmvn_17_32_kernelILj25E21rocsparse_complex_numIfElifS2_S2_EEvT2_20rocsparse_direction_NS_24const_host_device_scalarIT0_EES3_PKS3_PKT1_SC_S9_PKT3_PKT4_S7_PT5_21rocsparse_index_base_b.has_dyn_sized_stack, 0
	.set _ZN9rocsparseL20bsrxmvn_17_32_kernelILj25E21rocsparse_complex_numIfElifS2_S2_EEvT2_20rocsparse_direction_NS_24const_host_device_scalarIT0_EES3_PKS3_PKT1_SC_S9_PKT3_PKT4_S7_PT5_21rocsparse_index_base_b.has_recursion, 0
	.set _ZN9rocsparseL20bsrxmvn_17_32_kernelILj25E21rocsparse_complex_numIfElifS2_S2_EEvT2_20rocsparse_direction_NS_24const_host_device_scalarIT0_EES3_PKS3_PKT1_SC_S9_PKT3_PKT4_S7_PT5_21rocsparse_index_base_b.has_indirect_call, 0
	.section	.AMDGPU.csdata,"",@progbits
; Kernel info:
; codeLenInByte = 1488
; TotalNumSgprs: 26
; NumVgprs: 20
; ScratchSize: 0
; MemoryBound: 0
; FloatMode: 240
; IeeeMode: 1
; LDSByteSize: 5000 bytes/workgroup (compile time only)
; SGPRBlocks: 3
; VGPRBlocks: 4
; NumSGPRsForWavesPerEU: 26
; NumVGPRsForWavesPerEU: 20
; Occupancy: 10
; WaveLimiterHint : 1
; COMPUTE_PGM_RSRC2:SCRATCH_EN: 0
; COMPUTE_PGM_RSRC2:USER_SGPR: 6
; COMPUTE_PGM_RSRC2:TRAP_HANDLER: 0
; COMPUTE_PGM_RSRC2:TGID_X_EN: 1
; COMPUTE_PGM_RSRC2:TGID_Y_EN: 0
; COMPUTE_PGM_RSRC2:TGID_Z_EN: 0
; COMPUTE_PGM_RSRC2:TIDIG_COMP_CNT: 0
	.section	.text._ZN9rocsparseL20bsrxmvn_17_32_kernelILj26E21rocsparse_complex_numIfElifS2_S2_EEvT2_20rocsparse_direction_NS_24const_host_device_scalarIT0_EES3_PKS3_PKT1_SC_S9_PKT3_PKT4_S7_PT5_21rocsparse_index_base_b,"axG",@progbits,_ZN9rocsparseL20bsrxmvn_17_32_kernelILj26E21rocsparse_complex_numIfElifS2_S2_EEvT2_20rocsparse_direction_NS_24const_host_device_scalarIT0_EES3_PKS3_PKT1_SC_S9_PKT3_PKT4_S7_PT5_21rocsparse_index_base_b,comdat
	.globl	_ZN9rocsparseL20bsrxmvn_17_32_kernelILj26E21rocsparse_complex_numIfElifS2_S2_EEvT2_20rocsparse_direction_NS_24const_host_device_scalarIT0_EES3_PKS3_PKT1_SC_S9_PKT3_PKT4_S7_PT5_21rocsparse_index_base_b ; -- Begin function _ZN9rocsparseL20bsrxmvn_17_32_kernelILj26E21rocsparse_complex_numIfElifS2_S2_EEvT2_20rocsparse_direction_NS_24const_host_device_scalarIT0_EES3_PKS3_PKT1_SC_S9_PKT3_PKT4_S7_PT5_21rocsparse_index_base_b
	.p2align	8
	.type	_ZN9rocsparseL20bsrxmvn_17_32_kernelILj26E21rocsparse_complex_numIfElifS2_S2_EEvT2_20rocsparse_direction_NS_24const_host_device_scalarIT0_EES3_PKS3_PKT1_SC_S9_PKT3_PKT4_S7_PT5_21rocsparse_index_base_b,@function
_ZN9rocsparseL20bsrxmvn_17_32_kernelILj26E21rocsparse_complex_numIfElifS2_S2_EEvT2_20rocsparse_direction_NS_24const_host_device_scalarIT0_EES3_PKS3_PKT1_SC_S9_PKT3_PKT4_S7_PT5_21rocsparse_index_base_b: ; @_ZN9rocsparseL20bsrxmvn_17_32_kernelILj26E21rocsparse_complex_numIfElifS2_S2_EEvT2_20rocsparse_direction_NS_24const_host_device_scalarIT0_EES3_PKS3_PKT1_SC_S9_PKT3_PKT4_S7_PT5_21rocsparse_index_base_b
; %bb.0:
	s_load_dwordx2 s[0:1], s[4:5], 0x8
	s_load_dwordx2 s[14:15], s[4:5], 0x58
	s_add_u32 s7, s4, 8
	s_addc_u32 s8, s5, 0
	s_add_u32 s9, s4, 0x48
	s_load_dwordx2 s[2:3], s[4:5], 0x48
	s_addc_u32 s10, s5, 0
	s_waitcnt lgkmcnt(0)
	s_bitcmp1_b32 s15, 0
	s_cselect_b32 s1, s8, s1
	s_cselect_b32 s0, s7, s0
	v_mov_b32_e32 v1, s0
	v_mov_b32_e32 v2, s1
	flat_load_dwordx2 v[3:4], v[1:2]
	s_cselect_b32 s0, s10, s3
	s_cselect_b32 s1, s9, s2
	v_mov_b32_e32 v1, s1
	v_mov_b32_e32 v2, s0
	flat_load_dwordx2 v[1:2], v[1:2]
	s_waitcnt vmcnt(0) lgkmcnt(0)
	v_cmp_eq_f32_e32 vcc, 0, v3
	v_cmp_eq_f32_e64 s[0:1], 0, v4
	s_and_b64 s[8:9], vcc, s[0:1]
	s_mov_b64 s[0:1], -1
	s_and_saveexec_b64 s[2:3], s[8:9]
; %bb.1:
	v_cmp_neq_f32_e32 vcc, 1.0, v1
	v_cmp_neq_f32_e64 s[0:1], 0, v2
	s_or_b64 s[0:1], vcc, s[0:1]
	s_orn2_b64 s[0:1], s[0:1], exec
; %bb.2:
	s_or_b64 exec, exec, s[2:3]
	s_and_saveexec_b64 s[2:3], s[0:1]
	s_cbranch_execz .LBB409_39
; %bb.3:
	s_load_dwordx4 s[0:3], s[4:5], 0x18
	s_load_dwordx2 s[8:9], s[4:5], 0x28
	s_waitcnt lgkmcnt(0)
	s_cmp_eq_u64 s[0:1], 0
	s_cbranch_scc1 .LBB409_5
; %bb.4:
	s_ashr_i32 s7, s6, 31
	s_lshl_b64 s[6:7], s[6:7], 2
	s_add_u32 s0, s0, s6
	s_addc_u32 s1, s1, s7
	s_load_dword s0, s[0:1], 0x0
	s_waitcnt lgkmcnt(0)
	s_sub_i32 s6, s0, s14
.LBB409_5:
	s_load_dword s7, s[4:5], 0x4
	s_load_dwordx2 s[12:13], s[4:5], 0x50
	v_mul_u32_u24_e32 v7, 0x9d9, v0
	v_mov_b32_e32 v5, 26
	v_mul_lo_u16_sdwa v5, v7, v5 dst_sel:DWORD dst_unused:UNUSED_PAD src0_sel:WORD_1 src1_sel:DWORD
	s_waitcnt lgkmcnt(0)
	s_cmp_eq_u32 s7, 1
	s_cselect_b64 s[0:1], -1, 0
	s_cmp_lg_u32 s7, 1
	s_cselect_b64 s[16:17], -1, 0
	s_ashr_i32 s7, s6, 31
	s_lshl_b64 s[10:11], s[6:7], 3
	s_add_u32 s2, s2, s10
	s_addc_u32 s3, s3, s11
	s_add_u32 s7, s2, 8
	s_addc_u32 s15, s3, 0
	s_add_u32 s10, s8, s10
	s_addc_u32 s11, s9, s11
	s_cmp_eq_u64 s[8:9], 0
	s_cselect_b32 s9, s15, s11
	s_cselect_b32 s8, s7, s10
	s_load_dwordx2 s[18:19], s[8:9], 0x0
	s_load_dwordx2 s[20:21], s[2:3], 0x0
	v_sub_u16_e32 v14, v0, v5
	s_waitcnt lgkmcnt(0)
	v_mov_b32_e32 v5, s18
	v_mov_b32_e32 v6, s19
	v_cmp_ge_i64_e32 vcc, s[20:21], v[5:6]
	v_mov_b32_e32 v6, 0
	v_mov_b32_e32 v5, 0
	s_cbranch_vccnz .LBB409_10
; %bb.6:
	s_load_dwordx4 s[8:11], s[4:5], 0x30
	s_load_dwordx2 s[2:3], s[4:5], 0x40
	s_sub_u32 s4, s18, s14
	s_mov_b32 s7, 0xffff
	s_subb_u32 s5, s19, 0
	s_movk_i32 s15, 0x2a4
	v_and_b32_sdwa v5, s7, v7 dst_sel:DWORD dst_unused:UNUSED_PAD src0_sel:DWORD src1_sel:WORD_1
	v_subrev_u32_e32 v6, 26, v5
	v_cmp_gt_u32_e32 vcc, s15, v0
	s_sub_u32 s18, s20, s14
	v_cndmask_b32_e32 v5, v6, v5, vcc
	s_subb_u32 s19, s21, 0
	v_cndmask_b32_e64 v7, v14, v5, s[0:1]
	s_mul_i32 s0, s19, 0xa90
	s_mul_hi_u32 s1, s18, 0xa90
	s_add_i32 s1, s1, s0
	s_mul_i32 s0, s18, 0xa90
	s_waitcnt lgkmcnt(0)
	s_add_u32 s0, s10, s0
	s_addc_u32 s1, s11, s1
	v_lshlrev_b32_e32 v5, 2, v0
	v_mov_b32_e32 v9, s1
	v_add_co_u32_e32 v8, vcc, s0, v5
	v_addc_co_u32_e32 v9, vcc, 0, v9, vcc
	s_movk_i32 s0, 0x2a3
	v_cmp_lt_u32_e32 vcc, s0, v0
	v_cndmask_b32_e64 v15, 0, 1, vcc
	v_mov_b32_e32 v5, s21
	v_add_co_u32_e32 v10, vcc, s20, v15
	v_addc_co_u32_e32 v5, vcc, 0, v5, vcc
	v_subrev_co_u32_e32 v10, vcc, s14, v10
	v_subbrev_co_u32_e32 v11, vcc, 0, v5, vcc
	v_lshlrev_b64 v[10:11], 2, v[10:11]
	v_mov_b32_e32 v6, 0
	v_mov_b32_e32 v5, s9
	v_add_co_u32_e32 v10, vcc, s8, v10
	v_mov_b32_e32 v13, s5
	v_addc_co_u32_e32 v11, vcc, v5, v11, vcc
	v_mov_b32_e32 v12, s4
	v_mov_b32_e32 v5, v6
	s_branch .LBB409_8
.LBB409_7:                              ;   in Loop: Header=BB409_8 Depth=1
	s_or_b64 exec, exec, s[0:1]
	s_add_u32 s18, s18, 1
	s_addc_u32 s19, s19, 0
	v_cmp_lt_i64_e32 vcc, s[18:19], v[12:13]
	v_add_co_u32_e64 v10, s[0:1], 4, v10
	v_addc_co_u32_e64 v11, s[0:1], 0, v11, s[0:1]
	s_cbranch_vccz .LBB409_10
.LBB409_8:                              ; =>This Inner Loop Header: Depth=1
	v_mov_b32_e32 v17, s19
	v_add_co_u32_e32 v16, vcc, s18, v15
	v_addc_co_u32_e32 v17, vcc, 0, v17, vcc
	v_cmp_gt_i64_e32 vcc, s[4:5], v[16:17]
	s_and_saveexec_b64 s[0:1], vcc
	s_cbranch_execz .LBB409_7
; %bb.9:                                ;   in Loop: Header=BB409_8 Depth=1
	global_load_dword v16, v[10:11], off
	v_mov_b32_e32 v19, s3
	global_load_dword v18, v[8:9], off
	s_waitcnt vmcnt(1)
	v_subrev_u32_e32 v16, s14, v16
	v_mad_u64_u32 v[16:17], s[8:9], v16, 26, v[7:8]
	v_ashrrev_i32_e32 v17, 31, v16
	v_lshlrev_b64 v[16:17], 3, v[16:17]
	v_add_co_u32_e32 v16, vcc, s2, v16
	v_addc_co_u32_e32 v17, vcc, v19, v17, vcc
	global_load_dwordx2 v[16:17], v[16:17], off
	v_add_co_u32_e32 v8, vcc, 0xa90, v8
	v_addc_co_u32_e32 v9, vcc, 0, v9, vcc
	s_waitcnt vmcnt(0)
	v_fmac_f32_e32 v5, v18, v16
	v_fmac_f32_e32 v6, 0, v16
	;; [unrolled: 1-line block ×4, first 2 shown]
	s_branch .LBB409_7
.LBB409_10:
	v_lshlrev_b32_e32 v7, 3, v0
	s_and_b64 vcc, exec, s[16:17]
	ds_write_b64 v7, v[5:6]
	s_waitcnt lgkmcnt(0)
	s_barrier
	s_cbranch_vccz .LBB409_22
; %bb.11:
	v_cmp_gt_u16_e32 vcc, 10, v14
	s_and_saveexec_b64 s[0:1], vcc
	s_cbranch_execz .LBB409_13
; %bb.12:
	ds_read2_b64 v[8:11], v7 offset1:16
	s_waitcnt lgkmcnt(0)
	v_add_f32_e32 v8, v10, v8
	v_add_f32_e32 v9, v11, v9
	ds_write_b64 v7, v[8:9]
.LBB409_13:
	s_or_b64 exec, exec, s[0:1]
	v_cmp_gt_u16_e32 vcc, 8, v14
	s_waitcnt lgkmcnt(0)
	s_barrier
	s_and_saveexec_b64 s[0:1], vcc
	s_cbranch_execz .LBB409_15
; %bb.14:
	ds_read2_b64 v[8:11], v7 offset1:8
	s_waitcnt lgkmcnt(0)
	v_add_f32_e32 v8, v10, v8
	v_add_f32_e32 v9, v11, v9
	ds_write_b64 v7, v[8:9]
.LBB409_15:
	s_or_b64 exec, exec, s[0:1]
	v_cmp_gt_u16_e32 vcc, 4, v14
	s_waitcnt lgkmcnt(0)
	s_barrier
	s_and_saveexec_b64 s[0:1], vcc
	s_cbranch_execz .LBB409_17
; %bb.16:
	ds_read2_b64 v[8:11], v7 offset1:4
	s_waitcnt lgkmcnt(0)
	v_add_f32_e32 v8, v10, v8
	v_add_f32_e32 v9, v11, v9
	ds_write_b64 v7, v[8:9]
.LBB409_17:
	s_or_b64 exec, exec, s[0:1]
	v_cmp_gt_u16_e32 vcc, 2, v14
	s_waitcnt lgkmcnt(0)
	s_barrier
	s_and_saveexec_b64 s[0:1], vcc
	s_cbranch_execz .LBB409_19
; %bb.18:
	ds_read2_b64 v[8:11], v7 offset1:2
	s_waitcnt lgkmcnt(0)
	v_add_f32_e32 v8, v10, v8
	v_add_f32_e32 v9, v11, v9
	ds_write_b64 v7, v[8:9]
.LBB409_19:
	s_or_b64 exec, exec, s[0:1]
	v_cmp_gt_u32_e32 vcc, 26, v0
	v_mov_b32_e32 v9, v6
	v_mov_b32_e32 v8, v5
	s_waitcnt lgkmcnt(0)
	s_barrier
	s_and_saveexec_b64 s[0:1], vcc
	s_cbranch_execz .LBB409_21
; %bb.20:
	s_movk_i32 s2, 0xc8
	v_mad_u32_u24 v8, v0, s2, v7
	ds_read2_b64 v[8:11], v8 offset1:1
	s_waitcnt lgkmcnt(0)
	v_add_f32_e32 v8, v10, v8
	v_add_f32_e32 v9, v11, v9
.LBB409_21:
	s_or_b64 exec, exec, s[0:1]
	s_branch .LBB409_34
.LBB409_22:
                                        ; implicit-def: $vgpr9
                                        ; implicit-def: $vgpr8
	s_cbranch_execz .LBB409_34
; %bb.23:
	s_movk_i32 s0, 0x104
	v_cmp_gt_u32_e32 vcc, s0, v0
	s_and_saveexec_b64 s[0:1], vcc
	s_cbranch_execz .LBB409_25
; %bb.24:
	ds_read_b64 v[8:9], v7 offset:3328
	ds_read_b64 v[10:11], v7
	s_waitcnt lgkmcnt(0)
	v_add_f32_e32 v8, v8, v10
	v_add_f32_e32 v9, v9, v11
	ds_write_b64 v7, v[8:9]
.LBB409_25:
	s_or_b64 exec, exec, s[0:1]
	s_movk_i32 s0, 0xd0
	v_cmp_gt_u32_e32 vcc, s0, v0
	s_waitcnt lgkmcnt(0)
	s_barrier
	s_and_saveexec_b64 s[0:1], vcc
	s_cbranch_execz .LBB409_27
; %bb.26:
	ds_read2_b64 v[8:11], v7 offset1:208
	s_waitcnt lgkmcnt(0)
	v_add_f32_e32 v8, v10, v8
	v_add_f32_e32 v9, v11, v9
	ds_write_b64 v7, v[8:9]
.LBB409_27:
	s_or_b64 exec, exec, s[0:1]
	s_movk_i32 s0, 0x68
	v_cmp_gt_u32_e32 vcc, s0, v0
	s_waitcnt lgkmcnt(0)
	s_barrier
	s_and_saveexec_b64 s[0:1], vcc
	s_cbranch_execz .LBB409_29
; %bb.28:
	ds_read2_b64 v[8:11], v7 offset1:104
	s_waitcnt lgkmcnt(0)
	v_add_f32_e32 v8, v10, v8
	v_add_f32_e32 v9, v11, v9
	ds_write_b64 v7, v[8:9]
.LBB409_29:
	s_or_b64 exec, exec, s[0:1]
	v_cmp_gt_u32_e32 vcc, 52, v0
	s_waitcnt lgkmcnt(0)
	s_barrier
	s_and_saveexec_b64 s[0:1], vcc
	s_cbranch_execz .LBB409_31
; %bb.30:
	ds_read2_b64 v[8:11], v7 offset1:52
	s_waitcnt lgkmcnt(0)
	v_add_f32_e32 v8, v10, v8
	v_add_f32_e32 v9, v11, v9
	ds_write_b64 v7, v[8:9]
.LBB409_31:
	s_or_b64 exec, exec, s[0:1]
	v_cmp_gt_u32_e32 vcc, 26, v0
	s_waitcnt lgkmcnt(0)
	s_and_saveexec_b64 s[0:1], vcc
	s_cbranch_execz .LBB409_33
; %bb.32:
	ds_read2_b64 v[5:8], v7 offset1:26
	s_waitcnt lgkmcnt(0)
	v_add_f32_e32 v5, v7, v5
	v_add_f32_e32 v6, v8, v6
.LBB409_33:
	s_or_b64 exec, exec, s[0:1]
	v_mov_b32_e32 v9, v6
	v_mov_b32_e32 v8, v5
.LBB409_34:
	v_cmp_gt_u32_e32 vcc, 26, v0
	s_and_b64 exec, exec, vcc
	s_cbranch_execz .LBB409_39
; %bb.35:
	v_cmp_eq_f32_e32 vcc, 0, v1
	v_cmp_eq_f32_e64 s[0:1], 0, v2
	v_mul_f32_e64 v5, v9, -v4
	v_mul_f32_e32 v6, v3, v9
	s_and_b64 s[0:1], vcc, s[0:1]
	v_fmac_f32_e32 v5, v3, v8
	v_fmac_f32_e32 v6, v4, v8
	s_and_saveexec_b64 s[2:3], s[0:1]
	s_xor_b64 s[0:1], exec, s[2:3]
	s_cbranch_execz .LBB409_37
; %bb.36:
	v_mad_u64_u32 v[0:1], s[2:3], s6, 26, v[0:1]
	v_mov_b32_e32 v1, 0
	v_mov_b32_e32 v2, s13
	v_lshlrev_b64 v[0:1], 3, v[0:1]
	v_add_co_u32_e32 v0, vcc, s12, v0
	v_addc_co_u32_e32 v1, vcc, v2, v1, vcc
	global_store_dwordx2 v[0:1], v[5:6], off
                                        ; implicit-def: $vgpr0
                                        ; implicit-def: $vgpr1_vgpr2
                                        ; implicit-def: $vgpr5
.LBB409_37:
	s_andn2_saveexec_b64 s[0:1], s[0:1]
	s_cbranch_execz .LBB409_39
; %bb.38:
	v_mad_u64_u32 v[3:4], s[0:1], s6, 26, v[0:1]
	v_mov_b32_e32 v4, 0
	v_mov_b32_e32 v0, s13
	v_lshlrev_b64 v[3:4], 3, v[3:4]
	v_add_co_u32_e32 v3, vcc, s12, v3
	v_addc_co_u32_e32 v4, vcc, v0, v4, vcc
	global_load_dwordx2 v[7:8], v[3:4], off
	s_waitcnt vmcnt(0)
	v_fmac_f32_e32 v5, v1, v7
	v_fmac_f32_e32 v6, v2, v7
	v_fma_f32 v5, -v2, v8, v5
	v_fmac_f32_e32 v6, v1, v8
	global_store_dwordx2 v[3:4], v[5:6], off
.LBB409_39:
	s_endpgm
	.section	.rodata,"a",@progbits
	.p2align	6, 0x0
	.amdhsa_kernel _ZN9rocsparseL20bsrxmvn_17_32_kernelILj26E21rocsparse_complex_numIfElifS2_S2_EEvT2_20rocsparse_direction_NS_24const_host_device_scalarIT0_EES3_PKS3_PKT1_SC_S9_PKT3_PKT4_S7_PT5_21rocsparse_index_base_b
		.amdhsa_group_segment_fixed_size 5408
		.amdhsa_private_segment_fixed_size 0
		.amdhsa_kernarg_size 96
		.amdhsa_user_sgpr_count 6
		.amdhsa_user_sgpr_private_segment_buffer 1
		.amdhsa_user_sgpr_dispatch_ptr 0
		.amdhsa_user_sgpr_queue_ptr 0
		.amdhsa_user_sgpr_kernarg_segment_ptr 1
		.amdhsa_user_sgpr_dispatch_id 0
		.amdhsa_user_sgpr_flat_scratch_init 0
		.amdhsa_user_sgpr_private_segment_size 0
		.amdhsa_uses_dynamic_stack 0
		.amdhsa_system_sgpr_private_segment_wavefront_offset 0
		.amdhsa_system_sgpr_workgroup_id_x 1
		.amdhsa_system_sgpr_workgroup_id_y 0
		.amdhsa_system_sgpr_workgroup_id_z 0
		.amdhsa_system_sgpr_workgroup_info 0
		.amdhsa_system_vgpr_workitem_id 0
		.amdhsa_next_free_vgpr 25
		.amdhsa_next_free_sgpr 61
		.amdhsa_reserve_vcc 1
		.amdhsa_reserve_flat_scratch 0
		.amdhsa_float_round_mode_32 0
		.amdhsa_float_round_mode_16_64 0
		.amdhsa_float_denorm_mode_32 3
		.amdhsa_float_denorm_mode_16_64 3
		.amdhsa_dx10_clamp 1
		.amdhsa_ieee_mode 1
		.amdhsa_fp16_overflow 0
		.amdhsa_exception_fp_ieee_invalid_op 0
		.amdhsa_exception_fp_denorm_src 0
		.amdhsa_exception_fp_ieee_div_zero 0
		.amdhsa_exception_fp_ieee_overflow 0
		.amdhsa_exception_fp_ieee_underflow 0
		.amdhsa_exception_fp_ieee_inexact 0
		.amdhsa_exception_int_div_zero 0
	.end_amdhsa_kernel
	.section	.text._ZN9rocsparseL20bsrxmvn_17_32_kernelILj26E21rocsparse_complex_numIfElifS2_S2_EEvT2_20rocsparse_direction_NS_24const_host_device_scalarIT0_EES3_PKS3_PKT1_SC_S9_PKT3_PKT4_S7_PT5_21rocsparse_index_base_b,"axG",@progbits,_ZN9rocsparseL20bsrxmvn_17_32_kernelILj26E21rocsparse_complex_numIfElifS2_S2_EEvT2_20rocsparse_direction_NS_24const_host_device_scalarIT0_EES3_PKS3_PKT1_SC_S9_PKT3_PKT4_S7_PT5_21rocsparse_index_base_b,comdat
.Lfunc_end409:
	.size	_ZN9rocsparseL20bsrxmvn_17_32_kernelILj26E21rocsparse_complex_numIfElifS2_S2_EEvT2_20rocsparse_direction_NS_24const_host_device_scalarIT0_EES3_PKS3_PKT1_SC_S9_PKT3_PKT4_S7_PT5_21rocsparse_index_base_b, .Lfunc_end409-_ZN9rocsparseL20bsrxmvn_17_32_kernelILj26E21rocsparse_complex_numIfElifS2_S2_EEvT2_20rocsparse_direction_NS_24const_host_device_scalarIT0_EES3_PKS3_PKT1_SC_S9_PKT3_PKT4_S7_PT5_21rocsparse_index_base_b
                                        ; -- End function
	.set _ZN9rocsparseL20bsrxmvn_17_32_kernelILj26E21rocsparse_complex_numIfElifS2_S2_EEvT2_20rocsparse_direction_NS_24const_host_device_scalarIT0_EES3_PKS3_PKT1_SC_S9_PKT3_PKT4_S7_PT5_21rocsparse_index_base_b.num_vgpr, 20
	.set _ZN9rocsparseL20bsrxmvn_17_32_kernelILj26E21rocsparse_complex_numIfElifS2_S2_EEvT2_20rocsparse_direction_NS_24const_host_device_scalarIT0_EES3_PKS3_PKT1_SC_S9_PKT3_PKT4_S7_PT5_21rocsparse_index_base_b.num_agpr, 0
	.set _ZN9rocsparseL20bsrxmvn_17_32_kernelILj26E21rocsparse_complex_numIfElifS2_S2_EEvT2_20rocsparse_direction_NS_24const_host_device_scalarIT0_EES3_PKS3_PKT1_SC_S9_PKT3_PKT4_S7_PT5_21rocsparse_index_base_b.numbered_sgpr, 22
	.set _ZN9rocsparseL20bsrxmvn_17_32_kernelILj26E21rocsparse_complex_numIfElifS2_S2_EEvT2_20rocsparse_direction_NS_24const_host_device_scalarIT0_EES3_PKS3_PKT1_SC_S9_PKT3_PKT4_S7_PT5_21rocsparse_index_base_b.num_named_barrier, 0
	.set _ZN9rocsparseL20bsrxmvn_17_32_kernelILj26E21rocsparse_complex_numIfElifS2_S2_EEvT2_20rocsparse_direction_NS_24const_host_device_scalarIT0_EES3_PKS3_PKT1_SC_S9_PKT3_PKT4_S7_PT5_21rocsparse_index_base_b.private_seg_size, 0
	.set _ZN9rocsparseL20bsrxmvn_17_32_kernelILj26E21rocsparse_complex_numIfElifS2_S2_EEvT2_20rocsparse_direction_NS_24const_host_device_scalarIT0_EES3_PKS3_PKT1_SC_S9_PKT3_PKT4_S7_PT5_21rocsparse_index_base_b.uses_vcc, 1
	.set _ZN9rocsparseL20bsrxmvn_17_32_kernelILj26E21rocsparse_complex_numIfElifS2_S2_EEvT2_20rocsparse_direction_NS_24const_host_device_scalarIT0_EES3_PKS3_PKT1_SC_S9_PKT3_PKT4_S7_PT5_21rocsparse_index_base_b.uses_flat_scratch, 0
	.set _ZN9rocsparseL20bsrxmvn_17_32_kernelILj26E21rocsparse_complex_numIfElifS2_S2_EEvT2_20rocsparse_direction_NS_24const_host_device_scalarIT0_EES3_PKS3_PKT1_SC_S9_PKT3_PKT4_S7_PT5_21rocsparse_index_base_b.has_dyn_sized_stack, 0
	.set _ZN9rocsparseL20bsrxmvn_17_32_kernelILj26E21rocsparse_complex_numIfElifS2_S2_EEvT2_20rocsparse_direction_NS_24const_host_device_scalarIT0_EES3_PKS3_PKT1_SC_S9_PKT3_PKT4_S7_PT5_21rocsparse_index_base_b.has_recursion, 0
	.set _ZN9rocsparseL20bsrxmvn_17_32_kernelILj26E21rocsparse_complex_numIfElifS2_S2_EEvT2_20rocsparse_direction_NS_24const_host_device_scalarIT0_EES3_PKS3_PKT1_SC_S9_PKT3_PKT4_S7_PT5_21rocsparse_index_base_b.has_indirect_call, 0
	.section	.AMDGPU.csdata,"",@progbits
; Kernel info:
; codeLenInByte = 1488
; TotalNumSgprs: 26
; NumVgprs: 20
; ScratchSize: 0
; MemoryBound: 0
; FloatMode: 240
; IeeeMode: 1
; LDSByteSize: 5408 bytes/workgroup (compile time only)
; SGPRBlocks: 8
; VGPRBlocks: 6
; NumSGPRsForWavesPerEU: 65
; NumVGPRsForWavesPerEU: 25
; Occupancy: 9
; WaveLimiterHint : 1
; COMPUTE_PGM_RSRC2:SCRATCH_EN: 0
; COMPUTE_PGM_RSRC2:USER_SGPR: 6
; COMPUTE_PGM_RSRC2:TRAP_HANDLER: 0
; COMPUTE_PGM_RSRC2:TGID_X_EN: 1
; COMPUTE_PGM_RSRC2:TGID_Y_EN: 0
; COMPUTE_PGM_RSRC2:TGID_Z_EN: 0
; COMPUTE_PGM_RSRC2:TIDIG_COMP_CNT: 0
	.section	.text._ZN9rocsparseL20bsrxmvn_17_32_kernelILj27E21rocsparse_complex_numIfElifS2_S2_EEvT2_20rocsparse_direction_NS_24const_host_device_scalarIT0_EES3_PKS3_PKT1_SC_S9_PKT3_PKT4_S7_PT5_21rocsparse_index_base_b,"axG",@progbits,_ZN9rocsparseL20bsrxmvn_17_32_kernelILj27E21rocsparse_complex_numIfElifS2_S2_EEvT2_20rocsparse_direction_NS_24const_host_device_scalarIT0_EES3_PKS3_PKT1_SC_S9_PKT3_PKT4_S7_PT5_21rocsparse_index_base_b,comdat
	.globl	_ZN9rocsparseL20bsrxmvn_17_32_kernelILj27E21rocsparse_complex_numIfElifS2_S2_EEvT2_20rocsparse_direction_NS_24const_host_device_scalarIT0_EES3_PKS3_PKT1_SC_S9_PKT3_PKT4_S7_PT5_21rocsparse_index_base_b ; -- Begin function _ZN9rocsparseL20bsrxmvn_17_32_kernelILj27E21rocsparse_complex_numIfElifS2_S2_EEvT2_20rocsparse_direction_NS_24const_host_device_scalarIT0_EES3_PKS3_PKT1_SC_S9_PKT3_PKT4_S7_PT5_21rocsparse_index_base_b
	.p2align	8
	.type	_ZN9rocsparseL20bsrxmvn_17_32_kernelILj27E21rocsparse_complex_numIfElifS2_S2_EEvT2_20rocsparse_direction_NS_24const_host_device_scalarIT0_EES3_PKS3_PKT1_SC_S9_PKT3_PKT4_S7_PT5_21rocsparse_index_base_b,@function
_ZN9rocsparseL20bsrxmvn_17_32_kernelILj27E21rocsparse_complex_numIfElifS2_S2_EEvT2_20rocsparse_direction_NS_24const_host_device_scalarIT0_EES3_PKS3_PKT1_SC_S9_PKT3_PKT4_S7_PT5_21rocsparse_index_base_b: ; @_ZN9rocsparseL20bsrxmvn_17_32_kernelILj27E21rocsparse_complex_numIfElifS2_S2_EEvT2_20rocsparse_direction_NS_24const_host_device_scalarIT0_EES3_PKS3_PKT1_SC_S9_PKT3_PKT4_S7_PT5_21rocsparse_index_base_b
; %bb.0:
	s_load_dwordx2 s[0:1], s[4:5], 0x8
	s_load_dwordx2 s[14:15], s[4:5], 0x58
	s_add_u32 s7, s4, 8
	s_addc_u32 s8, s5, 0
	s_add_u32 s9, s4, 0x48
	s_load_dwordx2 s[2:3], s[4:5], 0x48
	s_addc_u32 s10, s5, 0
	s_waitcnt lgkmcnt(0)
	s_bitcmp1_b32 s15, 0
	s_cselect_b32 s1, s8, s1
	s_cselect_b32 s0, s7, s0
	v_mov_b32_e32 v1, s0
	v_mov_b32_e32 v2, s1
	flat_load_dwordx2 v[3:4], v[1:2]
	s_cselect_b32 s0, s10, s3
	s_cselect_b32 s1, s9, s2
	v_mov_b32_e32 v1, s1
	v_mov_b32_e32 v2, s0
	flat_load_dwordx2 v[1:2], v[1:2]
	s_waitcnt vmcnt(0) lgkmcnt(0)
	v_cmp_eq_f32_e32 vcc, 0, v3
	v_cmp_eq_f32_e64 s[0:1], 0, v4
	s_and_b64 s[8:9], vcc, s[0:1]
	s_mov_b64 s[0:1], -1
	s_and_saveexec_b64 s[2:3], s[8:9]
; %bb.1:
	v_cmp_neq_f32_e32 vcc, 1.0, v1
	v_cmp_neq_f32_e64 s[0:1], 0, v2
	s_or_b64 s[0:1], vcc, s[0:1]
	s_orn2_b64 s[0:1], s[0:1], exec
; %bb.2:
	s_or_b64 exec, exec, s[2:3]
	s_and_saveexec_b64 s[2:3], s[0:1]
	s_cbranch_execz .LBB410_39
; %bb.3:
	s_load_dwordx4 s[0:3], s[4:5], 0x18
	s_load_dwordx2 s[8:9], s[4:5], 0x28
	s_waitcnt lgkmcnt(0)
	s_cmp_eq_u64 s[0:1], 0
	s_cbranch_scc1 .LBB410_5
; %bb.4:
	s_ashr_i32 s7, s6, 31
	s_lshl_b64 s[6:7], s[6:7], 2
	s_add_u32 s0, s0, s6
	s_addc_u32 s1, s1, s7
	s_load_dword s0, s[0:1], 0x0
	s_waitcnt lgkmcnt(0)
	s_sub_i32 s6, s0, s14
.LBB410_5:
	s_load_dword s7, s[4:5], 0x4
	s_load_dwordx2 s[12:13], s[4:5], 0x50
	v_mul_u32_u24_e32 v7, 0x97c, v0
	v_mov_b32_e32 v5, 27
	v_mul_lo_u16_sdwa v5, v7, v5 dst_sel:DWORD dst_unused:UNUSED_PAD src0_sel:WORD_1 src1_sel:DWORD
	s_waitcnt lgkmcnt(0)
	s_cmp_eq_u32 s7, 1
	s_cselect_b64 s[0:1], -1, 0
	s_cmp_lg_u32 s7, 1
	s_cselect_b64 s[16:17], -1, 0
	s_ashr_i32 s7, s6, 31
	s_lshl_b64 s[10:11], s[6:7], 3
	s_add_u32 s2, s2, s10
	s_addc_u32 s3, s3, s11
	s_add_u32 s7, s2, 8
	s_addc_u32 s15, s3, 0
	;; [unrolled: 2-line block ×3, first 2 shown]
	s_cmp_eq_u64 s[8:9], 0
	s_cselect_b32 s9, s15, s11
	s_cselect_b32 s8, s7, s10
	s_load_dwordx2 s[18:19], s[8:9], 0x0
	s_load_dwordx2 s[20:21], s[2:3], 0x0
	v_sub_u16_e32 v14, v0, v5
	s_waitcnt lgkmcnt(0)
	v_mov_b32_e32 v5, s18
	v_mov_b32_e32 v6, s19
	v_cmp_ge_i64_e32 vcc, s[20:21], v[5:6]
	v_mov_b32_e32 v6, 0
	v_mov_b32_e32 v5, 0
	s_cbranch_vccnz .LBB410_10
; %bb.6:
	s_load_dwordx4 s[8:11], s[4:5], 0x30
	s_load_dwordx2 s[2:3], s[4:5], 0x40
	s_sub_u32 s4, s18, s14
	s_mov_b32 s7, 0xffff
	s_subb_u32 s5, s19, 0
	s_movk_i32 s15, 0x2d9
	v_and_b32_sdwa v5, s7, v7 dst_sel:DWORD dst_unused:UNUSED_PAD src0_sel:DWORD src1_sel:WORD_1
	v_subrev_u32_e32 v6, 27, v5
	v_cmp_gt_u32_e32 vcc, s15, v0
	s_sub_u32 s18, s20, s14
	v_cndmask_b32_e32 v5, v6, v5, vcc
	s_subb_u32 s19, s21, 0
	v_cndmask_b32_e64 v7, v14, v5, s[0:1]
	s_mul_i32 s0, s19, 0xb64
	s_mul_hi_u32 s1, s18, 0xb64
	s_add_i32 s1, s1, s0
	s_mul_i32 s0, s18, 0xb64
	s_waitcnt lgkmcnt(0)
	s_add_u32 s0, s10, s0
	s_addc_u32 s1, s11, s1
	v_lshlrev_b32_e32 v5, 2, v0
	v_mov_b32_e32 v9, s1
	v_add_co_u32_e32 v8, vcc, s0, v5
	v_addc_co_u32_e32 v9, vcc, 0, v9, vcc
	s_movk_i32 s0, 0x2d8
	v_cmp_lt_u32_e32 vcc, s0, v0
	v_cndmask_b32_e64 v15, 0, 1, vcc
	v_mov_b32_e32 v5, s21
	v_add_co_u32_e32 v10, vcc, s20, v15
	v_addc_co_u32_e32 v5, vcc, 0, v5, vcc
	v_subrev_co_u32_e32 v10, vcc, s14, v10
	v_subbrev_co_u32_e32 v11, vcc, 0, v5, vcc
	v_lshlrev_b64 v[10:11], 2, v[10:11]
	v_mov_b32_e32 v6, 0
	v_mov_b32_e32 v5, s9
	v_add_co_u32_e32 v10, vcc, s8, v10
	v_mov_b32_e32 v13, s5
	v_addc_co_u32_e32 v11, vcc, v5, v11, vcc
	v_mov_b32_e32 v12, s4
	v_mov_b32_e32 v5, v6
	s_branch .LBB410_8
.LBB410_7:                              ;   in Loop: Header=BB410_8 Depth=1
	s_or_b64 exec, exec, s[0:1]
	s_add_u32 s18, s18, 1
	s_addc_u32 s19, s19, 0
	v_cmp_lt_i64_e32 vcc, s[18:19], v[12:13]
	v_add_co_u32_e64 v10, s[0:1], 4, v10
	v_addc_co_u32_e64 v11, s[0:1], 0, v11, s[0:1]
	s_cbranch_vccz .LBB410_10
.LBB410_8:                              ; =>This Inner Loop Header: Depth=1
	v_mov_b32_e32 v17, s19
	v_add_co_u32_e32 v16, vcc, s18, v15
	v_addc_co_u32_e32 v17, vcc, 0, v17, vcc
	v_cmp_gt_i64_e32 vcc, s[4:5], v[16:17]
	s_and_saveexec_b64 s[0:1], vcc
	s_cbranch_execz .LBB410_7
; %bb.9:                                ;   in Loop: Header=BB410_8 Depth=1
	global_load_dword v16, v[10:11], off
	v_mov_b32_e32 v19, s3
	global_load_dword v18, v[8:9], off
	s_waitcnt vmcnt(1)
	v_subrev_u32_e32 v16, s14, v16
	v_mad_u64_u32 v[16:17], s[8:9], v16, 27, v[7:8]
	v_ashrrev_i32_e32 v17, 31, v16
	v_lshlrev_b64 v[16:17], 3, v[16:17]
	v_add_co_u32_e32 v16, vcc, s2, v16
	v_addc_co_u32_e32 v17, vcc, v19, v17, vcc
	global_load_dwordx2 v[16:17], v[16:17], off
	v_add_co_u32_e32 v8, vcc, 0xb64, v8
	v_addc_co_u32_e32 v9, vcc, 0, v9, vcc
	s_waitcnt vmcnt(0)
	v_fmac_f32_e32 v5, v18, v16
	v_fmac_f32_e32 v6, 0, v16
	;; [unrolled: 1-line block ×4, first 2 shown]
	s_branch .LBB410_7
.LBB410_10:
	v_lshlrev_b32_e32 v7, 3, v0
	s_and_b64 vcc, exec, s[16:17]
	ds_write_b64 v7, v[5:6]
	s_waitcnt lgkmcnt(0)
	s_barrier
	s_cbranch_vccz .LBB410_22
; %bb.11:
	v_cmp_gt_u16_e32 vcc, 11, v14
	s_and_saveexec_b64 s[0:1], vcc
	s_cbranch_execz .LBB410_13
; %bb.12:
	ds_read2_b64 v[8:11], v7 offset1:16
	s_waitcnt lgkmcnt(0)
	v_add_f32_e32 v8, v10, v8
	v_add_f32_e32 v9, v11, v9
	ds_write_b64 v7, v[8:9]
.LBB410_13:
	s_or_b64 exec, exec, s[0:1]
	v_cmp_gt_u16_e32 vcc, 8, v14
	s_waitcnt lgkmcnt(0)
	s_barrier
	s_and_saveexec_b64 s[0:1], vcc
	s_cbranch_execz .LBB410_15
; %bb.14:
	ds_read2_b64 v[8:11], v7 offset1:8
	s_waitcnt lgkmcnt(0)
	v_add_f32_e32 v8, v10, v8
	v_add_f32_e32 v9, v11, v9
	ds_write_b64 v7, v[8:9]
.LBB410_15:
	s_or_b64 exec, exec, s[0:1]
	v_cmp_gt_u16_e32 vcc, 4, v14
	s_waitcnt lgkmcnt(0)
	s_barrier
	;; [unrolled: 13-line block ×3, first 2 shown]
	s_and_saveexec_b64 s[0:1], vcc
	s_cbranch_execz .LBB410_19
; %bb.18:
	ds_read2_b64 v[8:11], v7 offset1:2
	s_waitcnt lgkmcnt(0)
	v_add_f32_e32 v8, v10, v8
	v_add_f32_e32 v9, v11, v9
	ds_write_b64 v7, v[8:9]
.LBB410_19:
	s_or_b64 exec, exec, s[0:1]
	v_cmp_gt_u32_e32 vcc, 27, v0
	v_mov_b32_e32 v9, v6
	v_mov_b32_e32 v8, v5
	s_waitcnt lgkmcnt(0)
	s_barrier
	s_and_saveexec_b64 s[0:1], vcc
	s_cbranch_execz .LBB410_21
; %bb.20:
	s_movk_i32 s2, 0xd0
	v_mad_u32_u24 v8, v0, s2, v7
	ds_read2_b64 v[8:11], v8 offset1:1
	s_waitcnt lgkmcnt(0)
	v_add_f32_e32 v8, v10, v8
	v_add_f32_e32 v9, v11, v9
.LBB410_21:
	s_or_b64 exec, exec, s[0:1]
	s_branch .LBB410_34
.LBB410_22:
                                        ; implicit-def: $vgpr9
                                        ; implicit-def: $vgpr8
	s_cbranch_execz .LBB410_34
; %bb.23:
	s_movk_i32 s0, 0x129
	v_cmp_gt_u32_e32 vcc, s0, v0
	s_and_saveexec_b64 s[0:1], vcc
	s_cbranch_execz .LBB410_25
; %bb.24:
	ds_read_b64 v[8:9], v7 offset:3456
	ds_read_b64 v[10:11], v7
	s_waitcnt lgkmcnt(0)
	v_add_f32_e32 v8, v8, v10
	v_add_f32_e32 v9, v9, v11
	ds_write_b64 v7, v[8:9]
.LBB410_25:
	s_or_b64 exec, exec, s[0:1]
	s_movk_i32 s0, 0xd8
	v_cmp_gt_u32_e32 vcc, s0, v0
	s_waitcnt lgkmcnt(0)
	s_barrier
	s_and_saveexec_b64 s[0:1], vcc
	s_cbranch_execz .LBB410_27
; %bb.26:
	ds_read2_b64 v[8:11], v7 offset1:216
	s_waitcnt lgkmcnt(0)
	v_add_f32_e32 v8, v10, v8
	v_add_f32_e32 v9, v11, v9
	ds_write_b64 v7, v[8:9]
.LBB410_27:
	s_or_b64 exec, exec, s[0:1]
	s_movk_i32 s0, 0x6c
	v_cmp_gt_u32_e32 vcc, s0, v0
	s_waitcnt lgkmcnt(0)
	s_barrier
	s_and_saveexec_b64 s[0:1], vcc
	s_cbranch_execz .LBB410_29
; %bb.28:
	ds_read2_b64 v[8:11], v7 offset1:108
	s_waitcnt lgkmcnt(0)
	v_add_f32_e32 v8, v10, v8
	v_add_f32_e32 v9, v11, v9
	ds_write_b64 v7, v[8:9]
.LBB410_29:
	s_or_b64 exec, exec, s[0:1]
	v_cmp_gt_u32_e32 vcc, 54, v0
	s_waitcnt lgkmcnt(0)
	s_barrier
	s_and_saveexec_b64 s[0:1], vcc
	s_cbranch_execz .LBB410_31
; %bb.30:
	ds_read2_b64 v[8:11], v7 offset1:54
	s_waitcnt lgkmcnt(0)
	v_add_f32_e32 v8, v10, v8
	v_add_f32_e32 v9, v11, v9
	ds_write_b64 v7, v[8:9]
.LBB410_31:
	s_or_b64 exec, exec, s[0:1]
	v_cmp_gt_u32_e32 vcc, 27, v0
	s_waitcnt lgkmcnt(0)
	s_and_saveexec_b64 s[0:1], vcc
	s_cbranch_execz .LBB410_33
; %bb.32:
	ds_read2_b64 v[5:8], v7 offset1:27
	s_waitcnt lgkmcnt(0)
	v_add_f32_e32 v5, v7, v5
	v_add_f32_e32 v6, v8, v6
.LBB410_33:
	s_or_b64 exec, exec, s[0:1]
	v_mov_b32_e32 v9, v6
	v_mov_b32_e32 v8, v5
.LBB410_34:
	v_cmp_gt_u32_e32 vcc, 27, v0
	s_and_b64 exec, exec, vcc
	s_cbranch_execz .LBB410_39
; %bb.35:
	v_cmp_eq_f32_e32 vcc, 0, v1
	v_cmp_eq_f32_e64 s[0:1], 0, v2
	v_mul_f32_e64 v5, v9, -v4
	v_mul_f32_e32 v6, v3, v9
	s_and_b64 s[0:1], vcc, s[0:1]
	v_fmac_f32_e32 v5, v3, v8
	v_fmac_f32_e32 v6, v4, v8
	s_and_saveexec_b64 s[2:3], s[0:1]
	s_xor_b64 s[0:1], exec, s[2:3]
	s_cbranch_execz .LBB410_37
; %bb.36:
	v_mad_u64_u32 v[0:1], s[2:3], s6, 27, v[0:1]
	v_mov_b32_e32 v1, 0
	v_mov_b32_e32 v2, s13
	v_lshlrev_b64 v[0:1], 3, v[0:1]
	v_add_co_u32_e32 v0, vcc, s12, v0
	v_addc_co_u32_e32 v1, vcc, v2, v1, vcc
	global_store_dwordx2 v[0:1], v[5:6], off
                                        ; implicit-def: $vgpr0
                                        ; implicit-def: $vgpr1_vgpr2
                                        ; implicit-def: $vgpr5
.LBB410_37:
	s_andn2_saveexec_b64 s[0:1], s[0:1]
	s_cbranch_execz .LBB410_39
; %bb.38:
	v_mad_u64_u32 v[3:4], s[0:1], s6, 27, v[0:1]
	v_mov_b32_e32 v4, 0
	v_mov_b32_e32 v0, s13
	v_lshlrev_b64 v[3:4], 3, v[3:4]
	v_add_co_u32_e32 v3, vcc, s12, v3
	v_addc_co_u32_e32 v4, vcc, v0, v4, vcc
	global_load_dwordx2 v[7:8], v[3:4], off
	s_waitcnt vmcnt(0)
	v_fmac_f32_e32 v5, v1, v7
	v_fmac_f32_e32 v6, v2, v7
	v_fma_f32 v5, -v2, v8, v5
	v_fmac_f32_e32 v6, v1, v8
	global_store_dwordx2 v[3:4], v[5:6], off
.LBB410_39:
	s_endpgm
	.section	.rodata,"a",@progbits
	.p2align	6, 0x0
	.amdhsa_kernel _ZN9rocsparseL20bsrxmvn_17_32_kernelILj27E21rocsparse_complex_numIfElifS2_S2_EEvT2_20rocsparse_direction_NS_24const_host_device_scalarIT0_EES3_PKS3_PKT1_SC_S9_PKT3_PKT4_S7_PT5_21rocsparse_index_base_b
		.amdhsa_group_segment_fixed_size 5832
		.amdhsa_private_segment_fixed_size 0
		.amdhsa_kernarg_size 96
		.amdhsa_user_sgpr_count 6
		.amdhsa_user_sgpr_private_segment_buffer 1
		.amdhsa_user_sgpr_dispatch_ptr 0
		.amdhsa_user_sgpr_queue_ptr 0
		.amdhsa_user_sgpr_kernarg_segment_ptr 1
		.amdhsa_user_sgpr_dispatch_id 0
		.amdhsa_user_sgpr_flat_scratch_init 0
		.amdhsa_user_sgpr_private_segment_size 0
		.amdhsa_uses_dynamic_stack 0
		.amdhsa_system_sgpr_private_segment_wavefront_offset 0
		.amdhsa_system_sgpr_workgroup_id_x 1
		.amdhsa_system_sgpr_workgroup_id_y 0
		.amdhsa_system_sgpr_workgroup_id_z 0
		.amdhsa_system_sgpr_workgroup_info 0
		.amdhsa_system_vgpr_workitem_id 0
		.amdhsa_next_free_vgpr 25
		.amdhsa_next_free_sgpr 61
		.amdhsa_reserve_vcc 1
		.amdhsa_reserve_flat_scratch 0
		.amdhsa_float_round_mode_32 0
		.amdhsa_float_round_mode_16_64 0
		.amdhsa_float_denorm_mode_32 3
		.amdhsa_float_denorm_mode_16_64 3
		.amdhsa_dx10_clamp 1
		.amdhsa_ieee_mode 1
		.amdhsa_fp16_overflow 0
		.amdhsa_exception_fp_ieee_invalid_op 0
		.amdhsa_exception_fp_denorm_src 0
		.amdhsa_exception_fp_ieee_div_zero 0
		.amdhsa_exception_fp_ieee_overflow 0
		.amdhsa_exception_fp_ieee_underflow 0
		.amdhsa_exception_fp_ieee_inexact 0
		.amdhsa_exception_int_div_zero 0
	.end_amdhsa_kernel
	.section	.text._ZN9rocsparseL20bsrxmvn_17_32_kernelILj27E21rocsparse_complex_numIfElifS2_S2_EEvT2_20rocsparse_direction_NS_24const_host_device_scalarIT0_EES3_PKS3_PKT1_SC_S9_PKT3_PKT4_S7_PT5_21rocsparse_index_base_b,"axG",@progbits,_ZN9rocsparseL20bsrxmvn_17_32_kernelILj27E21rocsparse_complex_numIfElifS2_S2_EEvT2_20rocsparse_direction_NS_24const_host_device_scalarIT0_EES3_PKS3_PKT1_SC_S9_PKT3_PKT4_S7_PT5_21rocsparse_index_base_b,comdat
.Lfunc_end410:
	.size	_ZN9rocsparseL20bsrxmvn_17_32_kernelILj27E21rocsparse_complex_numIfElifS2_S2_EEvT2_20rocsparse_direction_NS_24const_host_device_scalarIT0_EES3_PKS3_PKT1_SC_S9_PKT3_PKT4_S7_PT5_21rocsparse_index_base_b, .Lfunc_end410-_ZN9rocsparseL20bsrxmvn_17_32_kernelILj27E21rocsparse_complex_numIfElifS2_S2_EEvT2_20rocsparse_direction_NS_24const_host_device_scalarIT0_EES3_PKS3_PKT1_SC_S9_PKT3_PKT4_S7_PT5_21rocsparse_index_base_b
                                        ; -- End function
	.set _ZN9rocsparseL20bsrxmvn_17_32_kernelILj27E21rocsparse_complex_numIfElifS2_S2_EEvT2_20rocsparse_direction_NS_24const_host_device_scalarIT0_EES3_PKS3_PKT1_SC_S9_PKT3_PKT4_S7_PT5_21rocsparse_index_base_b.num_vgpr, 20
	.set _ZN9rocsparseL20bsrxmvn_17_32_kernelILj27E21rocsparse_complex_numIfElifS2_S2_EEvT2_20rocsparse_direction_NS_24const_host_device_scalarIT0_EES3_PKS3_PKT1_SC_S9_PKT3_PKT4_S7_PT5_21rocsparse_index_base_b.num_agpr, 0
	.set _ZN9rocsparseL20bsrxmvn_17_32_kernelILj27E21rocsparse_complex_numIfElifS2_S2_EEvT2_20rocsparse_direction_NS_24const_host_device_scalarIT0_EES3_PKS3_PKT1_SC_S9_PKT3_PKT4_S7_PT5_21rocsparse_index_base_b.numbered_sgpr, 22
	.set _ZN9rocsparseL20bsrxmvn_17_32_kernelILj27E21rocsparse_complex_numIfElifS2_S2_EEvT2_20rocsparse_direction_NS_24const_host_device_scalarIT0_EES3_PKS3_PKT1_SC_S9_PKT3_PKT4_S7_PT5_21rocsparse_index_base_b.num_named_barrier, 0
	.set _ZN9rocsparseL20bsrxmvn_17_32_kernelILj27E21rocsparse_complex_numIfElifS2_S2_EEvT2_20rocsparse_direction_NS_24const_host_device_scalarIT0_EES3_PKS3_PKT1_SC_S9_PKT3_PKT4_S7_PT5_21rocsparse_index_base_b.private_seg_size, 0
	.set _ZN9rocsparseL20bsrxmvn_17_32_kernelILj27E21rocsparse_complex_numIfElifS2_S2_EEvT2_20rocsparse_direction_NS_24const_host_device_scalarIT0_EES3_PKS3_PKT1_SC_S9_PKT3_PKT4_S7_PT5_21rocsparse_index_base_b.uses_vcc, 1
	.set _ZN9rocsparseL20bsrxmvn_17_32_kernelILj27E21rocsparse_complex_numIfElifS2_S2_EEvT2_20rocsparse_direction_NS_24const_host_device_scalarIT0_EES3_PKS3_PKT1_SC_S9_PKT3_PKT4_S7_PT5_21rocsparse_index_base_b.uses_flat_scratch, 0
	.set _ZN9rocsparseL20bsrxmvn_17_32_kernelILj27E21rocsparse_complex_numIfElifS2_S2_EEvT2_20rocsparse_direction_NS_24const_host_device_scalarIT0_EES3_PKS3_PKT1_SC_S9_PKT3_PKT4_S7_PT5_21rocsparse_index_base_b.has_dyn_sized_stack, 0
	.set _ZN9rocsparseL20bsrxmvn_17_32_kernelILj27E21rocsparse_complex_numIfElifS2_S2_EEvT2_20rocsparse_direction_NS_24const_host_device_scalarIT0_EES3_PKS3_PKT1_SC_S9_PKT3_PKT4_S7_PT5_21rocsparse_index_base_b.has_recursion, 0
	.set _ZN9rocsparseL20bsrxmvn_17_32_kernelILj27E21rocsparse_complex_numIfElifS2_S2_EEvT2_20rocsparse_direction_NS_24const_host_device_scalarIT0_EES3_PKS3_PKT1_SC_S9_PKT3_PKT4_S7_PT5_21rocsparse_index_base_b.has_indirect_call, 0
	.section	.AMDGPU.csdata,"",@progbits
; Kernel info:
; codeLenInByte = 1488
; TotalNumSgprs: 26
; NumVgprs: 20
; ScratchSize: 0
; MemoryBound: 0
; FloatMode: 240
; IeeeMode: 1
; LDSByteSize: 5832 bytes/workgroup (compile time only)
; SGPRBlocks: 8
; VGPRBlocks: 6
; NumSGPRsForWavesPerEU: 65
; NumVGPRsForWavesPerEU: 25
; Occupancy: 9
; WaveLimiterHint : 1
; COMPUTE_PGM_RSRC2:SCRATCH_EN: 0
; COMPUTE_PGM_RSRC2:USER_SGPR: 6
; COMPUTE_PGM_RSRC2:TRAP_HANDLER: 0
; COMPUTE_PGM_RSRC2:TGID_X_EN: 1
; COMPUTE_PGM_RSRC2:TGID_Y_EN: 0
; COMPUTE_PGM_RSRC2:TGID_Z_EN: 0
; COMPUTE_PGM_RSRC2:TIDIG_COMP_CNT: 0
	.section	.text._ZN9rocsparseL20bsrxmvn_17_32_kernelILj28E21rocsparse_complex_numIfElifS2_S2_EEvT2_20rocsparse_direction_NS_24const_host_device_scalarIT0_EES3_PKS3_PKT1_SC_S9_PKT3_PKT4_S7_PT5_21rocsparse_index_base_b,"axG",@progbits,_ZN9rocsparseL20bsrxmvn_17_32_kernelILj28E21rocsparse_complex_numIfElifS2_S2_EEvT2_20rocsparse_direction_NS_24const_host_device_scalarIT0_EES3_PKS3_PKT1_SC_S9_PKT3_PKT4_S7_PT5_21rocsparse_index_base_b,comdat
	.globl	_ZN9rocsparseL20bsrxmvn_17_32_kernelILj28E21rocsparse_complex_numIfElifS2_S2_EEvT2_20rocsparse_direction_NS_24const_host_device_scalarIT0_EES3_PKS3_PKT1_SC_S9_PKT3_PKT4_S7_PT5_21rocsparse_index_base_b ; -- Begin function _ZN9rocsparseL20bsrxmvn_17_32_kernelILj28E21rocsparse_complex_numIfElifS2_S2_EEvT2_20rocsparse_direction_NS_24const_host_device_scalarIT0_EES3_PKS3_PKT1_SC_S9_PKT3_PKT4_S7_PT5_21rocsparse_index_base_b
	.p2align	8
	.type	_ZN9rocsparseL20bsrxmvn_17_32_kernelILj28E21rocsparse_complex_numIfElifS2_S2_EEvT2_20rocsparse_direction_NS_24const_host_device_scalarIT0_EES3_PKS3_PKT1_SC_S9_PKT3_PKT4_S7_PT5_21rocsparse_index_base_b,@function
_ZN9rocsparseL20bsrxmvn_17_32_kernelILj28E21rocsparse_complex_numIfElifS2_S2_EEvT2_20rocsparse_direction_NS_24const_host_device_scalarIT0_EES3_PKS3_PKT1_SC_S9_PKT3_PKT4_S7_PT5_21rocsparse_index_base_b: ; @_ZN9rocsparseL20bsrxmvn_17_32_kernelILj28E21rocsparse_complex_numIfElifS2_S2_EEvT2_20rocsparse_direction_NS_24const_host_device_scalarIT0_EES3_PKS3_PKT1_SC_S9_PKT3_PKT4_S7_PT5_21rocsparse_index_base_b
; %bb.0:
	s_load_dwordx2 s[0:1], s[4:5], 0x8
	s_load_dwordx2 s[14:15], s[4:5], 0x58
	s_add_u32 s7, s4, 8
	s_addc_u32 s8, s5, 0
	s_add_u32 s9, s4, 0x48
	s_load_dwordx2 s[2:3], s[4:5], 0x48
	s_addc_u32 s10, s5, 0
	s_waitcnt lgkmcnt(0)
	s_bitcmp1_b32 s15, 0
	s_cselect_b32 s1, s8, s1
	s_cselect_b32 s0, s7, s0
	v_mov_b32_e32 v1, s0
	v_mov_b32_e32 v2, s1
	flat_load_dwordx2 v[3:4], v[1:2]
	s_cselect_b32 s0, s10, s3
	s_cselect_b32 s1, s9, s2
	v_mov_b32_e32 v1, s1
	v_mov_b32_e32 v2, s0
	flat_load_dwordx2 v[1:2], v[1:2]
	s_waitcnt vmcnt(0) lgkmcnt(0)
	v_cmp_eq_f32_e32 vcc, 0, v3
	v_cmp_eq_f32_e64 s[0:1], 0, v4
	s_and_b64 s[8:9], vcc, s[0:1]
	s_mov_b64 s[0:1], -1
	s_and_saveexec_b64 s[2:3], s[8:9]
; %bb.1:
	v_cmp_neq_f32_e32 vcc, 1.0, v1
	v_cmp_neq_f32_e64 s[0:1], 0, v2
	s_or_b64 s[0:1], vcc, s[0:1]
	s_orn2_b64 s[0:1], s[0:1], exec
; %bb.2:
	s_or_b64 exec, exec, s[2:3]
	s_and_saveexec_b64 s[2:3], s[0:1]
	s_cbranch_execz .LBB411_39
; %bb.3:
	s_load_dwordx4 s[0:3], s[4:5], 0x18
	s_load_dwordx2 s[8:9], s[4:5], 0x28
	s_waitcnt lgkmcnt(0)
	s_cmp_eq_u64 s[0:1], 0
	s_cbranch_scc1 .LBB411_5
; %bb.4:
	s_ashr_i32 s7, s6, 31
	s_lshl_b64 s[6:7], s[6:7], 2
	s_add_u32 s0, s0, s6
	s_addc_u32 s1, s1, s7
	s_load_dword s0, s[0:1], 0x0
	s_waitcnt lgkmcnt(0)
	s_sub_i32 s6, s0, s14
.LBB411_5:
	s_load_dword s7, s[4:5], 0x4
	s_load_dwordx2 s[12:13], s[4:5], 0x50
	v_mul_u32_u24_e32 v7, 0x925, v0
	v_mov_b32_e32 v5, 28
	v_mul_lo_u16_sdwa v5, v7, v5 dst_sel:DWORD dst_unused:UNUSED_PAD src0_sel:WORD_1 src1_sel:DWORD
	s_waitcnt lgkmcnt(0)
	s_cmp_eq_u32 s7, 1
	s_cselect_b64 s[0:1], -1, 0
	s_cmp_lg_u32 s7, 1
	s_cselect_b64 s[16:17], -1, 0
	s_ashr_i32 s7, s6, 31
	s_lshl_b64 s[10:11], s[6:7], 3
	s_add_u32 s2, s2, s10
	s_addc_u32 s3, s3, s11
	s_add_u32 s7, s2, 8
	s_addc_u32 s15, s3, 0
	;; [unrolled: 2-line block ×3, first 2 shown]
	s_cmp_eq_u64 s[8:9], 0
	s_cselect_b32 s9, s15, s11
	s_cselect_b32 s8, s7, s10
	s_load_dwordx2 s[18:19], s[8:9], 0x0
	s_load_dwordx2 s[20:21], s[2:3], 0x0
	v_sub_u16_e32 v14, v0, v5
	s_waitcnt lgkmcnt(0)
	v_mov_b32_e32 v5, s18
	v_mov_b32_e32 v6, s19
	v_cmp_ge_i64_e32 vcc, s[20:21], v[5:6]
	v_mov_b32_e32 v6, 0
	v_mov_b32_e32 v5, 0
	s_cbranch_vccnz .LBB411_10
; %bb.6:
	s_load_dwordx4 s[8:11], s[4:5], 0x30
	s_load_dwordx2 s[2:3], s[4:5], 0x40
	s_sub_u32 s4, s18, s14
	s_mov_b32 s7, 0xffff
	s_subb_u32 s5, s19, 0
	s_movk_i32 s15, 0x310
	v_and_b32_sdwa v5, s7, v7 dst_sel:DWORD dst_unused:UNUSED_PAD src0_sel:DWORD src1_sel:WORD_1
	v_subrev_u32_e32 v6, 28, v5
	v_cmp_gt_u32_e32 vcc, s15, v0
	s_sub_u32 s18, s20, s14
	v_cndmask_b32_e32 v5, v6, v5, vcc
	s_subb_u32 s19, s21, 0
	v_cndmask_b32_e64 v7, v14, v5, s[0:1]
	s_mul_i32 s0, s19, 0xc40
	s_mul_hi_u32 s1, s18, 0xc40
	s_add_i32 s1, s1, s0
	s_mul_i32 s0, s18, 0xc40
	s_waitcnt lgkmcnt(0)
	s_add_u32 s0, s10, s0
	s_addc_u32 s1, s11, s1
	v_lshlrev_b32_e32 v5, 2, v0
	v_mov_b32_e32 v9, s1
	v_add_co_u32_e32 v8, vcc, s0, v5
	v_addc_co_u32_e32 v9, vcc, 0, v9, vcc
	s_movk_i32 s0, 0x30f
	v_cmp_lt_u32_e32 vcc, s0, v0
	v_cndmask_b32_e64 v15, 0, 1, vcc
	v_mov_b32_e32 v5, s21
	v_add_co_u32_e32 v10, vcc, s20, v15
	v_addc_co_u32_e32 v5, vcc, 0, v5, vcc
	v_subrev_co_u32_e32 v10, vcc, s14, v10
	v_subbrev_co_u32_e32 v11, vcc, 0, v5, vcc
	v_lshlrev_b64 v[10:11], 2, v[10:11]
	v_mov_b32_e32 v6, 0
	v_mov_b32_e32 v5, s9
	v_add_co_u32_e32 v10, vcc, s8, v10
	v_mov_b32_e32 v13, s5
	v_addc_co_u32_e32 v11, vcc, v5, v11, vcc
	v_mov_b32_e32 v12, s4
	v_mov_b32_e32 v5, v6
	s_branch .LBB411_8
.LBB411_7:                              ;   in Loop: Header=BB411_8 Depth=1
	s_or_b64 exec, exec, s[0:1]
	s_add_u32 s18, s18, 1
	s_addc_u32 s19, s19, 0
	v_cmp_lt_i64_e32 vcc, s[18:19], v[12:13]
	v_add_co_u32_e64 v10, s[0:1], 4, v10
	v_addc_co_u32_e64 v11, s[0:1], 0, v11, s[0:1]
	s_cbranch_vccz .LBB411_10
.LBB411_8:                              ; =>This Inner Loop Header: Depth=1
	v_mov_b32_e32 v17, s19
	v_add_co_u32_e32 v16, vcc, s18, v15
	v_addc_co_u32_e32 v17, vcc, 0, v17, vcc
	v_cmp_gt_i64_e32 vcc, s[4:5], v[16:17]
	s_and_saveexec_b64 s[0:1], vcc
	s_cbranch_execz .LBB411_7
; %bb.9:                                ;   in Loop: Header=BB411_8 Depth=1
	global_load_dword v16, v[10:11], off
	v_mov_b32_e32 v19, s3
	global_load_dword v18, v[8:9], off
	s_waitcnt vmcnt(1)
	v_subrev_u32_e32 v16, s14, v16
	v_mad_u64_u32 v[16:17], s[8:9], v16, 28, v[7:8]
	v_ashrrev_i32_e32 v17, 31, v16
	v_lshlrev_b64 v[16:17], 3, v[16:17]
	v_add_co_u32_e32 v16, vcc, s2, v16
	v_addc_co_u32_e32 v17, vcc, v19, v17, vcc
	global_load_dwordx2 v[16:17], v[16:17], off
	v_add_co_u32_e32 v8, vcc, 0xc40, v8
	v_addc_co_u32_e32 v9, vcc, 0, v9, vcc
	s_waitcnt vmcnt(0)
	v_fmac_f32_e32 v5, v18, v16
	v_fmac_f32_e32 v6, 0, v16
	;; [unrolled: 1-line block ×4, first 2 shown]
	s_branch .LBB411_7
.LBB411_10:
	v_lshlrev_b32_e32 v7, 3, v0
	s_and_b64 vcc, exec, s[16:17]
	ds_write_b64 v7, v[5:6]
	s_waitcnt lgkmcnt(0)
	s_barrier
	s_cbranch_vccz .LBB411_22
; %bb.11:
	v_cmp_gt_u16_e32 vcc, 12, v14
	s_and_saveexec_b64 s[0:1], vcc
	s_cbranch_execz .LBB411_13
; %bb.12:
	ds_read2_b64 v[8:11], v7 offset1:16
	s_waitcnt lgkmcnt(0)
	v_add_f32_e32 v8, v10, v8
	v_add_f32_e32 v9, v11, v9
	ds_write_b64 v7, v[8:9]
.LBB411_13:
	s_or_b64 exec, exec, s[0:1]
	v_cmp_gt_u16_e32 vcc, 8, v14
	s_waitcnt lgkmcnt(0)
	s_barrier
	s_and_saveexec_b64 s[0:1], vcc
	s_cbranch_execz .LBB411_15
; %bb.14:
	ds_read2_b64 v[8:11], v7 offset1:8
	s_waitcnt lgkmcnt(0)
	v_add_f32_e32 v8, v10, v8
	v_add_f32_e32 v9, v11, v9
	ds_write_b64 v7, v[8:9]
.LBB411_15:
	s_or_b64 exec, exec, s[0:1]
	v_cmp_gt_u16_e32 vcc, 4, v14
	s_waitcnt lgkmcnt(0)
	s_barrier
	s_and_saveexec_b64 s[0:1], vcc
	s_cbranch_execz .LBB411_17
; %bb.16:
	ds_read2_b64 v[8:11], v7 offset1:4
	s_waitcnt lgkmcnt(0)
	v_add_f32_e32 v8, v10, v8
	v_add_f32_e32 v9, v11, v9
	ds_write_b64 v7, v[8:9]
.LBB411_17:
	s_or_b64 exec, exec, s[0:1]
	v_cmp_gt_u16_e32 vcc, 2, v14
	s_waitcnt lgkmcnt(0)
	s_barrier
	s_and_saveexec_b64 s[0:1], vcc
	s_cbranch_execz .LBB411_19
; %bb.18:
	ds_read2_b64 v[8:11], v7 offset1:2
	s_waitcnt lgkmcnt(0)
	v_add_f32_e32 v8, v10, v8
	v_add_f32_e32 v9, v11, v9
	ds_write_b64 v7, v[8:9]
.LBB411_19:
	s_or_b64 exec, exec, s[0:1]
	v_cmp_gt_u32_e32 vcc, 28, v0
	v_mov_b32_e32 v9, v6
	v_mov_b32_e32 v8, v5
	s_waitcnt lgkmcnt(0)
	s_barrier
	s_and_saveexec_b64 s[0:1], vcc
	s_cbranch_execz .LBB411_21
; %bb.20:
	s_movk_i32 s2, 0xd8
	v_mad_u32_u24 v8, v0, s2, v7
	ds_read2_b64 v[8:11], v8 offset1:1
	s_waitcnt lgkmcnt(0)
	v_add_f32_e32 v8, v10, v8
	v_add_f32_e32 v9, v11, v9
.LBB411_21:
	s_or_b64 exec, exec, s[0:1]
	s_branch .LBB411_34
.LBB411_22:
                                        ; implicit-def: $vgpr9
                                        ; implicit-def: $vgpr8
	s_cbranch_execz .LBB411_34
; %bb.23:
	s_movk_i32 s0, 0x150
	v_cmp_gt_u32_e32 vcc, s0, v0
	s_and_saveexec_b64 s[0:1], vcc
	s_cbranch_execz .LBB411_25
; %bb.24:
	ds_read2st64_b64 v[8:11], v7 offset1:7
	s_waitcnt lgkmcnt(0)
	v_add_f32_e32 v8, v10, v8
	v_add_f32_e32 v9, v11, v9
	ds_write_b64 v7, v[8:9]
.LBB411_25:
	s_or_b64 exec, exec, s[0:1]
	s_movk_i32 s0, 0xe0
	v_cmp_gt_u32_e32 vcc, s0, v0
	s_waitcnt lgkmcnt(0)
	s_barrier
	s_and_saveexec_b64 s[0:1], vcc
	s_cbranch_execz .LBB411_27
; %bb.26:
	ds_read2_b64 v[8:11], v7 offset1:224
	s_waitcnt lgkmcnt(0)
	v_add_f32_e32 v8, v10, v8
	v_add_f32_e32 v9, v11, v9
	ds_write_b64 v7, v[8:9]
.LBB411_27:
	s_or_b64 exec, exec, s[0:1]
	s_movk_i32 s0, 0x70
	v_cmp_gt_u32_e32 vcc, s0, v0
	s_waitcnt lgkmcnt(0)
	s_barrier
	s_and_saveexec_b64 s[0:1], vcc
	s_cbranch_execz .LBB411_29
; %bb.28:
	ds_read2_b64 v[8:11], v7 offset1:112
	s_waitcnt lgkmcnt(0)
	v_add_f32_e32 v8, v10, v8
	v_add_f32_e32 v9, v11, v9
	ds_write_b64 v7, v[8:9]
.LBB411_29:
	s_or_b64 exec, exec, s[0:1]
	v_cmp_gt_u32_e32 vcc, 56, v0
	s_waitcnt lgkmcnt(0)
	s_barrier
	s_and_saveexec_b64 s[0:1], vcc
	s_cbranch_execz .LBB411_31
; %bb.30:
	ds_read2_b64 v[8:11], v7 offset1:56
	s_waitcnt lgkmcnt(0)
	v_add_f32_e32 v8, v10, v8
	v_add_f32_e32 v9, v11, v9
	ds_write_b64 v7, v[8:9]
.LBB411_31:
	s_or_b64 exec, exec, s[0:1]
	v_cmp_gt_u32_e32 vcc, 28, v0
	s_waitcnt lgkmcnt(0)
	s_and_saveexec_b64 s[0:1], vcc
	s_cbranch_execz .LBB411_33
; %bb.32:
	ds_read2_b64 v[5:8], v7 offset1:28
	s_waitcnt lgkmcnt(0)
	v_add_f32_e32 v5, v7, v5
	v_add_f32_e32 v6, v8, v6
.LBB411_33:
	s_or_b64 exec, exec, s[0:1]
	v_mov_b32_e32 v9, v6
	v_mov_b32_e32 v8, v5
.LBB411_34:
	v_cmp_gt_u32_e32 vcc, 28, v0
	s_and_b64 exec, exec, vcc
	s_cbranch_execz .LBB411_39
; %bb.35:
	v_cmp_eq_f32_e32 vcc, 0, v1
	v_cmp_eq_f32_e64 s[0:1], 0, v2
	v_mul_f32_e64 v5, v9, -v4
	v_mul_f32_e32 v6, v3, v9
	s_and_b64 s[0:1], vcc, s[0:1]
	v_fmac_f32_e32 v5, v3, v8
	v_fmac_f32_e32 v6, v4, v8
	s_and_saveexec_b64 s[2:3], s[0:1]
	s_xor_b64 s[0:1], exec, s[2:3]
	s_cbranch_execz .LBB411_37
; %bb.36:
	v_mad_u64_u32 v[0:1], s[2:3], s6, 28, v[0:1]
	v_mov_b32_e32 v1, 0
	v_mov_b32_e32 v2, s13
	v_lshlrev_b64 v[0:1], 3, v[0:1]
	v_add_co_u32_e32 v0, vcc, s12, v0
	v_addc_co_u32_e32 v1, vcc, v2, v1, vcc
	global_store_dwordx2 v[0:1], v[5:6], off
                                        ; implicit-def: $vgpr0
                                        ; implicit-def: $vgpr1_vgpr2
                                        ; implicit-def: $vgpr5
.LBB411_37:
	s_andn2_saveexec_b64 s[0:1], s[0:1]
	s_cbranch_execz .LBB411_39
; %bb.38:
	v_mad_u64_u32 v[3:4], s[0:1], s6, 28, v[0:1]
	v_mov_b32_e32 v4, 0
	v_mov_b32_e32 v0, s13
	v_lshlrev_b64 v[3:4], 3, v[3:4]
	v_add_co_u32_e32 v3, vcc, s12, v3
	v_addc_co_u32_e32 v4, vcc, v0, v4, vcc
	global_load_dwordx2 v[7:8], v[3:4], off
	s_waitcnt vmcnt(0)
	v_fmac_f32_e32 v5, v1, v7
	v_fmac_f32_e32 v6, v2, v7
	v_fma_f32 v5, -v2, v8, v5
	v_fmac_f32_e32 v6, v1, v8
	global_store_dwordx2 v[3:4], v[5:6], off
.LBB411_39:
	s_endpgm
	.section	.rodata,"a",@progbits
	.p2align	6, 0x0
	.amdhsa_kernel _ZN9rocsparseL20bsrxmvn_17_32_kernelILj28E21rocsparse_complex_numIfElifS2_S2_EEvT2_20rocsparse_direction_NS_24const_host_device_scalarIT0_EES3_PKS3_PKT1_SC_S9_PKT3_PKT4_S7_PT5_21rocsparse_index_base_b
		.amdhsa_group_segment_fixed_size 6272
		.amdhsa_private_segment_fixed_size 0
		.amdhsa_kernarg_size 96
		.amdhsa_user_sgpr_count 6
		.amdhsa_user_sgpr_private_segment_buffer 1
		.amdhsa_user_sgpr_dispatch_ptr 0
		.amdhsa_user_sgpr_queue_ptr 0
		.amdhsa_user_sgpr_kernarg_segment_ptr 1
		.amdhsa_user_sgpr_dispatch_id 0
		.amdhsa_user_sgpr_flat_scratch_init 0
		.amdhsa_user_sgpr_private_segment_size 0
		.amdhsa_uses_dynamic_stack 0
		.amdhsa_system_sgpr_private_segment_wavefront_offset 0
		.amdhsa_system_sgpr_workgroup_id_x 1
		.amdhsa_system_sgpr_workgroup_id_y 0
		.amdhsa_system_sgpr_workgroup_id_z 0
		.amdhsa_system_sgpr_workgroup_info 0
		.amdhsa_system_vgpr_workitem_id 0
		.amdhsa_next_free_vgpr 20
		.amdhsa_next_free_sgpr 22
		.amdhsa_reserve_vcc 1
		.amdhsa_reserve_flat_scratch 0
		.amdhsa_float_round_mode_32 0
		.amdhsa_float_round_mode_16_64 0
		.amdhsa_float_denorm_mode_32 3
		.amdhsa_float_denorm_mode_16_64 3
		.amdhsa_dx10_clamp 1
		.amdhsa_ieee_mode 1
		.amdhsa_fp16_overflow 0
		.amdhsa_exception_fp_ieee_invalid_op 0
		.amdhsa_exception_fp_denorm_src 0
		.amdhsa_exception_fp_ieee_div_zero 0
		.amdhsa_exception_fp_ieee_overflow 0
		.amdhsa_exception_fp_ieee_underflow 0
		.amdhsa_exception_fp_ieee_inexact 0
		.amdhsa_exception_int_div_zero 0
	.end_amdhsa_kernel
	.section	.text._ZN9rocsparseL20bsrxmvn_17_32_kernelILj28E21rocsparse_complex_numIfElifS2_S2_EEvT2_20rocsparse_direction_NS_24const_host_device_scalarIT0_EES3_PKS3_PKT1_SC_S9_PKT3_PKT4_S7_PT5_21rocsparse_index_base_b,"axG",@progbits,_ZN9rocsparseL20bsrxmvn_17_32_kernelILj28E21rocsparse_complex_numIfElifS2_S2_EEvT2_20rocsparse_direction_NS_24const_host_device_scalarIT0_EES3_PKS3_PKT1_SC_S9_PKT3_PKT4_S7_PT5_21rocsparse_index_base_b,comdat
.Lfunc_end411:
	.size	_ZN9rocsparseL20bsrxmvn_17_32_kernelILj28E21rocsparse_complex_numIfElifS2_S2_EEvT2_20rocsparse_direction_NS_24const_host_device_scalarIT0_EES3_PKS3_PKT1_SC_S9_PKT3_PKT4_S7_PT5_21rocsparse_index_base_b, .Lfunc_end411-_ZN9rocsparseL20bsrxmvn_17_32_kernelILj28E21rocsparse_complex_numIfElifS2_S2_EEvT2_20rocsparse_direction_NS_24const_host_device_scalarIT0_EES3_PKS3_PKT1_SC_S9_PKT3_PKT4_S7_PT5_21rocsparse_index_base_b
                                        ; -- End function
	.set _ZN9rocsparseL20bsrxmvn_17_32_kernelILj28E21rocsparse_complex_numIfElifS2_S2_EEvT2_20rocsparse_direction_NS_24const_host_device_scalarIT0_EES3_PKS3_PKT1_SC_S9_PKT3_PKT4_S7_PT5_21rocsparse_index_base_b.num_vgpr, 20
	.set _ZN9rocsparseL20bsrxmvn_17_32_kernelILj28E21rocsparse_complex_numIfElifS2_S2_EEvT2_20rocsparse_direction_NS_24const_host_device_scalarIT0_EES3_PKS3_PKT1_SC_S9_PKT3_PKT4_S7_PT5_21rocsparse_index_base_b.num_agpr, 0
	.set _ZN9rocsparseL20bsrxmvn_17_32_kernelILj28E21rocsparse_complex_numIfElifS2_S2_EEvT2_20rocsparse_direction_NS_24const_host_device_scalarIT0_EES3_PKS3_PKT1_SC_S9_PKT3_PKT4_S7_PT5_21rocsparse_index_base_b.numbered_sgpr, 22
	.set _ZN9rocsparseL20bsrxmvn_17_32_kernelILj28E21rocsparse_complex_numIfElifS2_S2_EEvT2_20rocsparse_direction_NS_24const_host_device_scalarIT0_EES3_PKS3_PKT1_SC_S9_PKT3_PKT4_S7_PT5_21rocsparse_index_base_b.num_named_barrier, 0
	.set _ZN9rocsparseL20bsrxmvn_17_32_kernelILj28E21rocsparse_complex_numIfElifS2_S2_EEvT2_20rocsparse_direction_NS_24const_host_device_scalarIT0_EES3_PKS3_PKT1_SC_S9_PKT3_PKT4_S7_PT5_21rocsparse_index_base_b.private_seg_size, 0
	.set _ZN9rocsparseL20bsrxmvn_17_32_kernelILj28E21rocsparse_complex_numIfElifS2_S2_EEvT2_20rocsparse_direction_NS_24const_host_device_scalarIT0_EES3_PKS3_PKT1_SC_S9_PKT3_PKT4_S7_PT5_21rocsparse_index_base_b.uses_vcc, 1
	.set _ZN9rocsparseL20bsrxmvn_17_32_kernelILj28E21rocsparse_complex_numIfElifS2_S2_EEvT2_20rocsparse_direction_NS_24const_host_device_scalarIT0_EES3_PKS3_PKT1_SC_S9_PKT3_PKT4_S7_PT5_21rocsparse_index_base_b.uses_flat_scratch, 0
	.set _ZN9rocsparseL20bsrxmvn_17_32_kernelILj28E21rocsparse_complex_numIfElifS2_S2_EEvT2_20rocsparse_direction_NS_24const_host_device_scalarIT0_EES3_PKS3_PKT1_SC_S9_PKT3_PKT4_S7_PT5_21rocsparse_index_base_b.has_dyn_sized_stack, 0
	.set _ZN9rocsparseL20bsrxmvn_17_32_kernelILj28E21rocsparse_complex_numIfElifS2_S2_EEvT2_20rocsparse_direction_NS_24const_host_device_scalarIT0_EES3_PKS3_PKT1_SC_S9_PKT3_PKT4_S7_PT5_21rocsparse_index_base_b.has_recursion, 0
	.set _ZN9rocsparseL20bsrxmvn_17_32_kernelILj28E21rocsparse_complex_numIfElifS2_S2_EEvT2_20rocsparse_direction_NS_24const_host_device_scalarIT0_EES3_PKS3_PKT1_SC_S9_PKT3_PKT4_S7_PT5_21rocsparse_index_base_b.has_indirect_call, 0
	.section	.AMDGPU.csdata,"",@progbits
; Kernel info:
; codeLenInByte = 1480
; TotalNumSgprs: 26
; NumVgprs: 20
; ScratchSize: 0
; MemoryBound: 0
; FloatMode: 240
; IeeeMode: 1
; LDSByteSize: 6272 bytes/workgroup (compile time only)
; SGPRBlocks: 3
; VGPRBlocks: 4
; NumSGPRsForWavesPerEU: 26
; NumVGPRsForWavesPerEU: 20
; Occupancy: 10
; WaveLimiterHint : 1
; COMPUTE_PGM_RSRC2:SCRATCH_EN: 0
; COMPUTE_PGM_RSRC2:USER_SGPR: 6
; COMPUTE_PGM_RSRC2:TRAP_HANDLER: 0
; COMPUTE_PGM_RSRC2:TGID_X_EN: 1
; COMPUTE_PGM_RSRC2:TGID_Y_EN: 0
; COMPUTE_PGM_RSRC2:TGID_Z_EN: 0
; COMPUTE_PGM_RSRC2:TIDIG_COMP_CNT: 0
	.section	.text._ZN9rocsparseL20bsrxmvn_17_32_kernelILj29E21rocsparse_complex_numIfElifS2_S2_EEvT2_20rocsparse_direction_NS_24const_host_device_scalarIT0_EES3_PKS3_PKT1_SC_S9_PKT3_PKT4_S7_PT5_21rocsparse_index_base_b,"axG",@progbits,_ZN9rocsparseL20bsrxmvn_17_32_kernelILj29E21rocsparse_complex_numIfElifS2_S2_EEvT2_20rocsparse_direction_NS_24const_host_device_scalarIT0_EES3_PKS3_PKT1_SC_S9_PKT3_PKT4_S7_PT5_21rocsparse_index_base_b,comdat
	.globl	_ZN9rocsparseL20bsrxmvn_17_32_kernelILj29E21rocsparse_complex_numIfElifS2_S2_EEvT2_20rocsparse_direction_NS_24const_host_device_scalarIT0_EES3_PKS3_PKT1_SC_S9_PKT3_PKT4_S7_PT5_21rocsparse_index_base_b ; -- Begin function _ZN9rocsparseL20bsrxmvn_17_32_kernelILj29E21rocsparse_complex_numIfElifS2_S2_EEvT2_20rocsparse_direction_NS_24const_host_device_scalarIT0_EES3_PKS3_PKT1_SC_S9_PKT3_PKT4_S7_PT5_21rocsparse_index_base_b
	.p2align	8
	.type	_ZN9rocsparseL20bsrxmvn_17_32_kernelILj29E21rocsparse_complex_numIfElifS2_S2_EEvT2_20rocsparse_direction_NS_24const_host_device_scalarIT0_EES3_PKS3_PKT1_SC_S9_PKT3_PKT4_S7_PT5_21rocsparse_index_base_b,@function
_ZN9rocsparseL20bsrxmvn_17_32_kernelILj29E21rocsparse_complex_numIfElifS2_S2_EEvT2_20rocsparse_direction_NS_24const_host_device_scalarIT0_EES3_PKS3_PKT1_SC_S9_PKT3_PKT4_S7_PT5_21rocsparse_index_base_b: ; @_ZN9rocsparseL20bsrxmvn_17_32_kernelILj29E21rocsparse_complex_numIfElifS2_S2_EEvT2_20rocsparse_direction_NS_24const_host_device_scalarIT0_EES3_PKS3_PKT1_SC_S9_PKT3_PKT4_S7_PT5_21rocsparse_index_base_b
; %bb.0:
	s_load_dwordx2 s[0:1], s[4:5], 0x8
	s_load_dwordx2 s[14:15], s[4:5], 0x58
	s_add_u32 s7, s4, 8
	s_addc_u32 s8, s5, 0
	s_add_u32 s9, s4, 0x48
	s_load_dwordx2 s[2:3], s[4:5], 0x48
	s_addc_u32 s10, s5, 0
	s_waitcnt lgkmcnt(0)
	s_bitcmp1_b32 s15, 0
	s_cselect_b32 s1, s8, s1
	s_cselect_b32 s0, s7, s0
	v_mov_b32_e32 v1, s0
	v_mov_b32_e32 v2, s1
	flat_load_dwordx2 v[3:4], v[1:2]
	s_cselect_b32 s0, s10, s3
	s_cselect_b32 s1, s9, s2
	v_mov_b32_e32 v1, s1
	v_mov_b32_e32 v2, s0
	flat_load_dwordx2 v[1:2], v[1:2]
	s_waitcnt vmcnt(0) lgkmcnt(0)
	v_cmp_eq_f32_e32 vcc, 0, v3
	v_cmp_eq_f32_e64 s[0:1], 0, v4
	s_and_b64 s[8:9], vcc, s[0:1]
	s_mov_b64 s[0:1], -1
	s_and_saveexec_b64 s[2:3], s[8:9]
; %bb.1:
	v_cmp_neq_f32_e32 vcc, 1.0, v1
	v_cmp_neq_f32_e64 s[0:1], 0, v2
	s_or_b64 s[0:1], vcc, s[0:1]
	s_orn2_b64 s[0:1], s[0:1], exec
; %bb.2:
	s_or_b64 exec, exec, s[2:3]
	s_and_saveexec_b64 s[2:3], s[0:1]
	s_cbranch_execz .LBB412_39
; %bb.3:
	s_load_dwordx4 s[0:3], s[4:5], 0x18
	s_load_dwordx2 s[8:9], s[4:5], 0x28
	s_waitcnt lgkmcnt(0)
	s_cmp_eq_u64 s[0:1], 0
	s_cbranch_scc1 .LBB412_5
; %bb.4:
	s_ashr_i32 s7, s6, 31
	s_lshl_b64 s[6:7], s[6:7], 2
	s_add_u32 s0, s0, s6
	s_addc_u32 s1, s1, s7
	s_load_dword s0, s[0:1], 0x0
	s_waitcnt lgkmcnt(0)
	s_sub_i32 s6, s0, s14
.LBB412_5:
	s_load_dword s7, s[4:5], 0x4
	s_load_dwordx2 s[12:13], s[4:5], 0x50
	v_mul_u32_u24_e32 v7, 0x8d4, v0
	v_mov_b32_e32 v5, 29
	v_mul_lo_u16_sdwa v5, v7, v5 dst_sel:DWORD dst_unused:UNUSED_PAD src0_sel:WORD_1 src1_sel:DWORD
	s_waitcnt lgkmcnt(0)
	s_cmp_eq_u32 s7, 1
	s_cselect_b64 s[0:1], -1, 0
	s_cmp_lg_u32 s7, 1
	s_cselect_b64 s[16:17], -1, 0
	s_ashr_i32 s7, s6, 31
	s_lshl_b64 s[10:11], s[6:7], 3
	s_add_u32 s2, s2, s10
	s_addc_u32 s3, s3, s11
	s_add_u32 s7, s2, 8
	s_addc_u32 s15, s3, 0
	s_add_u32 s10, s8, s10
	s_addc_u32 s11, s9, s11
	s_cmp_eq_u64 s[8:9], 0
	s_cselect_b32 s9, s15, s11
	s_cselect_b32 s8, s7, s10
	s_load_dwordx2 s[18:19], s[8:9], 0x0
	s_load_dwordx2 s[20:21], s[2:3], 0x0
	v_sub_u16_e32 v14, v0, v5
	s_waitcnt lgkmcnt(0)
	v_mov_b32_e32 v5, s18
	v_mov_b32_e32 v6, s19
	v_cmp_ge_i64_e32 vcc, s[20:21], v[5:6]
	v_mov_b32_e32 v6, 0
	v_mov_b32_e32 v5, 0
	s_cbranch_vccnz .LBB412_10
; %bb.6:
	s_load_dwordx4 s[8:11], s[4:5], 0x30
	s_load_dwordx2 s[2:3], s[4:5], 0x40
	s_sub_u32 s4, s18, s14
	s_mov_b32 s7, 0xffff
	s_subb_u32 s5, s19, 0
	s_movk_i32 s15, 0x349
	v_and_b32_sdwa v5, s7, v7 dst_sel:DWORD dst_unused:UNUSED_PAD src0_sel:DWORD src1_sel:WORD_1
	v_subrev_u32_e32 v6, 29, v5
	v_cmp_gt_u32_e32 vcc, s15, v0
	s_sub_u32 s18, s20, s14
	v_cndmask_b32_e32 v5, v6, v5, vcc
	s_subb_u32 s19, s21, 0
	v_cndmask_b32_e64 v7, v14, v5, s[0:1]
	s_mul_i32 s0, s19, 0xd24
	s_mul_hi_u32 s1, s18, 0xd24
	s_add_i32 s1, s1, s0
	s_mul_i32 s0, s18, 0xd24
	s_waitcnt lgkmcnt(0)
	s_add_u32 s0, s10, s0
	s_addc_u32 s1, s11, s1
	v_lshlrev_b32_e32 v5, 2, v0
	v_mov_b32_e32 v9, s1
	v_add_co_u32_e32 v8, vcc, s0, v5
	v_addc_co_u32_e32 v9, vcc, 0, v9, vcc
	s_movk_i32 s0, 0x348
	v_cmp_lt_u32_e32 vcc, s0, v0
	v_cndmask_b32_e64 v15, 0, 1, vcc
	v_mov_b32_e32 v5, s21
	v_add_co_u32_e32 v10, vcc, s20, v15
	v_addc_co_u32_e32 v5, vcc, 0, v5, vcc
	v_subrev_co_u32_e32 v10, vcc, s14, v10
	v_subbrev_co_u32_e32 v11, vcc, 0, v5, vcc
	v_lshlrev_b64 v[10:11], 2, v[10:11]
	v_mov_b32_e32 v6, 0
	v_mov_b32_e32 v5, s9
	v_add_co_u32_e32 v10, vcc, s8, v10
	v_mov_b32_e32 v13, s5
	v_addc_co_u32_e32 v11, vcc, v5, v11, vcc
	v_mov_b32_e32 v12, s4
	v_mov_b32_e32 v5, v6
	s_branch .LBB412_8
.LBB412_7:                              ;   in Loop: Header=BB412_8 Depth=1
	s_or_b64 exec, exec, s[0:1]
	s_add_u32 s18, s18, 1
	s_addc_u32 s19, s19, 0
	v_cmp_lt_i64_e32 vcc, s[18:19], v[12:13]
	v_add_co_u32_e64 v10, s[0:1], 4, v10
	v_addc_co_u32_e64 v11, s[0:1], 0, v11, s[0:1]
	s_cbranch_vccz .LBB412_10
.LBB412_8:                              ; =>This Inner Loop Header: Depth=1
	v_mov_b32_e32 v17, s19
	v_add_co_u32_e32 v16, vcc, s18, v15
	v_addc_co_u32_e32 v17, vcc, 0, v17, vcc
	v_cmp_gt_i64_e32 vcc, s[4:5], v[16:17]
	s_and_saveexec_b64 s[0:1], vcc
	s_cbranch_execz .LBB412_7
; %bb.9:                                ;   in Loop: Header=BB412_8 Depth=1
	global_load_dword v16, v[10:11], off
	v_mov_b32_e32 v19, s3
	global_load_dword v18, v[8:9], off
	s_waitcnt vmcnt(1)
	v_subrev_u32_e32 v16, s14, v16
	v_mad_u64_u32 v[16:17], s[8:9], v16, 29, v[7:8]
	v_ashrrev_i32_e32 v17, 31, v16
	v_lshlrev_b64 v[16:17], 3, v[16:17]
	v_add_co_u32_e32 v16, vcc, s2, v16
	v_addc_co_u32_e32 v17, vcc, v19, v17, vcc
	global_load_dwordx2 v[16:17], v[16:17], off
	v_add_co_u32_e32 v8, vcc, 0xd24, v8
	v_addc_co_u32_e32 v9, vcc, 0, v9, vcc
	s_waitcnt vmcnt(0)
	v_fmac_f32_e32 v5, v18, v16
	v_fmac_f32_e32 v6, 0, v16
	;; [unrolled: 1-line block ×4, first 2 shown]
	s_branch .LBB412_7
.LBB412_10:
	v_lshlrev_b32_e32 v7, 3, v0
	s_and_b64 vcc, exec, s[16:17]
	ds_write_b64 v7, v[5:6]
	s_waitcnt lgkmcnt(0)
	s_barrier
	s_cbranch_vccz .LBB412_22
; %bb.11:
	v_cmp_gt_u16_e32 vcc, 13, v14
	s_and_saveexec_b64 s[0:1], vcc
	s_cbranch_execz .LBB412_13
; %bb.12:
	ds_read2_b64 v[8:11], v7 offset1:16
	s_waitcnt lgkmcnt(0)
	v_add_f32_e32 v8, v10, v8
	v_add_f32_e32 v9, v11, v9
	ds_write_b64 v7, v[8:9]
.LBB412_13:
	s_or_b64 exec, exec, s[0:1]
	v_cmp_gt_u16_e32 vcc, 8, v14
	s_waitcnt lgkmcnt(0)
	s_barrier
	s_and_saveexec_b64 s[0:1], vcc
	s_cbranch_execz .LBB412_15
; %bb.14:
	ds_read2_b64 v[8:11], v7 offset1:8
	s_waitcnt lgkmcnt(0)
	v_add_f32_e32 v8, v10, v8
	v_add_f32_e32 v9, v11, v9
	ds_write_b64 v7, v[8:9]
.LBB412_15:
	s_or_b64 exec, exec, s[0:1]
	v_cmp_gt_u16_e32 vcc, 4, v14
	s_waitcnt lgkmcnt(0)
	s_barrier
	s_and_saveexec_b64 s[0:1], vcc
	s_cbranch_execz .LBB412_17
; %bb.16:
	ds_read2_b64 v[8:11], v7 offset1:4
	s_waitcnt lgkmcnt(0)
	v_add_f32_e32 v8, v10, v8
	v_add_f32_e32 v9, v11, v9
	ds_write_b64 v7, v[8:9]
.LBB412_17:
	s_or_b64 exec, exec, s[0:1]
	v_cmp_gt_u16_e32 vcc, 2, v14
	s_waitcnt lgkmcnt(0)
	s_barrier
	s_and_saveexec_b64 s[0:1], vcc
	s_cbranch_execz .LBB412_19
; %bb.18:
	ds_read2_b64 v[8:11], v7 offset1:2
	s_waitcnt lgkmcnt(0)
	v_add_f32_e32 v8, v10, v8
	v_add_f32_e32 v9, v11, v9
	ds_write_b64 v7, v[8:9]
.LBB412_19:
	s_or_b64 exec, exec, s[0:1]
	v_cmp_gt_u32_e32 vcc, 29, v0
	v_mov_b32_e32 v9, v6
	v_mov_b32_e32 v8, v5
	s_waitcnt lgkmcnt(0)
	s_barrier
	s_and_saveexec_b64 s[0:1], vcc
	s_cbranch_execz .LBB412_21
; %bb.20:
	s_movk_i32 s2, 0xe0
	v_mad_u32_u24 v8, v0, s2, v7
	ds_read2_b64 v[8:11], v8 offset1:1
	s_waitcnt lgkmcnt(0)
	v_add_f32_e32 v8, v10, v8
	v_add_f32_e32 v9, v11, v9
.LBB412_21:
	s_or_b64 exec, exec, s[0:1]
	s_branch .LBB412_34
.LBB412_22:
                                        ; implicit-def: $vgpr9
                                        ; implicit-def: $vgpr8
	s_cbranch_execz .LBB412_34
; %bb.23:
	s_movk_i32 s0, 0x179
	v_cmp_gt_u32_e32 vcc, s0, v0
	s_and_saveexec_b64 s[0:1], vcc
	s_cbranch_execz .LBB412_25
; %bb.24:
	ds_read_b64 v[8:9], v7 offset:3712
	ds_read_b64 v[10:11], v7
	s_waitcnt lgkmcnt(0)
	v_add_f32_e32 v8, v8, v10
	v_add_f32_e32 v9, v9, v11
	ds_write_b64 v7, v[8:9]
.LBB412_25:
	s_or_b64 exec, exec, s[0:1]
	s_movk_i32 s0, 0xe8
	v_cmp_gt_u32_e32 vcc, s0, v0
	s_waitcnt lgkmcnt(0)
	s_barrier
	s_and_saveexec_b64 s[0:1], vcc
	s_cbranch_execz .LBB412_27
; %bb.26:
	ds_read2_b64 v[8:11], v7 offset1:232
	s_waitcnt lgkmcnt(0)
	v_add_f32_e32 v8, v10, v8
	v_add_f32_e32 v9, v11, v9
	ds_write_b64 v7, v[8:9]
.LBB412_27:
	s_or_b64 exec, exec, s[0:1]
	s_movk_i32 s0, 0x74
	v_cmp_gt_u32_e32 vcc, s0, v0
	s_waitcnt lgkmcnt(0)
	s_barrier
	s_and_saveexec_b64 s[0:1], vcc
	s_cbranch_execz .LBB412_29
; %bb.28:
	ds_read2_b64 v[8:11], v7 offset1:116
	s_waitcnt lgkmcnt(0)
	v_add_f32_e32 v8, v10, v8
	v_add_f32_e32 v9, v11, v9
	ds_write_b64 v7, v[8:9]
.LBB412_29:
	s_or_b64 exec, exec, s[0:1]
	v_cmp_gt_u32_e32 vcc, 58, v0
	s_waitcnt lgkmcnt(0)
	s_barrier
	s_and_saveexec_b64 s[0:1], vcc
	s_cbranch_execz .LBB412_31
; %bb.30:
	ds_read2_b64 v[8:11], v7 offset1:58
	s_waitcnt lgkmcnt(0)
	v_add_f32_e32 v8, v10, v8
	v_add_f32_e32 v9, v11, v9
	ds_write_b64 v7, v[8:9]
.LBB412_31:
	s_or_b64 exec, exec, s[0:1]
	v_cmp_gt_u32_e32 vcc, 29, v0
	s_waitcnt lgkmcnt(0)
	s_and_saveexec_b64 s[0:1], vcc
	s_cbranch_execz .LBB412_33
; %bb.32:
	ds_read2_b64 v[5:8], v7 offset1:29
	s_waitcnt lgkmcnt(0)
	v_add_f32_e32 v5, v7, v5
	v_add_f32_e32 v6, v8, v6
.LBB412_33:
	s_or_b64 exec, exec, s[0:1]
	v_mov_b32_e32 v9, v6
	v_mov_b32_e32 v8, v5
.LBB412_34:
	v_cmp_gt_u32_e32 vcc, 29, v0
	s_and_b64 exec, exec, vcc
	s_cbranch_execz .LBB412_39
; %bb.35:
	v_cmp_eq_f32_e32 vcc, 0, v1
	v_cmp_eq_f32_e64 s[0:1], 0, v2
	v_mul_f32_e64 v5, v9, -v4
	v_mul_f32_e32 v6, v3, v9
	s_and_b64 s[0:1], vcc, s[0:1]
	v_fmac_f32_e32 v5, v3, v8
	v_fmac_f32_e32 v6, v4, v8
	s_and_saveexec_b64 s[2:3], s[0:1]
	s_xor_b64 s[0:1], exec, s[2:3]
	s_cbranch_execz .LBB412_37
; %bb.36:
	v_mad_u64_u32 v[0:1], s[2:3], s6, 29, v[0:1]
	v_mov_b32_e32 v1, 0
	v_mov_b32_e32 v2, s13
	v_lshlrev_b64 v[0:1], 3, v[0:1]
	v_add_co_u32_e32 v0, vcc, s12, v0
	v_addc_co_u32_e32 v1, vcc, v2, v1, vcc
	global_store_dwordx2 v[0:1], v[5:6], off
                                        ; implicit-def: $vgpr0
                                        ; implicit-def: $vgpr1_vgpr2
                                        ; implicit-def: $vgpr5
.LBB412_37:
	s_andn2_saveexec_b64 s[0:1], s[0:1]
	s_cbranch_execz .LBB412_39
; %bb.38:
	v_mad_u64_u32 v[3:4], s[0:1], s6, 29, v[0:1]
	v_mov_b32_e32 v4, 0
	v_mov_b32_e32 v0, s13
	v_lshlrev_b64 v[3:4], 3, v[3:4]
	v_add_co_u32_e32 v3, vcc, s12, v3
	v_addc_co_u32_e32 v4, vcc, v0, v4, vcc
	global_load_dwordx2 v[7:8], v[3:4], off
	s_waitcnt vmcnt(0)
	v_fmac_f32_e32 v5, v1, v7
	v_fmac_f32_e32 v6, v2, v7
	v_fma_f32 v5, -v2, v8, v5
	v_fmac_f32_e32 v6, v1, v8
	global_store_dwordx2 v[3:4], v[5:6], off
.LBB412_39:
	s_endpgm
	.section	.rodata,"a",@progbits
	.p2align	6, 0x0
	.amdhsa_kernel _ZN9rocsparseL20bsrxmvn_17_32_kernelILj29E21rocsparse_complex_numIfElifS2_S2_EEvT2_20rocsparse_direction_NS_24const_host_device_scalarIT0_EES3_PKS3_PKT1_SC_S9_PKT3_PKT4_S7_PT5_21rocsparse_index_base_b
		.amdhsa_group_segment_fixed_size 6728
		.amdhsa_private_segment_fixed_size 0
		.amdhsa_kernarg_size 96
		.amdhsa_user_sgpr_count 6
		.amdhsa_user_sgpr_private_segment_buffer 1
		.amdhsa_user_sgpr_dispatch_ptr 0
		.amdhsa_user_sgpr_queue_ptr 0
		.amdhsa_user_sgpr_kernarg_segment_ptr 1
		.amdhsa_user_sgpr_dispatch_id 0
		.amdhsa_user_sgpr_flat_scratch_init 0
		.amdhsa_user_sgpr_private_segment_size 0
		.amdhsa_uses_dynamic_stack 0
		.amdhsa_system_sgpr_private_segment_wavefront_offset 0
		.amdhsa_system_sgpr_workgroup_id_x 1
		.amdhsa_system_sgpr_workgroup_id_y 0
		.amdhsa_system_sgpr_workgroup_id_z 0
		.amdhsa_system_sgpr_workgroup_info 0
		.amdhsa_system_vgpr_workitem_id 0
		.amdhsa_next_free_vgpr 33
		.amdhsa_next_free_sgpr 77
		.amdhsa_reserve_vcc 1
		.amdhsa_reserve_flat_scratch 0
		.amdhsa_float_round_mode_32 0
		.amdhsa_float_round_mode_16_64 0
		.amdhsa_float_denorm_mode_32 3
		.amdhsa_float_denorm_mode_16_64 3
		.amdhsa_dx10_clamp 1
		.amdhsa_ieee_mode 1
		.amdhsa_fp16_overflow 0
		.amdhsa_exception_fp_ieee_invalid_op 0
		.amdhsa_exception_fp_denorm_src 0
		.amdhsa_exception_fp_ieee_div_zero 0
		.amdhsa_exception_fp_ieee_overflow 0
		.amdhsa_exception_fp_ieee_underflow 0
		.amdhsa_exception_fp_ieee_inexact 0
		.amdhsa_exception_int_div_zero 0
	.end_amdhsa_kernel
	.section	.text._ZN9rocsparseL20bsrxmvn_17_32_kernelILj29E21rocsparse_complex_numIfElifS2_S2_EEvT2_20rocsparse_direction_NS_24const_host_device_scalarIT0_EES3_PKS3_PKT1_SC_S9_PKT3_PKT4_S7_PT5_21rocsparse_index_base_b,"axG",@progbits,_ZN9rocsparseL20bsrxmvn_17_32_kernelILj29E21rocsparse_complex_numIfElifS2_S2_EEvT2_20rocsparse_direction_NS_24const_host_device_scalarIT0_EES3_PKS3_PKT1_SC_S9_PKT3_PKT4_S7_PT5_21rocsparse_index_base_b,comdat
.Lfunc_end412:
	.size	_ZN9rocsparseL20bsrxmvn_17_32_kernelILj29E21rocsparse_complex_numIfElifS2_S2_EEvT2_20rocsparse_direction_NS_24const_host_device_scalarIT0_EES3_PKS3_PKT1_SC_S9_PKT3_PKT4_S7_PT5_21rocsparse_index_base_b, .Lfunc_end412-_ZN9rocsparseL20bsrxmvn_17_32_kernelILj29E21rocsparse_complex_numIfElifS2_S2_EEvT2_20rocsparse_direction_NS_24const_host_device_scalarIT0_EES3_PKS3_PKT1_SC_S9_PKT3_PKT4_S7_PT5_21rocsparse_index_base_b
                                        ; -- End function
	.set _ZN9rocsparseL20bsrxmvn_17_32_kernelILj29E21rocsparse_complex_numIfElifS2_S2_EEvT2_20rocsparse_direction_NS_24const_host_device_scalarIT0_EES3_PKS3_PKT1_SC_S9_PKT3_PKT4_S7_PT5_21rocsparse_index_base_b.num_vgpr, 20
	.set _ZN9rocsparseL20bsrxmvn_17_32_kernelILj29E21rocsparse_complex_numIfElifS2_S2_EEvT2_20rocsparse_direction_NS_24const_host_device_scalarIT0_EES3_PKS3_PKT1_SC_S9_PKT3_PKT4_S7_PT5_21rocsparse_index_base_b.num_agpr, 0
	.set _ZN9rocsparseL20bsrxmvn_17_32_kernelILj29E21rocsparse_complex_numIfElifS2_S2_EEvT2_20rocsparse_direction_NS_24const_host_device_scalarIT0_EES3_PKS3_PKT1_SC_S9_PKT3_PKT4_S7_PT5_21rocsparse_index_base_b.numbered_sgpr, 22
	.set _ZN9rocsparseL20bsrxmvn_17_32_kernelILj29E21rocsparse_complex_numIfElifS2_S2_EEvT2_20rocsparse_direction_NS_24const_host_device_scalarIT0_EES3_PKS3_PKT1_SC_S9_PKT3_PKT4_S7_PT5_21rocsparse_index_base_b.num_named_barrier, 0
	.set _ZN9rocsparseL20bsrxmvn_17_32_kernelILj29E21rocsparse_complex_numIfElifS2_S2_EEvT2_20rocsparse_direction_NS_24const_host_device_scalarIT0_EES3_PKS3_PKT1_SC_S9_PKT3_PKT4_S7_PT5_21rocsparse_index_base_b.private_seg_size, 0
	.set _ZN9rocsparseL20bsrxmvn_17_32_kernelILj29E21rocsparse_complex_numIfElifS2_S2_EEvT2_20rocsparse_direction_NS_24const_host_device_scalarIT0_EES3_PKS3_PKT1_SC_S9_PKT3_PKT4_S7_PT5_21rocsparse_index_base_b.uses_vcc, 1
	.set _ZN9rocsparseL20bsrxmvn_17_32_kernelILj29E21rocsparse_complex_numIfElifS2_S2_EEvT2_20rocsparse_direction_NS_24const_host_device_scalarIT0_EES3_PKS3_PKT1_SC_S9_PKT3_PKT4_S7_PT5_21rocsparse_index_base_b.uses_flat_scratch, 0
	.set _ZN9rocsparseL20bsrxmvn_17_32_kernelILj29E21rocsparse_complex_numIfElifS2_S2_EEvT2_20rocsparse_direction_NS_24const_host_device_scalarIT0_EES3_PKS3_PKT1_SC_S9_PKT3_PKT4_S7_PT5_21rocsparse_index_base_b.has_dyn_sized_stack, 0
	.set _ZN9rocsparseL20bsrxmvn_17_32_kernelILj29E21rocsparse_complex_numIfElifS2_S2_EEvT2_20rocsparse_direction_NS_24const_host_device_scalarIT0_EES3_PKS3_PKT1_SC_S9_PKT3_PKT4_S7_PT5_21rocsparse_index_base_b.has_recursion, 0
	.set _ZN9rocsparseL20bsrxmvn_17_32_kernelILj29E21rocsparse_complex_numIfElifS2_S2_EEvT2_20rocsparse_direction_NS_24const_host_device_scalarIT0_EES3_PKS3_PKT1_SC_S9_PKT3_PKT4_S7_PT5_21rocsparse_index_base_b.has_indirect_call, 0
	.section	.AMDGPU.csdata,"",@progbits
; Kernel info:
; codeLenInByte = 1488
; TotalNumSgprs: 26
; NumVgprs: 20
; ScratchSize: 0
; MemoryBound: 0
; FloatMode: 240
; IeeeMode: 1
; LDSByteSize: 6728 bytes/workgroup (compile time only)
; SGPRBlocks: 10
; VGPRBlocks: 8
; NumSGPRsForWavesPerEU: 81
; NumVGPRsForWavesPerEU: 33
; Occupancy: 7
; WaveLimiterHint : 1
; COMPUTE_PGM_RSRC2:SCRATCH_EN: 0
; COMPUTE_PGM_RSRC2:USER_SGPR: 6
; COMPUTE_PGM_RSRC2:TRAP_HANDLER: 0
; COMPUTE_PGM_RSRC2:TGID_X_EN: 1
; COMPUTE_PGM_RSRC2:TGID_Y_EN: 0
; COMPUTE_PGM_RSRC2:TGID_Z_EN: 0
; COMPUTE_PGM_RSRC2:TIDIG_COMP_CNT: 0
	.section	.text._ZN9rocsparseL20bsrxmvn_17_32_kernelILj30E21rocsparse_complex_numIfElifS2_S2_EEvT2_20rocsparse_direction_NS_24const_host_device_scalarIT0_EES3_PKS3_PKT1_SC_S9_PKT3_PKT4_S7_PT5_21rocsparse_index_base_b,"axG",@progbits,_ZN9rocsparseL20bsrxmvn_17_32_kernelILj30E21rocsparse_complex_numIfElifS2_S2_EEvT2_20rocsparse_direction_NS_24const_host_device_scalarIT0_EES3_PKS3_PKT1_SC_S9_PKT3_PKT4_S7_PT5_21rocsparse_index_base_b,comdat
	.globl	_ZN9rocsparseL20bsrxmvn_17_32_kernelILj30E21rocsparse_complex_numIfElifS2_S2_EEvT2_20rocsparse_direction_NS_24const_host_device_scalarIT0_EES3_PKS3_PKT1_SC_S9_PKT3_PKT4_S7_PT5_21rocsparse_index_base_b ; -- Begin function _ZN9rocsparseL20bsrxmvn_17_32_kernelILj30E21rocsparse_complex_numIfElifS2_S2_EEvT2_20rocsparse_direction_NS_24const_host_device_scalarIT0_EES3_PKS3_PKT1_SC_S9_PKT3_PKT4_S7_PT5_21rocsparse_index_base_b
	.p2align	8
	.type	_ZN9rocsparseL20bsrxmvn_17_32_kernelILj30E21rocsparse_complex_numIfElifS2_S2_EEvT2_20rocsparse_direction_NS_24const_host_device_scalarIT0_EES3_PKS3_PKT1_SC_S9_PKT3_PKT4_S7_PT5_21rocsparse_index_base_b,@function
_ZN9rocsparseL20bsrxmvn_17_32_kernelILj30E21rocsparse_complex_numIfElifS2_S2_EEvT2_20rocsparse_direction_NS_24const_host_device_scalarIT0_EES3_PKS3_PKT1_SC_S9_PKT3_PKT4_S7_PT5_21rocsparse_index_base_b: ; @_ZN9rocsparseL20bsrxmvn_17_32_kernelILj30E21rocsparse_complex_numIfElifS2_S2_EEvT2_20rocsparse_direction_NS_24const_host_device_scalarIT0_EES3_PKS3_PKT1_SC_S9_PKT3_PKT4_S7_PT5_21rocsparse_index_base_b
; %bb.0:
	s_load_dwordx2 s[0:1], s[4:5], 0x8
	s_load_dwordx2 s[14:15], s[4:5], 0x58
	s_add_u32 s7, s4, 8
	s_addc_u32 s8, s5, 0
	s_add_u32 s9, s4, 0x48
	s_load_dwordx2 s[2:3], s[4:5], 0x48
	s_addc_u32 s10, s5, 0
	s_waitcnt lgkmcnt(0)
	s_bitcmp1_b32 s15, 0
	s_cselect_b32 s1, s8, s1
	s_cselect_b32 s0, s7, s0
	v_mov_b32_e32 v1, s0
	v_mov_b32_e32 v2, s1
	flat_load_dwordx2 v[3:4], v[1:2]
	s_cselect_b32 s0, s10, s3
	s_cselect_b32 s1, s9, s2
	v_mov_b32_e32 v1, s1
	v_mov_b32_e32 v2, s0
	flat_load_dwordx2 v[1:2], v[1:2]
	s_waitcnt vmcnt(0) lgkmcnt(0)
	v_cmp_eq_f32_e32 vcc, 0, v3
	v_cmp_eq_f32_e64 s[0:1], 0, v4
	s_and_b64 s[8:9], vcc, s[0:1]
	s_mov_b64 s[0:1], -1
	s_and_saveexec_b64 s[2:3], s[8:9]
; %bb.1:
	v_cmp_neq_f32_e32 vcc, 1.0, v1
	v_cmp_neq_f32_e64 s[0:1], 0, v2
	s_or_b64 s[0:1], vcc, s[0:1]
	s_orn2_b64 s[0:1], s[0:1], exec
; %bb.2:
	s_or_b64 exec, exec, s[2:3]
	s_and_saveexec_b64 s[2:3], s[0:1]
	s_cbranch_execz .LBB413_39
; %bb.3:
	s_load_dwordx4 s[0:3], s[4:5], 0x18
	s_load_dwordx2 s[8:9], s[4:5], 0x28
	s_waitcnt lgkmcnt(0)
	s_cmp_eq_u64 s[0:1], 0
	s_cbranch_scc1 .LBB413_5
; %bb.4:
	s_ashr_i32 s7, s6, 31
	s_lshl_b64 s[6:7], s[6:7], 2
	s_add_u32 s0, s0, s6
	s_addc_u32 s1, s1, s7
	s_load_dword s0, s[0:1], 0x0
	s_waitcnt lgkmcnt(0)
	s_sub_i32 s6, s0, s14
.LBB413_5:
	s_load_dword s7, s[4:5], 0x4
	s_load_dwordx2 s[12:13], s[4:5], 0x50
	v_mul_u32_u24_e32 v7, 0x889, v0
	v_mov_b32_e32 v5, 30
	v_mul_lo_u16_sdwa v5, v7, v5 dst_sel:DWORD dst_unused:UNUSED_PAD src0_sel:WORD_1 src1_sel:DWORD
	s_waitcnt lgkmcnt(0)
	s_cmp_eq_u32 s7, 1
	s_cselect_b64 s[0:1], -1, 0
	s_cmp_lg_u32 s7, 1
	s_cselect_b64 s[16:17], -1, 0
	s_ashr_i32 s7, s6, 31
	s_lshl_b64 s[10:11], s[6:7], 3
	s_add_u32 s2, s2, s10
	s_addc_u32 s3, s3, s11
	s_add_u32 s7, s2, 8
	s_addc_u32 s15, s3, 0
	;; [unrolled: 2-line block ×3, first 2 shown]
	s_cmp_eq_u64 s[8:9], 0
	s_cselect_b32 s9, s15, s11
	s_cselect_b32 s8, s7, s10
	s_load_dwordx2 s[18:19], s[8:9], 0x0
	s_load_dwordx2 s[20:21], s[2:3], 0x0
	v_sub_u16_e32 v14, v0, v5
	s_waitcnt lgkmcnt(0)
	v_mov_b32_e32 v5, s18
	v_mov_b32_e32 v6, s19
	v_cmp_ge_i64_e32 vcc, s[20:21], v[5:6]
	v_mov_b32_e32 v6, 0
	v_mov_b32_e32 v5, 0
	s_cbranch_vccnz .LBB413_10
; %bb.6:
	s_load_dwordx4 s[8:11], s[4:5], 0x30
	s_load_dwordx2 s[2:3], s[4:5], 0x40
	s_sub_u32 s4, s18, s14
	s_mov_b32 s7, 0xffff
	s_subb_u32 s5, s19, 0
	s_movk_i32 s15, 0x384
	v_and_b32_sdwa v5, s7, v7 dst_sel:DWORD dst_unused:UNUSED_PAD src0_sel:DWORD src1_sel:WORD_1
	v_subrev_u32_e32 v6, 30, v5
	v_cmp_gt_u32_e32 vcc, s15, v0
	s_sub_u32 s18, s20, s14
	v_cndmask_b32_e32 v5, v6, v5, vcc
	s_subb_u32 s19, s21, 0
	v_cndmask_b32_e64 v7, v14, v5, s[0:1]
	s_mul_i32 s0, s19, 0xe10
	s_mul_hi_u32 s1, s18, 0xe10
	s_add_i32 s1, s1, s0
	s_mul_i32 s0, s18, 0xe10
	s_waitcnt lgkmcnt(0)
	s_add_u32 s0, s10, s0
	s_addc_u32 s1, s11, s1
	v_lshlrev_b32_e32 v5, 2, v0
	v_mov_b32_e32 v9, s1
	v_add_co_u32_e32 v8, vcc, s0, v5
	v_addc_co_u32_e32 v9, vcc, 0, v9, vcc
	s_movk_i32 s0, 0x383
	v_cmp_lt_u32_e32 vcc, s0, v0
	v_cndmask_b32_e64 v15, 0, 1, vcc
	v_mov_b32_e32 v5, s21
	v_add_co_u32_e32 v10, vcc, s20, v15
	v_addc_co_u32_e32 v5, vcc, 0, v5, vcc
	v_subrev_co_u32_e32 v10, vcc, s14, v10
	v_subbrev_co_u32_e32 v11, vcc, 0, v5, vcc
	v_lshlrev_b64 v[10:11], 2, v[10:11]
	v_mov_b32_e32 v6, 0
	v_mov_b32_e32 v5, s9
	v_add_co_u32_e32 v10, vcc, s8, v10
	v_mov_b32_e32 v13, s5
	v_addc_co_u32_e32 v11, vcc, v5, v11, vcc
	v_mov_b32_e32 v12, s4
	v_mov_b32_e32 v5, v6
	s_branch .LBB413_8
.LBB413_7:                              ;   in Loop: Header=BB413_8 Depth=1
	s_or_b64 exec, exec, s[0:1]
	s_add_u32 s18, s18, 1
	s_addc_u32 s19, s19, 0
	v_cmp_lt_i64_e32 vcc, s[18:19], v[12:13]
	v_add_co_u32_e64 v10, s[0:1], 4, v10
	v_addc_co_u32_e64 v11, s[0:1], 0, v11, s[0:1]
	s_cbranch_vccz .LBB413_10
.LBB413_8:                              ; =>This Inner Loop Header: Depth=1
	v_mov_b32_e32 v17, s19
	v_add_co_u32_e32 v16, vcc, s18, v15
	v_addc_co_u32_e32 v17, vcc, 0, v17, vcc
	v_cmp_gt_i64_e32 vcc, s[4:5], v[16:17]
	s_and_saveexec_b64 s[0:1], vcc
	s_cbranch_execz .LBB413_7
; %bb.9:                                ;   in Loop: Header=BB413_8 Depth=1
	global_load_dword v16, v[10:11], off
	v_mov_b32_e32 v19, s3
	global_load_dword v18, v[8:9], off
	s_waitcnt vmcnt(1)
	v_subrev_u32_e32 v16, s14, v16
	v_mad_u64_u32 v[16:17], s[8:9], v16, 30, v[7:8]
	v_ashrrev_i32_e32 v17, 31, v16
	v_lshlrev_b64 v[16:17], 3, v[16:17]
	v_add_co_u32_e32 v16, vcc, s2, v16
	v_addc_co_u32_e32 v17, vcc, v19, v17, vcc
	global_load_dwordx2 v[16:17], v[16:17], off
	v_add_co_u32_e32 v8, vcc, 0xe10, v8
	v_addc_co_u32_e32 v9, vcc, 0, v9, vcc
	s_waitcnt vmcnt(0)
	v_fmac_f32_e32 v5, v18, v16
	v_fmac_f32_e32 v6, 0, v16
	;; [unrolled: 1-line block ×4, first 2 shown]
	s_branch .LBB413_7
.LBB413_10:
	v_lshlrev_b32_e32 v7, 3, v0
	s_and_b64 vcc, exec, s[16:17]
	ds_write_b64 v7, v[5:6]
	s_waitcnt lgkmcnt(0)
	s_barrier
	s_cbranch_vccz .LBB413_22
; %bb.11:
	v_cmp_gt_u16_e32 vcc, 14, v14
	s_and_saveexec_b64 s[0:1], vcc
	s_cbranch_execz .LBB413_13
; %bb.12:
	ds_read2_b64 v[8:11], v7 offset1:16
	s_waitcnt lgkmcnt(0)
	v_add_f32_e32 v8, v10, v8
	v_add_f32_e32 v9, v11, v9
	ds_write_b64 v7, v[8:9]
.LBB413_13:
	s_or_b64 exec, exec, s[0:1]
	v_cmp_gt_u16_e32 vcc, 8, v14
	s_waitcnt lgkmcnt(0)
	s_barrier
	s_and_saveexec_b64 s[0:1], vcc
	s_cbranch_execz .LBB413_15
; %bb.14:
	ds_read2_b64 v[8:11], v7 offset1:8
	s_waitcnt lgkmcnt(0)
	v_add_f32_e32 v8, v10, v8
	v_add_f32_e32 v9, v11, v9
	ds_write_b64 v7, v[8:9]
.LBB413_15:
	s_or_b64 exec, exec, s[0:1]
	v_cmp_gt_u16_e32 vcc, 4, v14
	s_waitcnt lgkmcnt(0)
	s_barrier
	;; [unrolled: 13-line block ×3, first 2 shown]
	s_and_saveexec_b64 s[0:1], vcc
	s_cbranch_execz .LBB413_19
; %bb.18:
	ds_read2_b64 v[8:11], v7 offset1:2
	s_waitcnt lgkmcnt(0)
	v_add_f32_e32 v8, v10, v8
	v_add_f32_e32 v9, v11, v9
	ds_write_b64 v7, v[8:9]
.LBB413_19:
	s_or_b64 exec, exec, s[0:1]
	v_cmp_gt_u32_e32 vcc, 30, v0
	v_mov_b32_e32 v9, v6
	v_mov_b32_e32 v8, v5
	s_waitcnt lgkmcnt(0)
	s_barrier
	s_and_saveexec_b64 s[0:1], vcc
	s_cbranch_execz .LBB413_21
; %bb.20:
	s_movk_i32 s2, 0xe8
	v_mad_u32_u24 v8, v0, s2, v7
	ds_read2_b64 v[8:11], v8 offset1:1
	s_waitcnt lgkmcnt(0)
	v_add_f32_e32 v8, v10, v8
	v_add_f32_e32 v9, v11, v9
.LBB413_21:
	s_or_b64 exec, exec, s[0:1]
	s_branch .LBB413_34
.LBB413_22:
                                        ; implicit-def: $vgpr9
                                        ; implicit-def: $vgpr8
	s_cbranch_execz .LBB413_34
; %bb.23:
	s_movk_i32 s0, 0x1a4
	v_cmp_gt_u32_e32 vcc, s0, v0
	s_and_saveexec_b64 s[0:1], vcc
	s_cbranch_execz .LBB413_25
; %bb.24:
	ds_read_b64 v[8:9], v7 offset:3840
	ds_read_b64 v[10:11], v7
	s_waitcnt lgkmcnt(0)
	v_add_f32_e32 v8, v8, v10
	v_add_f32_e32 v9, v9, v11
	ds_write_b64 v7, v[8:9]
.LBB413_25:
	s_or_b64 exec, exec, s[0:1]
	s_movk_i32 s0, 0xf0
	v_cmp_gt_u32_e32 vcc, s0, v0
	s_waitcnt lgkmcnt(0)
	s_barrier
	s_and_saveexec_b64 s[0:1], vcc
	s_cbranch_execz .LBB413_27
; %bb.26:
	ds_read2_b64 v[8:11], v7 offset1:240
	s_waitcnt lgkmcnt(0)
	v_add_f32_e32 v8, v10, v8
	v_add_f32_e32 v9, v11, v9
	ds_write_b64 v7, v[8:9]
.LBB413_27:
	s_or_b64 exec, exec, s[0:1]
	s_movk_i32 s0, 0x78
	v_cmp_gt_u32_e32 vcc, s0, v0
	s_waitcnt lgkmcnt(0)
	s_barrier
	s_and_saveexec_b64 s[0:1], vcc
	s_cbranch_execz .LBB413_29
; %bb.28:
	ds_read2_b64 v[8:11], v7 offset1:120
	s_waitcnt lgkmcnt(0)
	v_add_f32_e32 v8, v10, v8
	v_add_f32_e32 v9, v11, v9
	ds_write_b64 v7, v[8:9]
.LBB413_29:
	s_or_b64 exec, exec, s[0:1]
	v_cmp_gt_u32_e32 vcc, 60, v0
	s_waitcnt lgkmcnt(0)
	s_barrier
	s_and_saveexec_b64 s[0:1], vcc
	s_cbranch_execz .LBB413_31
; %bb.30:
	ds_read2_b64 v[8:11], v7 offset1:60
	s_waitcnt lgkmcnt(0)
	v_add_f32_e32 v8, v10, v8
	v_add_f32_e32 v9, v11, v9
	ds_write_b64 v7, v[8:9]
.LBB413_31:
	s_or_b64 exec, exec, s[0:1]
	v_cmp_gt_u32_e32 vcc, 30, v0
	s_waitcnt lgkmcnt(0)
	s_and_saveexec_b64 s[0:1], vcc
	s_cbranch_execz .LBB413_33
; %bb.32:
	ds_read2_b64 v[5:8], v7 offset1:30
	s_waitcnt lgkmcnt(0)
	v_add_f32_e32 v5, v7, v5
	v_add_f32_e32 v6, v8, v6
.LBB413_33:
	s_or_b64 exec, exec, s[0:1]
	v_mov_b32_e32 v9, v6
	v_mov_b32_e32 v8, v5
.LBB413_34:
	v_cmp_gt_u32_e32 vcc, 30, v0
	s_and_b64 exec, exec, vcc
	s_cbranch_execz .LBB413_39
; %bb.35:
	v_cmp_eq_f32_e32 vcc, 0, v1
	v_cmp_eq_f32_e64 s[0:1], 0, v2
	v_mul_f32_e64 v5, v9, -v4
	v_mul_f32_e32 v6, v3, v9
	s_and_b64 s[0:1], vcc, s[0:1]
	v_fmac_f32_e32 v5, v3, v8
	v_fmac_f32_e32 v6, v4, v8
	s_and_saveexec_b64 s[2:3], s[0:1]
	s_xor_b64 s[0:1], exec, s[2:3]
	s_cbranch_execz .LBB413_37
; %bb.36:
	v_mad_u64_u32 v[0:1], s[2:3], s6, 30, v[0:1]
	v_mov_b32_e32 v1, 0
	v_mov_b32_e32 v2, s13
	v_lshlrev_b64 v[0:1], 3, v[0:1]
	v_add_co_u32_e32 v0, vcc, s12, v0
	v_addc_co_u32_e32 v1, vcc, v2, v1, vcc
	global_store_dwordx2 v[0:1], v[5:6], off
                                        ; implicit-def: $vgpr0
                                        ; implicit-def: $vgpr1_vgpr2
                                        ; implicit-def: $vgpr5
.LBB413_37:
	s_andn2_saveexec_b64 s[0:1], s[0:1]
	s_cbranch_execz .LBB413_39
; %bb.38:
	v_mad_u64_u32 v[3:4], s[0:1], s6, 30, v[0:1]
	v_mov_b32_e32 v4, 0
	v_mov_b32_e32 v0, s13
	v_lshlrev_b64 v[3:4], 3, v[3:4]
	v_add_co_u32_e32 v3, vcc, s12, v3
	v_addc_co_u32_e32 v4, vcc, v0, v4, vcc
	global_load_dwordx2 v[7:8], v[3:4], off
	s_waitcnt vmcnt(0)
	v_fmac_f32_e32 v5, v1, v7
	v_fmac_f32_e32 v6, v2, v7
	v_fma_f32 v5, -v2, v8, v5
	v_fmac_f32_e32 v6, v1, v8
	global_store_dwordx2 v[3:4], v[5:6], off
.LBB413_39:
	s_endpgm
	.section	.rodata,"a",@progbits
	.p2align	6, 0x0
	.amdhsa_kernel _ZN9rocsparseL20bsrxmvn_17_32_kernelILj30E21rocsparse_complex_numIfElifS2_S2_EEvT2_20rocsparse_direction_NS_24const_host_device_scalarIT0_EES3_PKS3_PKT1_SC_S9_PKT3_PKT4_S7_PT5_21rocsparse_index_base_b
		.amdhsa_group_segment_fixed_size 7200
		.amdhsa_private_segment_fixed_size 0
		.amdhsa_kernarg_size 96
		.amdhsa_user_sgpr_count 6
		.amdhsa_user_sgpr_private_segment_buffer 1
		.amdhsa_user_sgpr_dispatch_ptr 0
		.amdhsa_user_sgpr_queue_ptr 0
		.amdhsa_user_sgpr_kernarg_segment_ptr 1
		.amdhsa_user_sgpr_dispatch_id 0
		.amdhsa_user_sgpr_flat_scratch_init 0
		.amdhsa_user_sgpr_private_segment_size 0
		.amdhsa_uses_dynamic_stack 0
		.amdhsa_system_sgpr_private_segment_wavefront_offset 0
		.amdhsa_system_sgpr_workgroup_id_x 1
		.amdhsa_system_sgpr_workgroup_id_y 0
		.amdhsa_system_sgpr_workgroup_id_z 0
		.amdhsa_system_sgpr_workgroup_info 0
		.amdhsa_system_vgpr_workitem_id 0
		.amdhsa_next_free_vgpr 29
		.amdhsa_next_free_sgpr 61
		.amdhsa_reserve_vcc 1
		.amdhsa_reserve_flat_scratch 0
		.amdhsa_float_round_mode_32 0
		.amdhsa_float_round_mode_16_64 0
		.amdhsa_float_denorm_mode_32 3
		.amdhsa_float_denorm_mode_16_64 3
		.amdhsa_dx10_clamp 1
		.amdhsa_ieee_mode 1
		.amdhsa_fp16_overflow 0
		.amdhsa_exception_fp_ieee_invalid_op 0
		.amdhsa_exception_fp_denorm_src 0
		.amdhsa_exception_fp_ieee_div_zero 0
		.amdhsa_exception_fp_ieee_overflow 0
		.amdhsa_exception_fp_ieee_underflow 0
		.amdhsa_exception_fp_ieee_inexact 0
		.amdhsa_exception_int_div_zero 0
	.end_amdhsa_kernel
	.section	.text._ZN9rocsparseL20bsrxmvn_17_32_kernelILj30E21rocsparse_complex_numIfElifS2_S2_EEvT2_20rocsparse_direction_NS_24const_host_device_scalarIT0_EES3_PKS3_PKT1_SC_S9_PKT3_PKT4_S7_PT5_21rocsparse_index_base_b,"axG",@progbits,_ZN9rocsparseL20bsrxmvn_17_32_kernelILj30E21rocsparse_complex_numIfElifS2_S2_EEvT2_20rocsparse_direction_NS_24const_host_device_scalarIT0_EES3_PKS3_PKT1_SC_S9_PKT3_PKT4_S7_PT5_21rocsparse_index_base_b,comdat
.Lfunc_end413:
	.size	_ZN9rocsparseL20bsrxmvn_17_32_kernelILj30E21rocsparse_complex_numIfElifS2_S2_EEvT2_20rocsparse_direction_NS_24const_host_device_scalarIT0_EES3_PKS3_PKT1_SC_S9_PKT3_PKT4_S7_PT5_21rocsparse_index_base_b, .Lfunc_end413-_ZN9rocsparseL20bsrxmvn_17_32_kernelILj30E21rocsparse_complex_numIfElifS2_S2_EEvT2_20rocsparse_direction_NS_24const_host_device_scalarIT0_EES3_PKS3_PKT1_SC_S9_PKT3_PKT4_S7_PT5_21rocsparse_index_base_b
                                        ; -- End function
	.set _ZN9rocsparseL20bsrxmvn_17_32_kernelILj30E21rocsparse_complex_numIfElifS2_S2_EEvT2_20rocsparse_direction_NS_24const_host_device_scalarIT0_EES3_PKS3_PKT1_SC_S9_PKT3_PKT4_S7_PT5_21rocsparse_index_base_b.num_vgpr, 20
	.set _ZN9rocsparseL20bsrxmvn_17_32_kernelILj30E21rocsparse_complex_numIfElifS2_S2_EEvT2_20rocsparse_direction_NS_24const_host_device_scalarIT0_EES3_PKS3_PKT1_SC_S9_PKT3_PKT4_S7_PT5_21rocsparse_index_base_b.num_agpr, 0
	.set _ZN9rocsparseL20bsrxmvn_17_32_kernelILj30E21rocsparse_complex_numIfElifS2_S2_EEvT2_20rocsparse_direction_NS_24const_host_device_scalarIT0_EES3_PKS3_PKT1_SC_S9_PKT3_PKT4_S7_PT5_21rocsparse_index_base_b.numbered_sgpr, 22
	.set _ZN9rocsparseL20bsrxmvn_17_32_kernelILj30E21rocsparse_complex_numIfElifS2_S2_EEvT2_20rocsparse_direction_NS_24const_host_device_scalarIT0_EES3_PKS3_PKT1_SC_S9_PKT3_PKT4_S7_PT5_21rocsparse_index_base_b.num_named_barrier, 0
	.set _ZN9rocsparseL20bsrxmvn_17_32_kernelILj30E21rocsparse_complex_numIfElifS2_S2_EEvT2_20rocsparse_direction_NS_24const_host_device_scalarIT0_EES3_PKS3_PKT1_SC_S9_PKT3_PKT4_S7_PT5_21rocsparse_index_base_b.private_seg_size, 0
	.set _ZN9rocsparseL20bsrxmvn_17_32_kernelILj30E21rocsparse_complex_numIfElifS2_S2_EEvT2_20rocsparse_direction_NS_24const_host_device_scalarIT0_EES3_PKS3_PKT1_SC_S9_PKT3_PKT4_S7_PT5_21rocsparse_index_base_b.uses_vcc, 1
	.set _ZN9rocsparseL20bsrxmvn_17_32_kernelILj30E21rocsparse_complex_numIfElifS2_S2_EEvT2_20rocsparse_direction_NS_24const_host_device_scalarIT0_EES3_PKS3_PKT1_SC_S9_PKT3_PKT4_S7_PT5_21rocsparse_index_base_b.uses_flat_scratch, 0
	.set _ZN9rocsparseL20bsrxmvn_17_32_kernelILj30E21rocsparse_complex_numIfElifS2_S2_EEvT2_20rocsparse_direction_NS_24const_host_device_scalarIT0_EES3_PKS3_PKT1_SC_S9_PKT3_PKT4_S7_PT5_21rocsparse_index_base_b.has_dyn_sized_stack, 0
	.set _ZN9rocsparseL20bsrxmvn_17_32_kernelILj30E21rocsparse_complex_numIfElifS2_S2_EEvT2_20rocsparse_direction_NS_24const_host_device_scalarIT0_EES3_PKS3_PKT1_SC_S9_PKT3_PKT4_S7_PT5_21rocsparse_index_base_b.has_recursion, 0
	.set _ZN9rocsparseL20bsrxmvn_17_32_kernelILj30E21rocsparse_complex_numIfElifS2_S2_EEvT2_20rocsparse_direction_NS_24const_host_device_scalarIT0_EES3_PKS3_PKT1_SC_S9_PKT3_PKT4_S7_PT5_21rocsparse_index_base_b.has_indirect_call, 0
	.section	.AMDGPU.csdata,"",@progbits
; Kernel info:
; codeLenInByte = 1488
; TotalNumSgprs: 26
; NumVgprs: 20
; ScratchSize: 0
; MemoryBound: 0
; FloatMode: 240
; IeeeMode: 1
; LDSByteSize: 7200 bytes/workgroup (compile time only)
; SGPRBlocks: 8
; VGPRBlocks: 7
; NumSGPRsForWavesPerEU: 65
; NumVGPRsForWavesPerEU: 29
; Occupancy: 8
; WaveLimiterHint : 1
; COMPUTE_PGM_RSRC2:SCRATCH_EN: 0
; COMPUTE_PGM_RSRC2:USER_SGPR: 6
; COMPUTE_PGM_RSRC2:TRAP_HANDLER: 0
; COMPUTE_PGM_RSRC2:TGID_X_EN: 1
; COMPUTE_PGM_RSRC2:TGID_Y_EN: 0
; COMPUTE_PGM_RSRC2:TGID_Z_EN: 0
; COMPUTE_PGM_RSRC2:TIDIG_COMP_CNT: 0
	.section	.text._ZN9rocsparseL20bsrxmvn_17_32_kernelILj31E21rocsparse_complex_numIfElifS2_S2_EEvT2_20rocsparse_direction_NS_24const_host_device_scalarIT0_EES3_PKS3_PKT1_SC_S9_PKT3_PKT4_S7_PT5_21rocsparse_index_base_b,"axG",@progbits,_ZN9rocsparseL20bsrxmvn_17_32_kernelILj31E21rocsparse_complex_numIfElifS2_S2_EEvT2_20rocsparse_direction_NS_24const_host_device_scalarIT0_EES3_PKS3_PKT1_SC_S9_PKT3_PKT4_S7_PT5_21rocsparse_index_base_b,comdat
	.globl	_ZN9rocsparseL20bsrxmvn_17_32_kernelILj31E21rocsparse_complex_numIfElifS2_S2_EEvT2_20rocsparse_direction_NS_24const_host_device_scalarIT0_EES3_PKS3_PKT1_SC_S9_PKT3_PKT4_S7_PT5_21rocsparse_index_base_b ; -- Begin function _ZN9rocsparseL20bsrxmvn_17_32_kernelILj31E21rocsparse_complex_numIfElifS2_S2_EEvT2_20rocsparse_direction_NS_24const_host_device_scalarIT0_EES3_PKS3_PKT1_SC_S9_PKT3_PKT4_S7_PT5_21rocsparse_index_base_b
	.p2align	8
	.type	_ZN9rocsparseL20bsrxmvn_17_32_kernelILj31E21rocsparse_complex_numIfElifS2_S2_EEvT2_20rocsparse_direction_NS_24const_host_device_scalarIT0_EES3_PKS3_PKT1_SC_S9_PKT3_PKT4_S7_PT5_21rocsparse_index_base_b,@function
_ZN9rocsparseL20bsrxmvn_17_32_kernelILj31E21rocsparse_complex_numIfElifS2_S2_EEvT2_20rocsparse_direction_NS_24const_host_device_scalarIT0_EES3_PKS3_PKT1_SC_S9_PKT3_PKT4_S7_PT5_21rocsparse_index_base_b: ; @_ZN9rocsparseL20bsrxmvn_17_32_kernelILj31E21rocsparse_complex_numIfElifS2_S2_EEvT2_20rocsparse_direction_NS_24const_host_device_scalarIT0_EES3_PKS3_PKT1_SC_S9_PKT3_PKT4_S7_PT5_21rocsparse_index_base_b
; %bb.0:
	s_load_dwordx2 s[0:1], s[4:5], 0x8
	s_load_dwordx2 s[14:15], s[4:5], 0x58
	s_add_u32 s7, s4, 8
	s_addc_u32 s8, s5, 0
	s_add_u32 s9, s4, 0x48
	s_load_dwordx2 s[2:3], s[4:5], 0x48
	s_addc_u32 s10, s5, 0
	s_waitcnt lgkmcnt(0)
	s_bitcmp1_b32 s15, 0
	s_cselect_b32 s1, s8, s1
	s_cselect_b32 s0, s7, s0
	v_mov_b32_e32 v1, s0
	v_mov_b32_e32 v2, s1
	flat_load_dwordx2 v[3:4], v[1:2]
	s_cselect_b32 s0, s10, s3
	s_cselect_b32 s1, s9, s2
	v_mov_b32_e32 v1, s1
	v_mov_b32_e32 v2, s0
	flat_load_dwordx2 v[1:2], v[1:2]
	s_waitcnt vmcnt(0) lgkmcnt(0)
	v_cmp_eq_f32_e32 vcc, 0, v3
	v_cmp_eq_f32_e64 s[0:1], 0, v4
	s_and_b64 s[8:9], vcc, s[0:1]
	s_mov_b64 s[0:1], -1
	s_and_saveexec_b64 s[2:3], s[8:9]
; %bb.1:
	v_cmp_neq_f32_e32 vcc, 1.0, v1
	v_cmp_neq_f32_e64 s[0:1], 0, v2
	s_or_b64 s[0:1], vcc, s[0:1]
	s_orn2_b64 s[0:1], s[0:1], exec
; %bb.2:
	s_or_b64 exec, exec, s[2:3]
	s_and_saveexec_b64 s[2:3], s[0:1]
	s_cbranch_execz .LBB414_39
; %bb.3:
	s_load_dwordx4 s[0:3], s[4:5], 0x18
	s_load_dwordx2 s[8:9], s[4:5], 0x28
	s_waitcnt lgkmcnt(0)
	s_cmp_eq_u64 s[0:1], 0
	s_cbranch_scc1 .LBB414_5
; %bb.4:
	s_ashr_i32 s7, s6, 31
	s_lshl_b64 s[6:7], s[6:7], 2
	s_add_u32 s0, s0, s6
	s_addc_u32 s1, s1, s7
	s_load_dword s0, s[0:1], 0x0
	s_waitcnt lgkmcnt(0)
	s_sub_i32 s6, s0, s14
.LBB414_5:
	s_load_dword s7, s[4:5], 0x4
	s_load_dwordx2 s[12:13], s[4:5], 0x50
	v_mul_u32_u24_e32 v7, 0x843, v0
	v_mov_b32_e32 v5, 31
	v_mul_lo_u16_sdwa v5, v7, v5 dst_sel:DWORD dst_unused:UNUSED_PAD src0_sel:WORD_1 src1_sel:DWORD
	s_waitcnt lgkmcnt(0)
	s_cmp_eq_u32 s7, 1
	s_cselect_b64 s[0:1], -1, 0
	s_cmp_lg_u32 s7, 1
	s_cselect_b64 s[16:17], -1, 0
	s_ashr_i32 s7, s6, 31
	s_lshl_b64 s[10:11], s[6:7], 3
	s_add_u32 s2, s2, s10
	s_addc_u32 s3, s3, s11
	s_add_u32 s7, s2, 8
	s_addc_u32 s15, s3, 0
	;; [unrolled: 2-line block ×3, first 2 shown]
	s_cmp_eq_u64 s[8:9], 0
	s_cselect_b32 s9, s15, s11
	s_cselect_b32 s8, s7, s10
	s_load_dwordx2 s[18:19], s[8:9], 0x0
	s_load_dwordx2 s[20:21], s[2:3], 0x0
	v_sub_u16_e32 v14, v0, v5
	s_waitcnt lgkmcnt(0)
	v_mov_b32_e32 v5, s18
	v_mov_b32_e32 v6, s19
	v_cmp_ge_i64_e32 vcc, s[20:21], v[5:6]
	v_mov_b32_e32 v6, 0
	v_mov_b32_e32 v5, 0
	s_cbranch_vccnz .LBB414_10
; %bb.6:
	s_load_dwordx4 s[8:11], s[4:5], 0x30
	s_load_dwordx2 s[2:3], s[4:5], 0x40
	s_sub_u32 s4, s18, s14
	s_mov_b32 s7, 0xffff
	s_subb_u32 s5, s19, 0
	s_movk_i32 s15, 0x3c1
	v_and_b32_sdwa v5, s7, v7 dst_sel:DWORD dst_unused:UNUSED_PAD src0_sel:DWORD src1_sel:WORD_1
	v_subrev_u32_e32 v6, 31, v5
	v_cmp_gt_u32_e32 vcc, s15, v0
	s_sub_u32 s18, s20, s14
	v_cndmask_b32_e32 v5, v6, v5, vcc
	s_subb_u32 s19, s21, 0
	v_cndmask_b32_e64 v7, v14, v5, s[0:1]
	s_mul_i32 s0, s19, 0xf04
	s_mul_hi_u32 s1, s18, 0xf04
	s_add_i32 s1, s1, s0
	s_mul_i32 s0, s18, 0xf04
	s_waitcnt lgkmcnt(0)
	s_add_u32 s0, s10, s0
	s_addc_u32 s1, s11, s1
	v_lshlrev_b32_e32 v5, 2, v0
	v_mov_b32_e32 v9, s1
	v_add_co_u32_e32 v8, vcc, s0, v5
	v_addc_co_u32_e32 v9, vcc, 0, v9, vcc
	s_movk_i32 s0, 0x3c0
	v_cmp_lt_u32_e32 vcc, s0, v0
	v_cndmask_b32_e64 v15, 0, 1, vcc
	v_mov_b32_e32 v5, s21
	v_add_co_u32_e32 v10, vcc, s20, v15
	v_addc_co_u32_e32 v5, vcc, 0, v5, vcc
	v_subrev_co_u32_e32 v10, vcc, s14, v10
	v_subbrev_co_u32_e32 v11, vcc, 0, v5, vcc
	v_lshlrev_b64 v[10:11], 2, v[10:11]
	v_mov_b32_e32 v6, 0
	v_mov_b32_e32 v5, s9
	v_add_co_u32_e32 v10, vcc, s8, v10
	v_mov_b32_e32 v13, s5
	v_addc_co_u32_e32 v11, vcc, v5, v11, vcc
	v_mov_b32_e32 v12, s4
	v_mov_b32_e32 v5, v6
	s_branch .LBB414_8
.LBB414_7:                              ;   in Loop: Header=BB414_8 Depth=1
	s_or_b64 exec, exec, s[0:1]
	s_add_u32 s18, s18, 1
	s_addc_u32 s19, s19, 0
	v_cmp_lt_i64_e32 vcc, s[18:19], v[12:13]
	v_add_co_u32_e64 v10, s[0:1], 4, v10
	v_addc_co_u32_e64 v11, s[0:1], 0, v11, s[0:1]
	s_cbranch_vccz .LBB414_10
.LBB414_8:                              ; =>This Inner Loop Header: Depth=1
	v_mov_b32_e32 v17, s19
	v_add_co_u32_e32 v16, vcc, s18, v15
	v_addc_co_u32_e32 v17, vcc, 0, v17, vcc
	v_cmp_gt_i64_e32 vcc, s[4:5], v[16:17]
	s_and_saveexec_b64 s[0:1], vcc
	s_cbranch_execz .LBB414_7
; %bb.9:                                ;   in Loop: Header=BB414_8 Depth=1
	global_load_dword v16, v[10:11], off
	v_mov_b32_e32 v19, s3
	global_load_dword v18, v[8:9], off
	s_waitcnt vmcnt(1)
	v_subrev_u32_e32 v16, s14, v16
	v_mad_u64_u32 v[16:17], s[8:9], v16, 31, v[7:8]
	v_ashrrev_i32_e32 v17, 31, v16
	v_lshlrev_b64 v[16:17], 3, v[16:17]
	v_add_co_u32_e32 v16, vcc, s2, v16
	v_addc_co_u32_e32 v17, vcc, v19, v17, vcc
	global_load_dwordx2 v[16:17], v[16:17], off
	v_add_co_u32_e32 v8, vcc, 0xf04, v8
	v_addc_co_u32_e32 v9, vcc, 0, v9, vcc
	s_waitcnt vmcnt(0)
	v_fmac_f32_e32 v5, v18, v16
	v_fmac_f32_e32 v6, 0, v16
	;; [unrolled: 1-line block ×4, first 2 shown]
	s_branch .LBB414_7
.LBB414_10:
	v_lshlrev_b32_e32 v7, 3, v0
	s_and_b64 vcc, exec, s[16:17]
	ds_write_b64 v7, v[5:6]
	s_waitcnt lgkmcnt(0)
	s_barrier
	s_cbranch_vccz .LBB414_22
; %bb.11:
	v_cmp_gt_u16_e32 vcc, 15, v14
	s_and_saveexec_b64 s[0:1], vcc
	s_cbranch_execz .LBB414_13
; %bb.12:
	ds_read2_b64 v[8:11], v7 offset1:16
	s_waitcnt lgkmcnt(0)
	v_add_f32_e32 v8, v10, v8
	v_add_f32_e32 v9, v11, v9
	ds_write_b64 v7, v[8:9]
.LBB414_13:
	s_or_b64 exec, exec, s[0:1]
	v_cmp_gt_u16_e32 vcc, 8, v14
	s_waitcnt lgkmcnt(0)
	s_barrier
	s_and_saveexec_b64 s[0:1], vcc
	s_cbranch_execz .LBB414_15
; %bb.14:
	ds_read2_b64 v[8:11], v7 offset1:8
	s_waitcnt lgkmcnt(0)
	v_add_f32_e32 v8, v10, v8
	v_add_f32_e32 v9, v11, v9
	ds_write_b64 v7, v[8:9]
.LBB414_15:
	s_or_b64 exec, exec, s[0:1]
	v_cmp_gt_u16_e32 vcc, 4, v14
	s_waitcnt lgkmcnt(0)
	s_barrier
	;; [unrolled: 13-line block ×3, first 2 shown]
	s_and_saveexec_b64 s[0:1], vcc
	s_cbranch_execz .LBB414_19
; %bb.18:
	ds_read2_b64 v[8:11], v7 offset1:2
	s_waitcnt lgkmcnt(0)
	v_add_f32_e32 v8, v10, v8
	v_add_f32_e32 v9, v11, v9
	ds_write_b64 v7, v[8:9]
.LBB414_19:
	s_or_b64 exec, exec, s[0:1]
	v_cmp_gt_u32_e32 vcc, 31, v0
	v_mov_b32_e32 v9, v6
	v_mov_b32_e32 v8, v5
	s_waitcnt lgkmcnt(0)
	s_barrier
	s_and_saveexec_b64 s[0:1], vcc
	s_cbranch_execz .LBB414_21
; %bb.20:
	s_movk_i32 s2, 0xf0
	v_mad_u32_u24 v8, v0, s2, v7
	ds_read2_b64 v[8:11], v8 offset1:1
	s_waitcnt lgkmcnt(0)
	v_add_f32_e32 v8, v10, v8
	v_add_f32_e32 v9, v11, v9
.LBB414_21:
	s_or_b64 exec, exec, s[0:1]
	s_branch .LBB414_34
.LBB414_22:
                                        ; implicit-def: $vgpr9
                                        ; implicit-def: $vgpr8
	s_cbranch_execz .LBB414_34
; %bb.23:
	s_movk_i32 s0, 0x1d1
	v_cmp_gt_u32_e32 vcc, s0, v0
	s_and_saveexec_b64 s[0:1], vcc
	s_cbranch_execz .LBB414_25
; %bb.24:
	ds_read_b64 v[8:9], v7 offset:3968
	ds_read_b64 v[10:11], v7
	s_waitcnt lgkmcnt(0)
	v_add_f32_e32 v8, v8, v10
	v_add_f32_e32 v9, v9, v11
	ds_write_b64 v7, v[8:9]
.LBB414_25:
	s_or_b64 exec, exec, s[0:1]
	s_movk_i32 s0, 0xf8
	v_cmp_gt_u32_e32 vcc, s0, v0
	s_waitcnt lgkmcnt(0)
	s_barrier
	s_and_saveexec_b64 s[0:1], vcc
	s_cbranch_execz .LBB414_27
; %bb.26:
	ds_read2_b64 v[8:11], v7 offset1:248
	s_waitcnt lgkmcnt(0)
	v_add_f32_e32 v8, v10, v8
	v_add_f32_e32 v9, v11, v9
	ds_write_b64 v7, v[8:9]
.LBB414_27:
	s_or_b64 exec, exec, s[0:1]
	s_movk_i32 s0, 0x7c
	v_cmp_gt_u32_e32 vcc, s0, v0
	s_waitcnt lgkmcnt(0)
	s_barrier
	s_and_saveexec_b64 s[0:1], vcc
	s_cbranch_execz .LBB414_29
; %bb.28:
	ds_read2_b64 v[8:11], v7 offset1:124
	s_waitcnt lgkmcnt(0)
	v_add_f32_e32 v8, v10, v8
	v_add_f32_e32 v9, v11, v9
	ds_write_b64 v7, v[8:9]
.LBB414_29:
	s_or_b64 exec, exec, s[0:1]
	v_cmp_gt_u32_e32 vcc, 62, v0
	s_waitcnt lgkmcnt(0)
	s_barrier
	s_and_saveexec_b64 s[0:1], vcc
	s_cbranch_execz .LBB414_31
; %bb.30:
	ds_read2_b64 v[8:11], v7 offset1:62
	s_waitcnt lgkmcnt(0)
	v_add_f32_e32 v8, v10, v8
	v_add_f32_e32 v9, v11, v9
	ds_write_b64 v7, v[8:9]
.LBB414_31:
	s_or_b64 exec, exec, s[0:1]
	v_cmp_gt_u32_e32 vcc, 31, v0
	s_waitcnt lgkmcnt(0)
	s_and_saveexec_b64 s[0:1], vcc
	s_cbranch_execz .LBB414_33
; %bb.32:
	ds_read2_b64 v[5:8], v7 offset1:31
	s_waitcnt lgkmcnt(0)
	v_add_f32_e32 v5, v7, v5
	v_add_f32_e32 v6, v8, v6
.LBB414_33:
	s_or_b64 exec, exec, s[0:1]
	v_mov_b32_e32 v9, v6
	v_mov_b32_e32 v8, v5
.LBB414_34:
	v_cmp_gt_u32_e32 vcc, 31, v0
	s_and_b64 exec, exec, vcc
	s_cbranch_execz .LBB414_39
; %bb.35:
	v_cmp_eq_f32_e32 vcc, 0, v1
	v_cmp_eq_f32_e64 s[0:1], 0, v2
	v_mul_f32_e64 v5, v9, -v4
	v_mul_f32_e32 v6, v3, v9
	s_and_b64 s[0:1], vcc, s[0:1]
	v_fmac_f32_e32 v5, v3, v8
	v_fmac_f32_e32 v6, v4, v8
	s_and_saveexec_b64 s[2:3], s[0:1]
	s_xor_b64 s[0:1], exec, s[2:3]
	s_cbranch_execz .LBB414_37
; %bb.36:
	v_mad_u64_u32 v[0:1], s[2:3], s6, 31, v[0:1]
	v_mov_b32_e32 v1, 0
	v_mov_b32_e32 v2, s13
	v_lshlrev_b64 v[0:1], 3, v[0:1]
	v_add_co_u32_e32 v0, vcc, s12, v0
	v_addc_co_u32_e32 v1, vcc, v2, v1, vcc
	global_store_dwordx2 v[0:1], v[5:6], off
                                        ; implicit-def: $vgpr0
                                        ; implicit-def: $vgpr1_vgpr2
                                        ; implicit-def: $vgpr5
.LBB414_37:
	s_andn2_saveexec_b64 s[0:1], s[0:1]
	s_cbranch_execz .LBB414_39
; %bb.38:
	v_mad_u64_u32 v[3:4], s[0:1], s6, 31, v[0:1]
	v_mov_b32_e32 v4, 0
	v_mov_b32_e32 v0, s13
	v_lshlrev_b64 v[3:4], 3, v[3:4]
	v_add_co_u32_e32 v3, vcc, s12, v3
	v_addc_co_u32_e32 v4, vcc, v0, v4, vcc
	global_load_dwordx2 v[7:8], v[3:4], off
	s_waitcnt vmcnt(0)
	v_fmac_f32_e32 v5, v1, v7
	v_fmac_f32_e32 v6, v2, v7
	v_fma_f32 v5, -v2, v8, v5
	v_fmac_f32_e32 v6, v1, v8
	global_store_dwordx2 v[3:4], v[5:6], off
.LBB414_39:
	s_endpgm
	.section	.rodata,"a",@progbits
	.p2align	6, 0x0
	.amdhsa_kernel _ZN9rocsparseL20bsrxmvn_17_32_kernelILj31E21rocsparse_complex_numIfElifS2_S2_EEvT2_20rocsparse_direction_NS_24const_host_device_scalarIT0_EES3_PKS3_PKT1_SC_S9_PKT3_PKT4_S7_PT5_21rocsparse_index_base_b
		.amdhsa_group_segment_fixed_size 7688
		.amdhsa_private_segment_fixed_size 0
		.amdhsa_kernarg_size 96
		.amdhsa_user_sgpr_count 6
		.amdhsa_user_sgpr_private_segment_buffer 1
		.amdhsa_user_sgpr_dispatch_ptr 0
		.amdhsa_user_sgpr_queue_ptr 0
		.amdhsa_user_sgpr_kernarg_segment_ptr 1
		.amdhsa_user_sgpr_dispatch_id 0
		.amdhsa_user_sgpr_flat_scratch_init 0
		.amdhsa_user_sgpr_private_segment_size 0
		.amdhsa_uses_dynamic_stack 0
		.amdhsa_system_sgpr_private_segment_wavefront_offset 0
		.amdhsa_system_sgpr_workgroup_id_x 1
		.amdhsa_system_sgpr_workgroup_id_y 0
		.amdhsa_system_sgpr_workgroup_id_z 0
		.amdhsa_system_sgpr_workgroup_info 0
		.amdhsa_system_vgpr_workitem_id 0
		.amdhsa_next_free_vgpr 29
		.amdhsa_next_free_sgpr 61
		.amdhsa_reserve_vcc 1
		.amdhsa_reserve_flat_scratch 0
		.amdhsa_float_round_mode_32 0
		.amdhsa_float_round_mode_16_64 0
		.amdhsa_float_denorm_mode_32 3
		.amdhsa_float_denorm_mode_16_64 3
		.amdhsa_dx10_clamp 1
		.amdhsa_ieee_mode 1
		.amdhsa_fp16_overflow 0
		.amdhsa_exception_fp_ieee_invalid_op 0
		.amdhsa_exception_fp_denorm_src 0
		.amdhsa_exception_fp_ieee_div_zero 0
		.amdhsa_exception_fp_ieee_overflow 0
		.amdhsa_exception_fp_ieee_underflow 0
		.amdhsa_exception_fp_ieee_inexact 0
		.amdhsa_exception_int_div_zero 0
	.end_amdhsa_kernel
	.section	.text._ZN9rocsparseL20bsrxmvn_17_32_kernelILj31E21rocsparse_complex_numIfElifS2_S2_EEvT2_20rocsparse_direction_NS_24const_host_device_scalarIT0_EES3_PKS3_PKT1_SC_S9_PKT3_PKT4_S7_PT5_21rocsparse_index_base_b,"axG",@progbits,_ZN9rocsparseL20bsrxmvn_17_32_kernelILj31E21rocsparse_complex_numIfElifS2_S2_EEvT2_20rocsparse_direction_NS_24const_host_device_scalarIT0_EES3_PKS3_PKT1_SC_S9_PKT3_PKT4_S7_PT5_21rocsparse_index_base_b,comdat
.Lfunc_end414:
	.size	_ZN9rocsparseL20bsrxmvn_17_32_kernelILj31E21rocsparse_complex_numIfElifS2_S2_EEvT2_20rocsparse_direction_NS_24const_host_device_scalarIT0_EES3_PKS3_PKT1_SC_S9_PKT3_PKT4_S7_PT5_21rocsparse_index_base_b, .Lfunc_end414-_ZN9rocsparseL20bsrxmvn_17_32_kernelILj31E21rocsparse_complex_numIfElifS2_S2_EEvT2_20rocsparse_direction_NS_24const_host_device_scalarIT0_EES3_PKS3_PKT1_SC_S9_PKT3_PKT4_S7_PT5_21rocsparse_index_base_b
                                        ; -- End function
	.set _ZN9rocsparseL20bsrxmvn_17_32_kernelILj31E21rocsparse_complex_numIfElifS2_S2_EEvT2_20rocsparse_direction_NS_24const_host_device_scalarIT0_EES3_PKS3_PKT1_SC_S9_PKT3_PKT4_S7_PT5_21rocsparse_index_base_b.num_vgpr, 20
	.set _ZN9rocsparseL20bsrxmvn_17_32_kernelILj31E21rocsparse_complex_numIfElifS2_S2_EEvT2_20rocsparse_direction_NS_24const_host_device_scalarIT0_EES3_PKS3_PKT1_SC_S9_PKT3_PKT4_S7_PT5_21rocsparse_index_base_b.num_agpr, 0
	.set _ZN9rocsparseL20bsrxmvn_17_32_kernelILj31E21rocsparse_complex_numIfElifS2_S2_EEvT2_20rocsparse_direction_NS_24const_host_device_scalarIT0_EES3_PKS3_PKT1_SC_S9_PKT3_PKT4_S7_PT5_21rocsparse_index_base_b.numbered_sgpr, 22
	.set _ZN9rocsparseL20bsrxmvn_17_32_kernelILj31E21rocsparse_complex_numIfElifS2_S2_EEvT2_20rocsparse_direction_NS_24const_host_device_scalarIT0_EES3_PKS3_PKT1_SC_S9_PKT3_PKT4_S7_PT5_21rocsparse_index_base_b.num_named_barrier, 0
	.set _ZN9rocsparseL20bsrxmvn_17_32_kernelILj31E21rocsparse_complex_numIfElifS2_S2_EEvT2_20rocsparse_direction_NS_24const_host_device_scalarIT0_EES3_PKS3_PKT1_SC_S9_PKT3_PKT4_S7_PT5_21rocsparse_index_base_b.private_seg_size, 0
	.set _ZN9rocsparseL20bsrxmvn_17_32_kernelILj31E21rocsparse_complex_numIfElifS2_S2_EEvT2_20rocsparse_direction_NS_24const_host_device_scalarIT0_EES3_PKS3_PKT1_SC_S9_PKT3_PKT4_S7_PT5_21rocsparse_index_base_b.uses_vcc, 1
	.set _ZN9rocsparseL20bsrxmvn_17_32_kernelILj31E21rocsparse_complex_numIfElifS2_S2_EEvT2_20rocsparse_direction_NS_24const_host_device_scalarIT0_EES3_PKS3_PKT1_SC_S9_PKT3_PKT4_S7_PT5_21rocsparse_index_base_b.uses_flat_scratch, 0
	.set _ZN9rocsparseL20bsrxmvn_17_32_kernelILj31E21rocsparse_complex_numIfElifS2_S2_EEvT2_20rocsparse_direction_NS_24const_host_device_scalarIT0_EES3_PKS3_PKT1_SC_S9_PKT3_PKT4_S7_PT5_21rocsparse_index_base_b.has_dyn_sized_stack, 0
	.set _ZN9rocsparseL20bsrxmvn_17_32_kernelILj31E21rocsparse_complex_numIfElifS2_S2_EEvT2_20rocsparse_direction_NS_24const_host_device_scalarIT0_EES3_PKS3_PKT1_SC_S9_PKT3_PKT4_S7_PT5_21rocsparse_index_base_b.has_recursion, 0
	.set _ZN9rocsparseL20bsrxmvn_17_32_kernelILj31E21rocsparse_complex_numIfElifS2_S2_EEvT2_20rocsparse_direction_NS_24const_host_device_scalarIT0_EES3_PKS3_PKT1_SC_S9_PKT3_PKT4_S7_PT5_21rocsparse_index_base_b.has_indirect_call, 0
	.section	.AMDGPU.csdata,"",@progbits
; Kernel info:
; codeLenInByte = 1488
; TotalNumSgprs: 26
; NumVgprs: 20
; ScratchSize: 0
; MemoryBound: 0
; FloatMode: 240
; IeeeMode: 1
; LDSByteSize: 7688 bytes/workgroup (compile time only)
; SGPRBlocks: 8
; VGPRBlocks: 7
; NumSGPRsForWavesPerEU: 65
; NumVGPRsForWavesPerEU: 29
; Occupancy: 8
; WaveLimiterHint : 1
; COMPUTE_PGM_RSRC2:SCRATCH_EN: 0
; COMPUTE_PGM_RSRC2:USER_SGPR: 6
; COMPUTE_PGM_RSRC2:TRAP_HANDLER: 0
; COMPUTE_PGM_RSRC2:TGID_X_EN: 1
; COMPUTE_PGM_RSRC2:TGID_Y_EN: 0
; COMPUTE_PGM_RSRC2:TGID_Z_EN: 0
; COMPUTE_PGM_RSRC2:TIDIG_COMP_CNT: 0
	.section	.text._ZN9rocsparseL20bsrxmvn_17_32_kernelILj32E21rocsparse_complex_numIfElifS2_S2_EEvT2_20rocsparse_direction_NS_24const_host_device_scalarIT0_EES3_PKS3_PKT1_SC_S9_PKT3_PKT4_S7_PT5_21rocsparse_index_base_b,"axG",@progbits,_ZN9rocsparseL20bsrxmvn_17_32_kernelILj32E21rocsparse_complex_numIfElifS2_S2_EEvT2_20rocsparse_direction_NS_24const_host_device_scalarIT0_EES3_PKS3_PKT1_SC_S9_PKT3_PKT4_S7_PT5_21rocsparse_index_base_b,comdat
	.globl	_ZN9rocsparseL20bsrxmvn_17_32_kernelILj32E21rocsparse_complex_numIfElifS2_S2_EEvT2_20rocsparse_direction_NS_24const_host_device_scalarIT0_EES3_PKS3_PKT1_SC_S9_PKT3_PKT4_S7_PT5_21rocsparse_index_base_b ; -- Begin function _ZN9rocsparseL20bsrxmvn_17_32_kernelILj32E21rocsparse_complex_numIfElifS2_S2_EEvT2_20rocsparse_direction_NS_24const_host_device_scalarIT0_EES3_PKS3_PKT1_SC_S9_PKT3_PKT4_S7_PT5_21rocsparse_index_base_b
	.p2align	8
	.type	_ZN9rocsparseL20bsrxmvn_17_32_kernelILj32E21rocsparse_complex_numIfElifS2_S2_EEvT2_20rocsparse_direction_NS_24const_host_device_scalarIT0_EES3_PKS3_PKT1_SC_S9_PKT3_PKT4_S7_PT5_21rocsparse_index_base_b,@function
_ZN9rocsparseL20bsrxmvn_17_32_kernelILj32E21rocsparse_complex_numIfElifS2_S2_EEvT2_20rocsparse_direction_NS_24const_host_device_scalarIT0_EES3_PKS3_PKT1_SC_S9_PKT3_PKT4_S7_PT5_21rocsparse_index_base_b: ; @_ZN9rocsparseL20bsrxmvn_17_32_kernelILj32E21rocsparse_complex_numIfElifS2_S2_EEvT2_20rocsparse_direction_NS_24const_host_device_scalarIT0_EES3_PKS3_PKT1_SC_S9_PKT3_PKT4_S7_PT5_21rocsparse_index_base_b
; %bb.0:
	s_load_dwordx2 s[0:1], s[4:5], 0x8
	s_load_dwordx2 s[8:9], s[4:5], 0x58
	s_add_u32 s7, s4, 8
	s_addc_u32 s10, s5, 0
	s_add_u32 s11, s4, 0x48
	s_load_dwordx2 s[2:3], s[4:5], 0x48
	s_addc_u32 s12, s5, 0
	s_waitcnt lgkmcnt(0)
	s_bitcmp1_b32 s9, 0
	s_cselect_b32 s1, s10, s1
	s_cselect_b32 s0, s7, s0
	v_mov_b32_e32 v1, s0
	v_mov_b32_e32 v2, s1
	flat_load_dwordx2 v[3:4], v[1:2]
	s_cselect_b32 s0, s12, s3
	s_cselect_b32 s1, s11, s2
	v_mov_b32_e32 v1, s1
	v_mov_b32_e32 v2, s0
	flat_load_dwordx2 v[1:2], v[1:2]
	s_waitcnt vmcnt(0) lgkmcnt(0)
	v_cmp_eq_f32_e32 vcc, 0, v3
	v_cmp_eq_f32_e64 s[0:1], 0, v4
	s_and_b64 s[10:11], vcc, s[0:1]
	s_mov_b64 s[0:1], -1
	s_and_saveexec_b64 s[2:3], s[10:11]
; %bb.1:
	v_cmp_neq_f32_e32 vcc, 1.0, v1
	v_cmp_neq_f32_e64 s[0:1], 0, v2
	s_or_b64 s[0:1], vcc, s[0:1]
	s_orn2_b64 s[0:1], s[0:1], exec
; %bb.2:
	s_or_b64 exec, exec, s[2:3]
	s_and_saveexec_b64 s[2:3], s[0:1]
	s_cbranch_execz .LBB415_37
; %bb.3:
	s_load_dwordx4 s[0:3], s[4:5], 0x18
	s_load_dwordx2 s[12:13], s[4:5], 0x28
	s_waitcnt lgkmcnt(0)
	s_cmp_eq_u64 s[0:1], 0
	s_cbranch_scc1 .LBB415_5
; %bb.4:
	s_ashr_i32 s7, s6, 31
	s_lshl_b64 s[6:7], s[6:7], 2
	s_add_u32 s0, s0, s6
	s_addc_u32 s1, s1, s7
	s_load_dword s0, s[0:1], 0x0
	s_waitcnt lgkmcnt(0)
	s_sub_i32 s6, s0, s8
.LBB415_5:
	s_load_dword s7, s[4:5], 0x4
	v_and_b32_e32 v11, 31, v0
	s_waitcnt lgkmcnt(0)
	s_cmp_eq_u32 s7, 1
	s_cselect_b64 s[0:1], -1, 0
	s_cmp_lg_u32 s7, 1
	s_cselect_b64 s[10:11], -1, 0
	s_ashr_i32 s7, s6, 31
	s_lshl_b64 s[14:15], s[6:7], 3
	s_add_u32 s18, s2, s14
	s_addc_u32 s19, s3, s15
	s_add_u32 s2, s18, 8
	s_addc_u32 s3, s19, 0
	;; [unrolled: 2-line block ×3, first 2 shown]
	s_cmp_eq_u64 s[12:13], 0
	s_cselect_b32 s13, s3, s9
	s_cselect_b32 s12, s2, s7
	s_load_dwordx2 s[16:17], s[12:13], 0x0
	s_load_dwordx2 s[14:15], s[18:19], 0x0
	;; [unrolled: 1-line block ×3, first 2 shown]
	s_waitcnt lgkmcnt(0)
	v_mov_b32_e32 v5, s16
	v_mov_b32_e32 v6, s17
	v_cmp_ge_i64_e32 vcc, s[14:15], v[5:6]
	v_mov_b32_e32 v6, 0
	v_mov_b32_e32 v5, 0
	s_cbranch_vccnz .LBB415_8
; %bb.6:
	s_sub_u32 s16, s16, s8
	s_load_dwordx4 s[20:23], s[4:5], 0x30
	s_load_dwordx2 s[12:13], s[4:5], 0x40
	s_subb_u32 s17, s17, 0
	v_lshrrev_b32_e32 v5, 5, v0
	v_cndmask_b32_e64 v12, v11, v5, s[0:1]
	s_sub_u32 s0, s14, s8
	s_subb_u32 s1, s15, 0
	s_lshl_b64 s[4:5], s[0:1], 12
	s_waitcnt lgkmcnt(0)
	s_add_u32 s4, s22, s4
	s_mov_b32 s9, 0
	s_addc_u32 s5, s23, s5
	v_lshlrev_b32_e32 v5, 2, v0
	v_mov_b32_e32 v8, s5
	v_add_co_u32_e32 v7, vcc, s4, v5
	s_lshl_b64 s[4:5], s[14:15], 2
	s_lshl_b64 s[14:15], s[8:9], 2
	s_sub_u32 s4, s4, s14
	s_subb_u32 s5, s5, s15
	v_mov_b32_e32 v6, 0
	s_add_u32 s4, s20, s4
	v_mov_b32_e32 v9, s16
	v_addc_co_u32_e32 v8, vcc, 0, v8, vcc
	s_addc_u32 s5, s21, s5
	v_mov_b32_e32 v13, s13
	v_mov_b32_e32 v10, s17
	;; [unrolled: 1-line block ×3, first 2 shown]
.LBB415_7:                              ; =>This Inner Loop Header: Depth=1
	s_load_dword s7, s[4:5], 0x0
	global_load_dword v16, v[7:8], off
	s_waitcnt lgkmcnt(0)
	s_sub_i32 s7, s7, s8
	v_lshl_or_b32 v14, s7, 5, v12
	v_ashrrev_i32_e32 v15, 31, v14
	v_lshlrev_b64 v[14:15], 3, v[14:15]
	s_add_u32 s0, s0, 1
	v_add_co_u32_e32 v14, vcc, s12, v14
	v_addc_co_u32_e32 v15, vcc, v13, v15, vcc
	global_load_dwordx2 v[14:15], v[14:15], off
	v_add_co_u32_e32 v7, vcc, 0x1000, v7
	v_addc_co_u32_e32 v8, vcc, 0, v8, vcc
	s_addc_u32 s1, s1, 0
	v_cmp_lt_i64_e32 vcc, s[0:1], v[9:10]
	s_add_u32 s4, s4, 4
	s_addc_u32 s5, s5, 0
	s_and_b64 vcc, exec, vcc
	s_waitcnt vmcnt(0)
	v_fmac_f32_e32 v5, v16, v14
	v_fmac_f32_e32 v6, 0, v14
	;; [unrolled: 1-line block ×4, first 2 shown]
	s_cbranch_vccnz .LBB415_7
.LBB415_8:
	v_lshlrev_b32_e32 v7, 3, v0
	s_and_b64 vcc, exec, s[10:11]
	ds_write_b64 v7, v[5:6]
	s_waitcnt lgkmcnt(0)
	s_barrier
	s_cbranch_vccz .LBB415_20
; %bb.9:
	v_cmp_gt_u32_e32 vcc, 16, v11
	s_and_saveexec_b64 s[0:1], vcc
	s_cbranch_execz .LBB415_11
; %bb.10:
	ds_read2_b64 v[12:15], v7 offset1:16
	s_waitcnt lgkmcnt(0)
	v_add_f32_e32 v8, v14, v12
	v_add_f32_e32 v9, v15, v13
	ds_write_b64 v7, v[8:9]
.LBB415_11:
	s_or_b64 exec, exec, s[0:1]
	v_cmp_gt_u32_e32 vcc, 8, v11
	s_waitcnt lgkmcnt(0)
	s_barrier
	s_and_saveexec_b64 s[0:1], vcc
	s_cbranch_execz .LBB415_13
; %bb.12:
	ds_read2_b64 v[12:15], v7 offset1:8
	s_waitcnt lgkmcnt(0)
	v_add_f32_e32 v8, v14, v12
	v_add_f32_e32 v9, v15, v13
	ds_write_b64 v7, v[8:9]
.LBB415_13:
	s_or_b64 exec, exec, s[0:1]
	v_cmp_gt_u32_e32 vcc, 4, v11
	s_waitcnt lgkmcnt(0)
	s_barrier
	;; [unrolled: 13-line block ×3, first 2 shown]
	s_and_saveexec_b64 s[0:1], vcc
	s_cbranch_execz .LBB415_17
; %bb.16:
	ds_read2_b64 v[8:11], v7 offset1:2
	s_waitcnt lgkmcnt(0)
	v_add_f32_e32 v8, v10, v8
	v_add_f32_e32 v9, v11, v9
	ds_write_b64 v7, v[8:9]
.LBB415_17:
	s_or_b64 exec, exec, s[0:1]
	v_cmp_gt_u32_e32 vcc, 32, v0
	v_mov_b32_e32 v9, v6
	v_mov_b32_e32 v8, v5
	s_waitcnt lgkmcnt(0)
	s_barrier
	s_and_saveexec_b64 s[0:1], vcc
	s_cbranch_execz .LBB415_19
; %bb.18:
	s_movk_i32 s4, 0xf8
	v_mad_u32_u24 v8, v0, s4, v7
	ds_read2_b64 v[8:11], v8 offset1:1
	s_waitcnt lgkmcnt(0)
	v_add_f32_e32 v8, v10, v8
	v_add_f32_e32 v9, v11, v9
.LBB415_19:
	s_or_b64 exec, exec, s[0:1]
	s_branch .LBB415_32
.LBB415_20:
                                        ; implicit-def: $vgpr9
                                        ; implicit-def: $vgpr8
	s_cbranch_execz .LBB415_32
; %bb.21:
	s_movk_i32 s0, 0x200
	v_cmp_gt_u32_e32 vcc, s0, v0
	s_and_saveexec_b64 s[0:1], vcc
	s_cbranch_execz .LBB415_23
; %bb.22:
	ds_read2st64_b64 v[8:11], v7 offset1:8
	s_waitcnt lgkmcnt(0)
	v_add_f32_e32 v8, v10, v8
	v_add_f32_e32 v9, v11, v9
	ds_write_b64 v7, v[8:9]
.LBB415_23:
	s_or_b64 exec, exec, s[0:1]
	s_movk_i32 s0, 0x100
	v_cmp_gt_u32_e32 vcc, s0, v0
	s_waitcnt lgkmcnt(0)
	s_barrier
	s_and_saveexec_b64 s[0:1], vcc
	s_cbranch_execz .LBB415_25
; %bb.24:
	ds_read2st64_b64 v[8:11], v7 offset1:4
	s_waitcnt lgkmcnt(0)
	v_add_f32_e32 v8, v10, v8
	v_add_f32_e32 v9, v11, v9
	ds_write_b64 v7, v[8:9]
.LBB415_25:
	s_or_b64 exec, exec, s[0:1]
	s_movk_i32 s0, 0x80
	v_cmp_gt_u32_e32 vcc, s0, v0
	s_waitcnt lgkmcnt(0)
	s_barrier
	s_and_saveexec_b64 s[0:1], vcc
	s_cbranch_execz .LBB415_27
; %bb.26:
	ds_read2st64_b64 v[8:11], v7 offset1:2
	s_waitcnt lgkmcnt(0)
	v_add_f32_e32 v8, v10, v8
	v_add_f32_e32 v9, v11, v9
	ds_write_b64 v7, v[8:9]
.LBB415_27:
	s_or_b64 exec, exec, s[0:1]
	v_cmp_gt_u32_e32 vcc, 64, v0
	s_waitcnt lgkmcnt(0)
	s_barrier
	s_and_saveexec_b64 s[0:1], vcc
	s_cbranch_execz .LBB415_29
; %bb.28:
	ds_read2st64_b64 v[8:11], v7 offset1:1
	s_waitcnt lgkmcnt(0)
	v_add_f32_e32 v8, v10, v8
	v_add_f32_e32 v9, v11, v9
	ds_write_b64 v7, v[8:9]
.LBB415_29:
	s_or_b64 exec, exec, s[0:1]
	v_cmp_gt_u32_e32 vcc, 32, v0
	s_waitcnt lgkmcnt(0)
	s_and_saveexec_b64 s[0:1], vcc
	s_cbranch_execz .LBB415_31
; %bb.30:
	ds_read2_b64 v[5:8], v7 offset1:32
	s_waitcnt lgkmcnt(0)
	v_add_f32_e32 v5, v7, v5
	v_add_f32_e32 v6, v8, v6
.LBB415_31:
	s_or_b64 exec, exec, s[0:1]
	v_mov_b32_e32 v9, v6
	v_mov_b32_e32 v8, v5
.LBB415_32:
	v_cmp_gt_u32_e32 vcc, 32, v0
	s_and_b64 exec, exec, vcc
	s_cbranch_execz .LBB415_37
; %bb.33:
	v_cmp_eq_f32_e32 vcc, 0, v1
	v_cmp_eq_f32_e64 s[0:1], 0, v2
	v_mul_f32_e64 v5, v9, -v4
	v_mul_f32_e32 v6, v3, v9
	s_and_b64 s[0:1], vcc, s[0:1]
	v_fmac_f32_e32 v5, v3, v8
	v_fmac_f32_e32 v6, v4, v8
	v_lshl_or_b32 v3, s6, 5, v0
	s_and_saveexec_b64 s[4:5], s[0:1]
	s_xor_b64 s[0:1], exec, s[4:5]
	s_cbranch_execz .LBB415_35
; %bb.34:
	v_mov_b32_e32 v4, 0
	v_lshlrev_b64 v[0:1], 3, v[3:4]
	v_mov_b32_e32 v2, s3
	v_add_co_u32_e32 v0, vcc, s2, v0
	v_addc_co_u32_e32 v1, vcc, v2, v1, vcc
	global_store_dwordx2 v[0:1], v[5:6], off
                                        ; implicit-def: $vgpr3
                                        ; implicit-def: $vgpr1_vgpr2
                                        ; implicit-def: $vgpr5
.LBB415_35:
	s_andn2_saveexec_b64 s[0:1], s[0:1]
	s_cbranch_execz .LBB415_37
; %bb.36:
	v_mov_b32_e32 v4, 0
	v_lshlrev_b64 v[3:4], 3, v[3:4]
	v_mov_b32_e32 v0, s3
	v_add_co_u32_e32 v3, vcc, s2, v3
	v_addc_co_u32_e32 v4, vcc, v0, v4, vcc
	global_load_dwordx2 v[7:8], v[3:4], off
	s_waitcnt vmcnt(0)
	v_fmac_f32_e32 v5, v1, v7
	v_fmac_f32_e32 v6, v2, v7
	v_fma_f32 v5, -v2, v8, v5
	v_fmac_f32_e32 v6, v1, v8
	global_store_dwordx2 v[3:4], v[5:6], off
.LBB415_37:
	s_endpgm
	.section	.rodata,"a",@progbits
	.p2align	6, 0x0
	.amdhsa_kernel _ZN9rocsparseL20bsrxmvn_17_32_kernelILj32E21rocsparse_complex_numIfElifS2_S2_EEvT2_20rocsparse_direction_NS_24const_host_device_scalarIT0_EES3_PKS3_PKT1_SC_S9_PKT3_PKT4_S7_PT5_21rocsparse_index_base_b
		.amdhsa_group_segment_fixed_size 8192
		.amdhsa_private_segment_fixed_size 0
		.amdhsa_kernarg_size 96
		.amdhsa_user_sgpr_count 6
		.amdhsa_user_sgpr_private_segment_buffer 1
		.amdhsa_user_sgpr_dispatch_ptr 0
		.amdhsa_user_sgpr_queue_ptr 0
		.amdhsa_user_sgpr_kernarg_segment_ptr 1
		.amdhsa_user_sgpr_dispatch_id 0
		.amdhsa_user_sgpr_flat_scratch_init 0
		.amdhsa_user_sgpr_private_segment_size 0
		.amdhsa_uses_dynamic_stack 0
		.amdhsa_system_sgpr_private_segment_wavefront_offset 0
		.amdhsa_system_sgpr_workgroup_id_x 1
		.amdhsa_system_sgpr_workgroup_id_y 0
		.amdhsa_system_sgpr_workgroup_id_z 0
		.amdhsa_system_sgpr_workgroup_info 0
		.amdhsa_system_vgpr_workitem_id 0
		.amdhsa_next_free_vgpr 29
		.amdhsa_next_free_sgpr 61
		.amdhsa_reserve_vcc 1
		.amdhsa_reserve_flat_scratch 0
		.amdhsa_float_round_mode_32 0
		.amdhsa_float_round_mode_16_64 0
		.amdhsa_float_denorm_mode_32 3
		.amdhsa_float_denorm_mode_16_64 3
		.amdhsa_dx10_clamp 1
		.amdhsa_ieee_mode 1
		.amdhsa_fp16_overflow 0
		.amdhsa_exception_fp_ieee_invalid_op 0
		.amdhsa_exception_fp_denorm_src 0
		.amdhsa_exception_fp_ieee_div_zero 0
		.amdhsa_exception_fp_ieee_overflow 0
		.amdhsa_exception_fp_ieee_underflow 0
		.amdhsa_exception_fp_ieee_inexact 0
		.amdhsa_exception_int_div_zero 0
	.end_amdhsa_kernel
	.section	.text._ZN9rocsparseL20bsrxmvn_17_32_kernelILj32E21rocsparse_complex_numIfElifS2_S2_EEvT2_20rocsparse_direction_NS_24const_host_device_scalarIT0_EES3_PKS3_PKT1_SC_S9_PKT3_PKT4_S7_PT5_21rocsparse_index_base_b,"axG",@progbits,_ZN9rocsparseL20bsrxmvn_17_32_kernelILj32E21rocsparse_complex_numIfElifS2_S2_EEvT2_20rocsparse_direction_NS_24const_host_device_scalarIT0_EES3_PKS3_PKT1_SC_S9_PKT3_PKT4_S7_PT5_21rocsparse_index_base_b,comdat
.Lfunc_end415:
	.size	_ZN9rocsparseL20bsrxmvn_17_32_kernelILj32E21rocsparse_complex_numIfElifS2_S2_EEvT2_20rocsparse_direction_NS_24const_host_device_scalarIT0_EES3_PKS3_PKT1_SC_S9_PKT3_PKT4_S7_PT5_21rocsparse_index_base_b, .Lfunc_end415-_ZN9rocsparseL20bsrxmvn_17_32_kernelILj32E21rocsparse_complex_numIfElifS2_S2_EEvT2_20rocsparse_direction_NS_24const_host_device_scalarIT0_EES3_PKS3_PKT1_SC_S9_PKT3_PKT4_S7_PT5_21rocsparse_index_base_b
                                        ; -- End function
	.set _ZN9rocsparseL20bsrxmvn_17_32_kernelILj32E21rocsparse_complex_numIfElifS2_S2_EEvT2_20rocsparse_direction_NS_24const_host_device_scalarIT0_EES3_PKS3_PKT1_SC_S9_PKT3_PKT4_S7_PT5_21rocsparse_index_base_b.num_vgpr, 17
	.set _ZN9rocsparseL20bsrxmvn_17_32_kernelILj32E21rocsparse_complex_numIfElifS2_S2_EEvT2_20rocsparse_direction_NS_24const_host_device_scalarIT0_EES3_PKS3_PKT1_SC_S9_PKT3_PKT4_S7_PT5_21rocsparse_index_base_b.num_agpr, 0
	.set _ZN9rocsparseL20bsrxmvn_17_32_kernelILj32E21rocsparse_complex_numIfElifS2_S2_EEvT2_20rocsparse_direction_NS_24const_host_device_scalarIT0_EES3_PKS3_PKT1_SC_S9_PKT3_PKT4_S7_PT5_21rocsparse_index_base_b.numbered_sgpr, 24
	.set _ZN9rocsparseL20bsrxmvn_17_32_kernelILj32E21rocsparse_complex_numIfElifS2_S2_EEvT2_20rocsparse_direction_NS_24const_host_device_scalarIT0_EES3_PKS3_PKT1_SC_S9_PKT3_PKT4_S7_PT5_21rocsparse_index_base_b.num_named_barrier, 0
	.set _ZN9rocsparseL20bsrxmvn_17_32_kernelILj32E21rocsparse_complex_numIfElifS2_S2_EEvT2_20rocsparse_direction_NS_24const_host_device_scalarIT0_EES3_PKS3_PKT1_SC_S9_PKT3_PKT4_S7_PT5_21rocsparse_index_base_b.private_seg_size, 0
	.set _ZN9rocsparseL20bsrxmvn_17_32_kernelILj32E21rocsparse_complex_numIfElifS2_S2_EEvT2_20rocsparse_direction_NS_24const_host_device_scalarIT0_EES3_PKS3_PKT1_SC_S9_PKT3_PKT4_S7_PT5_21rocsparse_index_base_b.uses_vcc, 1
	.set _ZN9rocsparseL20bsrxmvn_17_32_kernelILj32E21rocsparse_complex_numIfElifS2_S2_EEvT2_20rocsparse_direction_NS_24const_host_device_scalarIT0_EES3_PKS3_PKT1_SC_S9_PKT3_PKT4_S7_PT5_21rocsparse_index_base_b.uses_flat_scratch, 0
	.set _ZN9rocsparseL20bsrxmvn_17_32_kernelILj32E21rocsparse_complex_numIfElifS2_S2_EEvT2_20rocsparse_direction_NS_24const_host_device_scalarIT0_EES3_PKS3_PKT1_SC_S9_PKT3_PKT4_S7_PT5_21rocsparse_index_base_b.has_dyn_sized_stack, 0
	.set _ZN9rocsparseL20bsrxmvn_17_32_kernelILj32E21rocsparse_complex_numIfElifS2_S2_EEvT2_20rocsparse_direction_NS_24const_host_device_scalarIT0_EES3_PKS3_PKT1_SC_S9_PKT3_PKT4_S7_PT5_21rocsparse_index_base_b.has_recursion, 0
	.set _ZN9rocsparseL20bsrxmvn_17_32_kernelILj32E21rocsparse_complex_numIfElifS2_S2_EEvT2_20rocsparse_direction_NS_24const_host_device_scalarIT0_EES3_PKS3_PKT1_SC_S9_PKT3_PKT4_S7_PT5_21rocsparse_index_base_b.has_indirect_call, 0
	.section	.AMDGPU.csdata,"",@progbits
; Kernel info:
; codeLenInByte = 1332
; TotalNumSgprs: 28
; NumVgprs: 17
; ScratchSize: 0
; MemoryBound: 0
; FloatMode: 240
; IeeeMode: 1
; LDSByteSize: 8192 bytes/workgroup (compile time only)
; SGPRBlocks: 8
; VGPRBlocks: 7
; NumSGPRsForWavesPerEU: 65
; NumVGPRsForWavesPerEU: 29
; Occupancy: 8
; WaveLimiterHint : 1
; COMPUTE_PGM_RSRC2:SCRATCH_EN: 0
; COMPUTE_PGM_RSRC2:USER_SGPR: 6
; COMPUTE_PGM_RSRC2:TRAP_HANDLER: 0
; COMPUTE_PGM_RSRC2:TGID_X_EN: 1
; COMPUTE_PGM_RSRC2:TGID_Y_EN: 0
; COMPUTE_PGM_RSRC2:TGID_Z_EN: 0
; COMPUTE_PGM_RSRC2:TIDIG_COMP_CNT: 0
	.section	.text._ZN9rocsparseL20bsrxmvn_17_32_kernelILj17E21rocsparse_complex_numIfEllfS2_S2_EEvT2_20rocsparse_direction_NS_24const_host_device_scalarIT0_EES3_PKS3_PKT1_SC_S9_PKT3_PKT4_S7_PT5_21rocsparse_index_base_b,"axG",@progbits,_ZN9rocsparseL20bsrxmvn_17_32_kernelILj17E21rocsparse_complex_numIfEllfS2_S2_EEvT2_20rocsparse_direction_NS_24const_host_device_scalarIT0_EES3_PKS3_PKT1_SC_S9_PKT3_PKT4_S7_PT5_21rocsparse_index_base_b,comdat
	.globl	_ZN9rocsparseL20bsrxmvn_17_32_kernelILj17E21rocsparse_complex_numIfEllfS2_S2_EEvT2_20rocsparse_direction_NS_24const_host_device_scalarIT0_EES3_PKS3_PKT1_SC_S9_PKT3_PKT4_S7_PT5_21rocsparse_index_base_b ; -- Begin function _ZN9rocsparseL20bsrxmvn_17_32_kernelILj17E21rocsparse_complex_numIfEllfS2_S2_EEvT2_20rocsparse_direction_NS_24const_host_device_scalarIT0_EES3_PKS3_PKT1_SC_S9_PKT3_PKT4_S7_PT5_21rocsparse_index_base_b
	.p2align	8
	.type	_ZN9rocsparseL20bsrxmvn_17_32_kernelILj17E21rocsparse_complex_numIfEllfS2_S2_EEvT2_20rocsparse_direction_NS_24const_host_device_scalarIT0_EES3_PKS3_PKT1_SC_S9_PKT3_PKT4_S7_PT5_21rocsparse_index_base_b,@function
_ZN9rocsparseL20bsrxmvn_17_32_kernelILj17E21rocsparse_complex_numIfEllfS2_S2_EEvT2_20rocsparse_direction_NS_24const_host_device_scalarIT0_EES3_PKS3_PKT1_SC_S9_PKT3_PKT4_S7_PT5_21rocsparse_index_base_b: ; @_ZN9rocsparseL20bsrxmvn_17_32_kernelILj17E21rocsparse_complex_numIfEllfS2_S2_EEvT2_20rocsparse_direction_NS_24const_host_device_scalarIT0_EES3_PKS3_PKT1_SC_S9_PKT3_PKT4_S7_PT5_21rocsparse_index_base_b
; %bb.0:
	s_load_dwordx2 s[0:1], s[4:5], 0x10
	s_load_dwordx2 s[14:15], s[4:5], 0x60
	s_add_u32 s7, s4, 16
	s_addc_u32 s8, s5, 0
	s_add_u32 s9, s4, 0x50
	s_load_dwordx2 s[2:3], s[4:5], 0x50
	s_addc_u32 s10, s5, 0
	s_waitcnt lgkmcnt(0)
	s_bitcmp1_b32 s15, 0
	s_cselect_b32 s1, s8, s1
	s_cselect_b32 s0, s7, s0
	v_mov_b32_e32 v1, s0
	v_mov_b32_e32 v2, s1
	flat_load_dwordx2 v[3:4], v[1:2]
	s_cselect_b32 s0, s10, s3
	s_cselect_b32 s1, s9, s2
	v_mov_b32_e32 v1, s1
	v_mov_b32_e32 v2, s0
	flat_load_dwordx2 v[1:2], v[1:2]
	s_waitcnt vmcnt(0) lgkmcnt(0)
	v_cmp_eq_f32_e32 vcc, 0, v3
	v_cmp_eq_f32_e64 s[0:1], 0, v4
	s_and_b64 s[8:9], vcc, s[0:1]
	s_mov_b64 s[0:1], -1
	s_and_saveexec_b64 s[2:3], s[8:9]
; %bb.1:
	v_cmp_neq_f32_e32 vcc, 1.0, v1
	v_cmp_neq_f32_e64 s[0:1], 0, v2
	s_or_b64 s[0:1], vcc, s[0:1]
	s_orn2_b64 s[0:1], s[0:1], exec
; %bb.2:
	s_or_b64 exec, exec, s[2:3]
	s_and_saveexec_b64 s[2:3], s[0:1]
	s_cbranch_execz .LBB416_39
; %bb.3:
	s_load_dwordx4 s[0:3], s[4:5], 0x20
	s_load_dwordx2 s[8:9], s[4:5], 0x30
	s_mov_b32 s7, 0
	s_waitcnt lgkmcnt(0)
	s_cmp_eq_u64 s[0:1], 0
	s_cbranch_scc1 .LBB416_5
; %bb.4:
	s_lshl_b64 s[6:7], s[6:7], 3
	s_add_u32 s0, s0, s6
	s_addc_u32 s1, s1, s7
	s_load_dwordx2 s[0:1], s[0:1], 0x0
	s_waitcnt lgkmcnt(0)
	s_sub_u32 s6, s0, s14
	s_subb_u32 s7, s1, 0
.LBB416_5:
	s_load_dword s10, s[4:5], 0x8
	s_load_dwordx2 s[12:13], s[4:5], 0x58
	v_mul_u32_u24_e32 v7, 0xf10, v0
	v_mov_b32_e32 v5, 17
	v_mul_lo_u16_sdwa v5, v7, v5 dst_sel:DWORD dst_unused:UNUSED_PAD src0_sel:WORD_1 src1_sel:DWORD
	s_waitcnt lgkmcnt(0)
	s_cmp_eq_u32 s10, 1
	s_cselect_b64 s[0:1], -1, 0
	s_cmp_lg_u32 s10, 1
	s_cselect_b64 s[16:17], -1, 0
	s_lshl_b64 s[10:11], s[6:7], 3
	s_add_u32 s20, s2, s10
	s_addc_u32 s21, s3, s11
	s_add_u32 s2, s20, 8
	s_addc_u32 s3, s21, 0
	;; [unrolled: 2-line block ×3, first 2 shown]
	s_cmp_eq_u64 s[8:9], 0
	s_cselect_b32 s9, s3, s11
	s_cselect_b32 s8, s2, s10
	s_load_dwordx2 s[2:3], s[8:9], 0x0
	s_load_dwordx2 s[18:19], s[20:21], 0x0
	v_sub_u16_e32 v13, v0, v5
	s_waitcnt lgkmcnt(0)
	v_mov_b32_e32 v6, s3
	v_mov_b32_e32 v5, s2
	v_cmp_ge_i64_e32 vcc, s[18:19], v[5:6]
	v_mov_b32_e32 v6, 0
	v_mov_b32_e32 v5, 0
	s_cbranch_vccnz .LBB416_10
; %bb.6:
	v_mov_b32_e32 v5, 31
	v_mul_lo_u16_sdwa v5, v7, v5 dst_sel:DWORD dst_unused:UNUSED_PAD src0_sel:WORD_1 src1_sel:DWORD
	v_lshrrev_b16_e32 v5, 9, v5
	s_load_dwordx4 s[8:11], s[4:5], 0x38
	s_load_dwordx2 s[20:21], s[4:5], 0x48
	v_mul_lo_u16_e32 v5, 17, v5
	s_sub_u32 s2, s2, s14
	v_sub_u16_sdwa v5, v7, v5 dst_sel:DWORD dst_unused:UNUSED_PAD src0_sel:WORD_1 src1_sel:DWORD
	s_subb_u32 s3, s3, 0
	v_and_b32_e32 v5, 0xff, v5
	s_sub_u32 s4, s18, s14
	v_cndmask_b32_e64 v5, v13, v5, s[0:1]
	s_subb_u32 s5, s19, 0
	v_lshlrev_b32_e32 v5, 3, v5
	s_mul_i32 s0, s5, 0x484
	s_mul_hi_u32 s1, s4, 0x484
	s_waitcnt lgkmcnt(0)
	v_mov_b32_e32 v8, s21
	v_add_co_u32_e32 v7, vcc, s20, v5
	s_add_i32 s1, s1, s0
	s_mul_i32 s0, s4, 0x484
	v_addc_co_u32_e32 v8, vcc, 0, v8, vcc
	s_add_u32 s0, s10, s0
	v_lshlrev_b32_e32 v5, 2, v0
	s_addc_u32 s1, s11, s1
	v_add_co_u32_e32 v9, vcc, s0, v5
	s_movk_i32 s0, 0xe3
	v_mov_b32_e32 v10, s1
	v_mul_u32_u24_sdwa v5, v0, s0 dst_sel:DWORD dst_unused:UNUSED_PAD src0_sel:WORD_0 src1_sel:DWORD
	v_addc_co_u32_e32 v10, vcc, 0, v10, vcc
	v_lshrrev_b32_e32 v14, 16, v5
	v_mov_b32_e32 v5, s19
	v_add_co_u32_e32 v11, vcc, s18, v14
	v_addc_co_u32_e32 v5, vcc, 0, v5, vcc
	v_subrev_co_u32_e32 v11, vcc, s14, v11
	v_subbrev_co_u32_e32 v12, vcc, 0, v5, vcc
	v_lshlrev_b64 v[11:12], 3, v[11:12]
	v_mov_b32_e32 v6, 0
	v_mov_b32_e32 v5, s9
	v_add_co_u32_e32 v11, vcc, s8, v11
	v_addc_co_u32_e32 v12, vcc, v5, v12, vcc
	s_movk_i32 s8, 0x88
	v_mov_b32_e32 v5, v6
	s_branch .LBB416_8
.LBB416_7:                              ;   in Loop: Header=BB416_8 Depth=1
	s_or_b64 exec, exec, s[0:1]
	s_add_u32 s4, s4, 1
	v_mov_b32_e32 v16, s3
	s_addc_u32 s5, s5, 0
	v_mov_b32_e32 v15, s2
	v_cmp_lt_i64_e32 vcc, s[4:5], v[15:16]
	v_add_co_u32_e64 v11, s[0:1], 8, v11
	v_addc_co_u32_e64 v12, s[0:1], 0, v12, s[0:1]
	s_cbranch_vccz .LBB416_10
.LBB416_8:                              ; =>This Inner Loop Header: Depth=1
	v_mov_b32_e32 v16, s5
	v_add_co_u32_e32 v15, vcc, s4, v14
	v_addc_co_u32_e32 v16, vcc, 0, v16, vcc
	v_cmp_gt_i64_e32 vcc, s[2:3], v[15:16]
	s_and_saveexec_b64 s[0:1], vcc
	s_cbranch_execz .LBB416_7
; %bb.9:                                ;   in Loop: Header=BB416_8 Depth=1
	global_load_dwordx2 v[15:16], v[11:12], off
	s_waitcnt vmcnt(0)
	v_subrev_co_u32_e32 v15, vcc, s14, v15
	v_subbrev_co_u32_e32 v17, vcc, 0, v16, vcc
	v_mad_u64_u32 v[15:16], s[10:11], v15, s8, v[7:8]
	v_mad_u64_u32 v[16:17], s[10:11], v17, s8, v[16:17]
	global_load_dword v17, v[9:10], off
	s_nop 0
	global_load_dwordx2 v[15:16], v[15:16], off
	v_add_co_u32_e32 v9, vcc, 0x484, v9
	v_addc_co_u32_e32 v10, vcc, 0, v10, vcc
	s_waitcnt vmcnt(0)
	v_fmac_f32_e32 v5, v17, v15
	v_fmac_f32_e32 v6, 0, v15
	;; [unrolled: 1-line block ×4, first 2 shown]
	s_branch .LBB416_7
.LBB416_10:
	v_lshlrev_b32_e32 v7, 3, v0
	s_and_b64 vcc, exec, s[16:17]
	ds_write_b64 v7, v[5:6]
	s_waitcnt lgkmcnt(0)
	s_barrier
	s_cbranch_vccz .LBB416_22
; %bb.11:
	v_cmp_eq_u16_e32 vcc, 0, v13
	s_and_saveexec_b64 s[0:1], vcc
	s_cbranch_execz .LBB416_13
; %bb.12:
	ds_read2_b64 v[8:11], v7 offset1:16
	s_waitcnt lgkmcnt(0)
	v_add_f32_e32 v8, v10, v8
	v_add_f32_e32 v9, v11, v9
	ds_write_b64 v7, v[8:9]
.LBB416_13:
	s_or_b64 exec, exec, s[0:1]
	v_cmp_gt_u16_e32 vcc, 8, v13
	s_waitcnt lgkmcnt(0)
	s_barrier
	s_and_saveexec_b64 s[0:1], vcc
	s_cbranch_execz .LBB416_15
; %bb.14:
	ds_read2_b64 v[8:11], v7 offset1:8
	s_waitcnt lgkmcnt(0)
	v_add_f32_e32 v8, v10, v8
	v_add_f32_e32 v9, v11, v9
	ds_write_b64 v7, v[8:9]
.LBB416_15:
	s_or_b64 exec, exec, s[0:1]
	v_cmp_gt_u16_e32 vcc, 4, v13
	s_waitcnt lgkmcnt(0)
	s_barrier
	;; [unrolled: 13-line block ×3, first 2 shown]
	s_and_saveexec_b64 s[0:1], vcc
	s_cbranch_execz .LBB416_19
; %bb.18:
	ds_read2_b64 v[8:11], v7 offset1:2
	s_waitcnt lgkmcnt(0)
	v_add_f32_e32 v8, v10, v8
	v_add_f32_e32 v9, v11, v9
	ds_write_b64 v7, v[8:9]
.LBB416_19:
	s_or_b64 exec, exec, s[0:1]
	v_cmp_gt_u32_e32 vcc, 17, v0
	v_mov_b32_e32 v9, v6
	v_mov_b32_e32 v8, v5
	s_waitcnt lgkmcnt(0)
	s_barrier
	s_and_saveexec_b64 s[0:1], vcc
	s_cbranch_execz .LBB416_21
; %bb.20:
	v_lshl_add_u32 v8, v0, 7, v7
	ds_read2_b64 v[8:11], v8 offset1:1
	s_waitcnt lgkmcnt(0)
	v_add_f32_e32 v8, v10, v8
	v_add_f32_e32 v9, v11, v9
.LBB416_21:
	s_or_b64 exec, exec, s[0:1]
	v_cmp_gt_u32_e64 s[0:1], 17, v0
	s_branch .LBB416_34
.LBB416_22:
                                        ; implicit-def: $vgpr9
                                        ; implicit-def: $vgpr8
	v_cmp_gt_u32_e64 s[0:1], 17, v0
	s_cbranch_execz .LBB416_34
; %bb.23:
	s_and_saveexec_b64 s[2:3], s[0:1]
	s_cbranch_execz .LBB416_25
; %bb.24:
	ds_read_b64 v[8:9], v7 offset:2176
	ds_read_b64 v[10:11], v7
	s_waitcnt lgkmcnt(0)
	v_add_f32_e32 v8, v8, v10
	v_add_f32_e32 v9, v9, v11
	ds_write_b64 v7, v[8:9]
.LBB416_25:
	s_or_b64 exec, exec, s[2:3]
	s_movk_i32 s2, 0x88
	v_cmp_gt_u32_e32 vcc, s2, v0
	s_waitcnt lgkmcnt(0)
	s_barrier
	s_and_saveexec_b64 s[2:3], vcc
	s_cbranch_execz .LBB416_27
; %bb.26:
	ds_read2_b64 v[8:11], v7 offset1:136
	s_waitcnt lgkmcnt(0)
	v_add_f32_e32 v8, v10, v8
	v_add_f32_e32 v9, v11, v9
	ds_write_b64 v7, v[8:9]
.LBB416_27:
	s_or_b64 exec, exec, s[2:3]
	s_movk_i32 s2, 0x44
	v_cmp_gt_u32_e32 vcc, s2, v0
	s_waitcnt lgkmcnt(0)
	s_barrier
	s_and_saveexec_b64 s[2:3], vcc
	s_cbranch_execz .LBB416_29
; %bb.28:
	ds_read2_b64 v[8:11], v7 offset1:68
	s_waitcnt lgkmcnt(0)
	v_add_f32_e32 v8, v10, v8
	v_add_f32_e32 v9, v11, v9
	ds_write_b64 v7, v[8:9]
.LBB416_29:
	s_or_b64 exec, exec, s[2:3]
	v_cmp_gt_u32_e32 vcc, 34, v0
	s_waitcnt lgkmcnt(0)
	s_barrier
	s_and_saveexec_b64 s[2:3], vcc
	s_cbranch_execz .LBB416_31
; %bb.30:
	ds_read2_b64 v[8:11], v7 offset1:34
	s_waitcnt lgkmcnt(0)
	v_add_f32_e32 v8, v10, v8
	v_add_f32_e32 v9, v11, v9
	ds_write_b64 v7, v[8:9]
.LBB416_31:
	s_or_b64 exec, exec, s[2:3]
	s_waitcnt lgkmcnt(0)
	s_and_saveexec_b64 s[2:3], s[0:1]
	s_cbranch_execz .LBB416_33
; %bb.32:
	ds_read2_b64 v[8:11], v7 offset1:17
	s_waitcnt lgkmcnt(0)
	v_add_f32_e32 v5, v10, v8
	v_add_f32_e32 v6, v11, v9
.LBB416_33:
	s_or_b64 exec, exec, s[2:3]
	v_mov_b32_e32 v9, v6
	v_mov_b32_e32 v8, v5
.LBB416_34:
	v_cmp_gt_u32_e32 vcc, 17, v0
	s_and_b64 exec, exec, vcc
	s_cbranch_execz .LBB416_39
; %bb.35:
	v_cmp_eq_f32_e32 vcc, 0, v1
	v_cmp_eq_f32_e64 s[0:1], 0, v2
	v_mul_f32_e64 v5, v9, -v4
	v_mul_f32_e32 v6, v3, v9
	s_and_b64 s[0:1], vcc, s[0:1]
	v_fmac_f32_e32 v5, v3, v8
	v_fmac_f32_e32 v6, v4, v8
	s_mul_i32 s2, s7, 0x88
	s_mul_hi_u32 s3, s6, 0x88
	s_mul_i32 s4, s6, 0x88
	s_and_saveexec_b64 s[6:7], s[0:1]
	s_xor_b64 s[0:1], exec, s[6:7]
	s_cbranch_execz .LBB416_37
; %bb.36:
	s_add_i32 s5, s3, s2
	s_add_u32 s6, s12, s4
	s_addc_u32 s7, s13, s5
	global_store_dwordx2 v7, v[5:6], s[6:7]
                                        ; implicit-def: $vgpr7
                                        ; implicit-def: $vgpr1_vgpr2
                                        ; implicit-def: $vgpr5
.LBB416_37:
	s_andn2_saveexec_b64 s[0:1], s[0:1]
	s_cbranch_execz .LBB416_39
; %bb.38:
	s_add_i32 s3, s3, s2
	s_add_u32 s0, s12, s4
	s_addc_u32 s1, s13, s3
	global_load_dwordx2 v[3:4], v7, s[0:1]
	s_waitcnt vmcnt(0)
	v_fmac_f32_e32 v5, v1, v3
	v_fmac_f32_e32 v6, v2, v3
	v_fma_f32 v5, -v2, v4, v5
	v_fmac_f32_e32 v6, v1, v4
	global_store_dwordx2 v7, v[5:6], s[0:1]
.LBB416_39:
	s_endpgm
	.section	.rodata,"a",@progbits
	.p2align	6, 0x0
	.amdhsa_kernel _ZN9rocsparseL20bsrxmvn_17_32_kernelILj17E21rocsparse_complex_numIfEllfS2_S2_EEvT2_20rocsparse_direction_NS_24const_host_device_scalarIT0_EES3_PKS3_PKT1_SC_S9_PKT3_PKT4_S7_PT5_21rocsparse_index_base_b
		.amdhsa_group_segment_fixed_size 2312
		.amdhsa_private_segment_fixed_size 0
		.amdhsa_kernarg_size 104
		.amdhsa_user_sgpr_count 6
		.amdhsa_user_sgpr_private_segment_buffer 1
		.amdhsa_user_sgpr_dispatch_ptr 0
		.amdhsa_user_sgpr_queue_ptr 0
		.amdhsa_user_sgpr_kernarg_segment_ptr 1
		.amdhsa_user_sgpr_dispatch_id 0
		.amdhsa_user_sgpr_flat_scratch_init 0
		.amdhsa_user_sgpr_private_segment_size 0
		.amdhsa_uses_dynamic_stack 0
		.amdhsa_system_sgpr_private_segment_wavefront_offset 0
		.amdhsa_system_sgpr_workgroup_id_x 1
		.amdhsa_system_sgpr_workgroup_id_y 0
		.amdhsa_system_sgpr_workgroup_id_z 0
		.amdhsa_system_sgpr_workgroup_info 0
		.amdhsa_system_vgpr_workitem_id 0
		.amdhsa_next_free_vgpr 18
		.amdhsa_next_free_sgpr 22
		.amdhsa_reserve_vcc 1
		.amdhsa_reserve_flat_scratch 0
		.amdhsa_float_round_mode_32 0
		.amdhsa_float_round_mode_16_64 0
		.amdhsa_float_denorm_mode_32 3
		.amdhsa_float_denorm_mode_16_64 3
		.amdhsa_dx10_clamp 1
		.amdhsa_ieee_mode 1
		.amdhsa_fp16_overflow 0
		.amdhsa_exception_fp_ieee_invalid_op 0
		.amdhsa_exception_fp_denorm_src 0
		.amdhsa_exception_fp_ieee_div_zero 0
		.amdhsa_exception_fp_ieee_overflow 0
		.amdhsa_exception_fp_ieee_underflow 0
		.amdhsa_exception_fp_ieee_inexact 0
		.amdhsa_exception_int_div_zero 0
	.end_amdhsa_kernel
	.section	.text._ZN9rocsparseL20bsrxmvn_17_32_kernelILj17E21rocsparse_complex_numIfEllfS2_S2_EEvT2_20rocsparse_direction_NS_24const_host_device_scalarIT0_EES3_PKS3_PKT1_SC_S9_PKT3_PKT4_S7_PT5_21rocsparse_index_base_b,"axG",@progbits,_ZN9rocsparseL20bsrxmvn_17_32_kernelILj17E21rocsparse_complex_numIfEllfS2_S2_EEvT2_20rocsparse_direction_NS_24const_host_device_scalarIT0_EES3_PKS3_PKT1_SC_S9_PKT3_PKT4_S7_PT5_21rocsparse_index_base_b,comdat
.Lfunc_end416:
	.size	_ZN9rocsparseL20bsrxmvn_17_32_kernelILj17E21rocsparse_complex_numIfEllfS2_S2_EEvT2_20rocsparse_direction_NS_24const_host_device_scalarIT0_EES3_PKS3_PKT1_SC_S9_PKT3_PKT4_S7_PT5_21rocsparse_index_base_b, .Lfunc_end416-_ZN9rocsparseL20bsrxmvn_17_32_kernelILj17E21rocsparse_complex_numIfEllfS2_S2_EEvT2_20rocsparse_direction_NS_24const_host_device_scalarIT0_EES3_PKS3_PKT1_SC_S9_PKT3_PKT4_S7_PT5_21rocsparse_index_base_b
                                        ; -- End function
	.set _ZN9rocsparseL20bsrxmvn_17_32_kernelILj17E21rocsparse_complex_numIfEllfS2_S2_EEvT2_20rocsparse_direction_NS_24const_host_device_scalarIT0_EES3_PKS3_PKT1_SC_S9_PKT3_PKT4_S7_PT5_21rocsparse_index_base_b.num_vgpr, 18
	.set _ZN9rocsparseL20bsrxmvn_17_32_kernelILj17E21rocsparse_complex_numIfEllfS2_S2_EEvT2_20rocsparse_direction_NS_24const_host_device_scalarIT0_EES3_PKS3_PKT1_SC_S9_PKT3_PKT4_S7_PT5_21rocsparse_index_base_b.num_agpr, 0
	.set _ZN9rocsparseL20bsrxmvn_17_32_kernelILj17E21rocsparse_complex_numIfEllfS2_S2_EEvT2_20rocsparse_direction_NS_24const_host_device_scalarIT0_EES3_PKS3_PKT1_SC_S9_PKT3_PKT4_S7_PT5_21rocsparse_index_base_b.numbered_sgpr, 22
	.set _ZN9rocsparseL20bsrxmvn_17_32_kernelILj17E21rocsparse_complex_numIfEllfS2_S2_EEvT2_20rocsparse_direction_NS_24const_host_device_scalarIT0_EES3_PKS3_PKT1_SC_S9_PKT3_PKT4_S7_PT5_21rocsparse_index_base_b.num_named_barrier, 0
	.set _ZN9rocsparseL20bsrxmvn_17_32_kernelILj17E21rocsparse_complex_numIfEllfS2_S2_EEvT2_20rocsparse_direction_NS_24const_host_device_scalarIT0_EES3_PKS3_PKT1_SC_S9_PKT3_PKT4_S7_PT5_21rocsparse_index_base_b.private_seg_size, 0
	.set _ZN9rocsparseL20bsrxmvn_17_32_kernelILj17E21rocsparse_complex_numIfEllfS2_S2_EEvT2_20rocsparse_direction_NS_24const_host_device_scalarIT0_EES3_PKS3_PKT1_SC_S9_PKT3_PKT4_S7_PT5_21rocsparse_index_base_b.uses_vcc, 1
	.set _ZN9rocsparseL20bsrxmvn_17_32_kernelILj17E21rocsparse_complex_numIfEllfS2_S2_EEvT2_20rocsparse_direction_NS_24const_host_device_scalarIT0_EES3_PKS3_PKT1_SC_S9_PKT3_PKT4_S7_PT5_21rocsparse_index_base_b.uses_flat_scratch, 0
	.set _ZN9rocsparseL20bsrxmvn_17_32_kernelILj17E21rocsparse_complex_numIfEllfS2_S2_EEvT2_20rocsparse_direction_NS_24const_host_device_scalarIT0_EES3_PKS3_PKT1_SC_S9_PKT3_PKT4_S7_PT5_21rocsparse_index_base_b.has_dyn_sized_stack, 0
	.set _ZN9rocsparseL20bsrxmvn_17_32_kernelILj17E21rocsparse_complex_numIfEllfS2_S2_EEvT2_20rocsparse_direction_NS_24const_host_device_scalarIT0_EES3_PKS3_PKT1_SC_S9_PKT3_PKT4_S7_PT5_21rocsparse_index_base_b.has_recursion, 0
	.set _ZN9rocsparseL20bsrxmvn_17_32_kernelILj17E21rocsparse_complex_numIfEllfS2_S2_EEvT2_20rocsparse_direction_NS_24const_host_device_scalarIT0_EES3_PKS3_PKT1_SC_S9_PKT3_PKT4_S7_PT5_21rocsparse_index_base_b.has_indirect_call, 0
	.section	.AMDGPU.csdata,"",@progbits
; Kernel info:
; codeLenInByte = 1488
; TotalNumSgprs: 26
; NumVgprs: 18
; ScratchSize: 0
; MemoryBound: 0
; FloatMode: 240
; IeeeMode: 1
; LDSByteSize: 2312 bytes/workgroup (compile time only)
; SGPRBlocks: 3
; VGPRBlocks: 4
; NumSGPRsForWavesPerEU: 26
; NumVGPRsForWavesPerEU: 18
; Occupancy: 10
; WaveLimiterHint : 1
; COMPUTE_PGM_RSRC2:SCRATCH_EN: 0
; COMPUTE_PGM_RSRC2:USER_SGPR: 6
; COMPUTE_PGM_RSRC2:TRAP_HANDLER: 0
; COMPUTE_PGM_RSRC2:TGID_X_EN: 1
; COMPUTE_PGM_RSRC2:TGID_Y_EN: 0
; COMPUTE_PGM_RSRC2:TGID_Z_EN: 0
; COMPUTE_PGM_RSRC2:TIDIG_COMP_CNT: 0
	.section	.text._ZN9rocsparseL20bsrxmvn_17_32_kernelILj18E21rocsparse_complex_numIfEllfS2_S2_EEvT2_20rocsparse_direction_NS_24const_host_device_scalarIT0_EES3_PKS3_PKT1_SC_S9_PKT3_PKT4_S7_PT5_21rocsparse_index_base_b,"axG",@progbits,_ZN9rocsparseL20bsrxmvn_17_32_kernelILj18E21rocsparse_complex_numIfEllfS2_S2_EEvT2_20rocsparse_direction_NS_24const_host_device_scalarIT0_EES3_PKS3_PKT1_SC_S9_PKT3_PKT4_S7_PT5_21rocsparse_index_base_b,comdat
	.globl	_ZN9rocsparseL20bsrxmvn_17_32_kernelILj18E21rocsparse_complex_numIfEllfS2_S2_EEvT2_20rocsparse_direction_NS_24const_host_device_scalarIT0_EES3_PKS3_PKT1_SC_S9_PKT3_PKT4_S7_PT5_21rocsparse_index_base_b ; -- Begin function _ZN9rocsparseL20bsrxmvn_17_32_kernelILj18E21rocsparse_complex_numIfEllfS2_S2_EEvT2_20rocsparse_direction_NS_24const_host_device_scalarIT0_EES3_PKS3_PKT1_SC_S9_PKT3_PKT4_S7_PT5_21rocsparse_index_base_b
	.p2align	8
	.type	_ZN9rocsparseL20bsrxmvn_17_32_kernelILj18E21rocsparse_complex_numIfEllfS2_S2_EEvT2_20rocsparse_direction_NS_24const_host_device_scalarIT0_EES3_PKS3_PKT1_SC_S9_PKT3_PKT4_S7_PT5_21rocsparse_index_base_b,@function
_ZN9rocsparseL20bsrxmvn_17_32_kernelILj18E21rocsparse_complex_numIfEllfS2_S2_EEvT2_20rocsparse_direction_NS_24const_host_device_scalarIT0_EES3_PKS3_PKT1_SC_S9_PKT3_PKT4_S7_PT5_21rocsparse_index_base_b: ; @_ZN9rocsparseL20bsrxmvn_17_32_kernelILj18E21rocsparse_complex_numIfEllfS2_S2_EEvT2_20rocsparse_direction_NS_24const_host_device_scalarIT0_EES3_PKS3_PKT1_SC_S9_PKT3_PKT4_S7_PT5_21rocsparse_index_base_b
; %bb.0:
	s_load_dwordx2 s[0:1], s[4:5], 0x10
	s_load_dwordx2 s[14:15], s[4:5], 0x60
	s_add_u32 s7, s4, 16
	s_addc_u32 s8, s5, 0
	s_add_u32 s9, s4, 0x50
	s_load_dwordx2 s[2:3], s[4:5], 0x50
	s_addc_u32 s10, s5, 0
	s_waitcnt lgkmcnt(0)
	s_bitcmp1_b32 s15, 0
	s_cselect_b32 s1, s8, s1
	s_cselect_b32 s0, s7, s0
	v_mov_b32_e32 v1, s0
	v_mov_b32_e32 v2, s1
	flat_load_dwordx2 v[3:4], v[1:2]
	s_cselect_b32 s0, s10, s3
	s_cselect_b32 s1, s9, s2
	v_mov_b32_e32 v1, s1
	v_mov_b32_e32 v2, s0
	flat_load_dwordx2 v[1:2], v[1:2]
	s_waitcnt vmcnt(0) lgkmcnt(0)
	v_cmp_eq_f32_e32 vcc, 0, v3
	v_cmp_eq_f32_e64 s[0:1], 0, v4
	s_and_b64 s[8:9], vcc, s[0:1]
	s_mov_b64 s[0:1], -1
	s_and_saveexec_b64 s[2:3], s[8:9]
; %bb.1:
	v_cmp_neq_f32_e32 vcc, 1.0, v1
	v_cmp_neq_f32_e64 s[0:1], 0, v2
	s_or_b64 s[0:1], vcc, s[0:1]
	s_orn2_b64 s[0:1], s[0:1], exec
; %bb.2:
	s_or_b64 exec, exec, s[2:3]
	s_and_saveexec_b64 s[2:3], s[0:1]
	s_cbranch_execz .LBB417_39
; %bb.3:
	s_load_dwordx4 s[0:3], s[4:5], 0x20
	s_load_dwordx2 s[8:9], s[4:5], 0x30
	s_mov_b32 s7, 0
	s_waitcnt lgkmcnt(0)
	s_cmp_eq_u64 s[0:1], 0
	s_cbranch_scc1 .LBB417_5
; %bb.4:
	s_lshl_b64 s[6:7], s[6:7], 3
	s_add_u32 s0, s0, s6
	s_addc_u32 s1, s1, s7
	s_load_dwordx2 s[0:1], s[0:1], 0x0
	s_waitcnt lgkmcnt(0)
	s_sub_u32 s6, s0, s14
	s_subb_u32 s7, s1, 0
.LBB417_5:
	s_load_dword s10, s[4:5], 0x8
	s_load_dwordx2 s[12:13], s[4:5], 0x58
	v_mul_u32_u24_e32 v7, 0xe39, v0
	v_mov_b32_e32 v8, 18
	v_mul_lo_u16_sdwa v5, v7, v8 dst_sel:DWORD dst_unused:UNUSED_PAD src0_sel:WORD_1 src1_sel:DWORD
	s_waitcnt lgkmcnt(0)
	s_cmp_eq_u32 s10, 1
	s_cselect_b64 s[0:1], -1, 0
	s_cmp_lg_u32 s10, 1
	s_cselect_b64 s[16:17], -1, 0
	s_lshl_b64 s[10:11], s[6:7], 3
	s_add_u32 s20, s2, s10
	s_addc_u32 s21, s3, s11
	s_add_u32 s2, s20, 8
	s_addc_u32 s3, s21, 0
	;; [unrolled: 2-line block ×3, first 2 shown]
	s_cmp_eq_u64 s[8:9], 0
	s_cselect_b32 s9, s3, s11
	s_cselect_b32 s8, s2, s10
	s_load_dwordx2 s[2:3], s[8:9], 0x0
	s_load_dwordx2 s[18:19], s[20:21], 0x0
	v_sub_u16_e32 v13, v0, v5
	s_waitcnt lgkmcnt(0)
	v_mov_b32_e32 v6, s3
	v_mov_b32_e32 v5, s2
	v_cmp_ge_i64_e32 vcc, s[18:19], v[5:6]
	v_mov_b32_e32 v6, 0
	v_mov_b32_e32 v5, 0
	s_cbranch_vccnz .LBB417_10
; %bb.6:
	v_mov_b32_e32 v5, 15
	v_mul_lo_u16_sdwa v5, v7, v5 dst_sel:DWORD dst_unused:UNUSED_PAD src0_sel:WORD_1 src1_sel:DWORD
	s_load_dwordx4 s[8:11], s[4:5], 0x38
	s_load_dwordx2 s[20:21], s[4:5], 0x48
	v_mul_lo_u16_sdwa v5, v5, v8 dst_sel:DWORD dst_unused:UNUSED_PAD src0_sel:BYTE_1 src1_sel:DWORD
	s_sub_u32 s2, s2, s14
	v_sub_u16_sdwa v5, v7, v5 dst_sel:DWORD dst_unused:UNUSED_PAD src0_sel:WORD_1 src1_sel:DWORD
	s_subb_u32 s3, s3, 0
	v_and_b32_e32 v5, 0xff, v5
	s_sub_u32 s4, s18, s14
	v_cndmask_b32_e64 v5, v13, v5, s[0:1]
	s_subb_u32 s5, s19, 0
	v_lshlrev_b32_e32 v5, 3, v5
	s_mul_i32 s0, s5, 0x510
	s_mul_hi_u32 s1, s4, 0x510
	s_waitcnt lgkmcnt(0)
	v_mov_b32_e32 v8, s21
	v_add_co_u32_e32 v7, vcc, s20, v5
	s_add_i32 s1, s1, s0
	s_mul_i32 s0, s4, 0x510
	v_addc_co_u32_e32 v8, vcc, 0, v8, vcc
	s_add_u32 s0, s10, s0
	v_lshlrev_b32_e32 v5, 2, v0
	s_addc_u32 s1, s11, s1
	v_add_co_u32_e32 v9, vcc, s0, v5
	s_movk_i32 s0, 0x195
	v_mov_b32_e32 v10, s1
	v_mul_u32_u24_sdwa v5, v0, s0 dst_sel:DWORD dst_unused:UNUSED_PAD src0_sel:WORD_0 src1_sel:DWORD
	v_addc_co_u32_e32 v10, vcc, 0, v10, vcc
	v_lshrrev_b32_e32 v14, 17, v5
	v_mov_b32_e32 v5, s19
	v_add_co_u32_e32 v11, vcc, s18, v14
	v_addc_co_u32_e32 v5, vcc, 0, v5, vcc
	v_subrev_co_u32_e32 v11, vcc, s14, v11
	v_subbrev_co_u32_e32 v12, vcc, 0, v5, vcc
	v_lshlrev_b64 v[11:12], 3, v[11:12]
	v_mov_b32_e32 v6, 0
	v_mov_b32_e32 v5, s9
	v_add_co_u32_e32 v11, vcc, s8, v11
	v_addc_co_u32_e32 v12, vcc, v5, v12, vcc
	s_movk_i32 s8, 0x90
	v_mov_b32_e32 v5, v6
	s_branch .LBB417_8
.LBB417_7:                              ;   in Loop: Header=BB417_8 Depth=1
	s_or_b64 exec, exec, s[0:1]
	s_add_u32 s4, s4, 1
	v_mov_b32_e32 v16, s3
	s_addc_u32 s5, s5, 0
	v_mov_b32_e32 v15, s2
	v_cmp_lt_i64_e32 vcc, s[4:5], v[15:16]
	v_add_co_u32_e64 v11, s[0:1], 8, v11
	v_addc_co_u32_e64 v12, s[0:1], 0, v12, s[0:1]
	s_cbranch_vccz .LBB417_10
.LBB417_8:                              ; =>This Inner Loop Header: Depth=1
	v_mov_b32_e32 v16, s5
	v_add_co_u32_e32 v15, vcc, s4, v14
	v_addc_co_u32_e32 v16, vcc, 0, v16, vcc
	v_cmp_gt_i64_e32 vcc, s[2:3], v[15:16]
	s_and_saveexec_b64 s[0:1], vcc
	s_cbranch_execz .LBB417_7
; %bb.9:                                ;   in Loop: Header=BB417_8 Depth=1
	global_load_dwordx2 v[15:16], v[11:12], off
	s_waitcnt vmcnt(0)
	v_subrev_co_u32_e32 v15, vcc, s14, v15
	v_subbrev_co_u32_e32 v17, vcc, 0, v16, vcc
	v_mad_u64_u32 v[15:16], s[10:11], v15, s8, v[7:8]
	v_mad_u64_u32 v[16:17], s[10:11], v17, s8, v[16:17]
	global_load_dword v17, v[9:10], off
	s_nop 0
	global_load_dwordx2 v[15:16], v[15:16], off
	v_add_co_u32_e32 v9, vcc, 0x510, v9
	v_addc_co_u32_e32 v10, vcc, 0, v10, vcc
	s_waitcnt vmcnt(0)
	v_fmac_f32_e32 v5, v17, v15
	v_fmac_f32_e32 v6, 0, v15
	v_fmac_f32_e32 v5, 0x80000000, v16
	v_fmac_f32_e32 v6, v17, v16
	s_branch .LBB417_7
.LBB417_10:
	v_lshlrev_b32_e32 v7, 3, v0
	s_and_b64 vcc, exec, s[16:17]
	ds_write_b64 v7, v[5:6]
	s_waitcnt lgkmcnt(0)
	s_barrier
	s_cbranch_vccz .LBB417_22
; %bb.11:
	v_cmp_gt_u16_e32 vcc, 2, v13
	s_and_saveexec_b64 s[0:1], vcc
	s_cbranch_execz .LBB417_13
; %bb.12:
	ds_read2_b64 v[8:11], v7 offset1:16
	s_waitcnt lgkmcnt(0)
	v_add_f32_e32 v8, v10, v8
	v_add_f32_e32 v9, v11, v9
	ds_write_b64 v7, v[8:9]
.LBB417_13:
	s_or_b64 exec, exec, s[0:1]
	v_cmp_gt_u16_e64 s[0:1], 8, v13
	s_waitcnt lgkmcnt(0)
	s_barrier
	s_and_saveexec_b64 s[2:3], s[0:1]
	s_cbranch_execz .LBB417_15
; %bb.14:
	ds_read2_b64 v[8:11], v7 offset1:8
	s_waitcnt lgkmcnt(0)
	v_add_f32_e32 v8, v10, v8
	v_add_f32_e32 v9, v11, v9
	ds_write_b64 v7, v[8:9]
.LBB417_15:
	s_or_b64 exec, exec, s[2:3]
	v_cmp_gt_u16_e64 s[0:1], 4, v13
	s_waitcnt lgkmcnt(0)
	s_barrier
	s_and_saveexec_b64 s[2:3], s[0:1]
	s_cbranch_execz .LBB417_17
; %bb.16:
	ds_read2_b64 v[8:11], v7 offset1:4
	s_waitcnt lgkmcnt(0)
	v_add_f32_e32 v8, v10, v8
	v_add_f32_e32 v9, v11, v9
	ds_write_b64 v7, v[8:9]
.LBB417_17:
	s_or_b64 exec, exec, s[2:3]
	s_waitcnt lgkmcnt(0)
	s_barrier
	s_and_saveexec_b64 s[0:1], vcc
	s_cbranch_execz .LBB417_19
; %bb.18:
	ds_read2_b64 v[8:11], v7 offset1:2
	s_waitcnt lgkmcnt(0)
	v_add_f32_e32 v8, v10, v8
	v_add_f32_e32 v9, v11, v9
	ds_write_b64 v7, v[8:9]
.LBB417_19:
	s_or_b64 exec, exec, s[0:1]
	v_cmp_gt_u32_e32 vcc, 18, v0
	v_mov_b32_e32 v9, v6
	v_mov_b32_e32 v8, v5
	s_waitcnt lgkmcnt(0)
	s_barrier
	s_and_saveexec_b64 s[0:1], vcc
	s_cbranch_execz .LBB417_21
; %bb.20:
	s_movk_i32 s2, 0x88
	v_mad_u32_u24 v8, v0, s2, v7
	ds_read2_b64 v[8:11], v8 offset1:1
	s_waitcnt lgkmcnt(0)
	v_add_f32_e32 v8, v10, v8
	v_add_f32_e32 v9, v11, v9
.LBB417_21:
	s_or_b64 exec, exec, s[0:1]
	s_branch .LBB417_34
.LBB417_22:
                                        ; implicit-def: $vgpr9
                                        ; implicit-def: $vgpr8
	s_cbranch_execz .LBB417_34
; %bb.23:
	v_cmp_gt_u32_e32 vcc, 36, v0
	s_and_saveexec_b64 s[0:1], vcc
	s_cbranch_execz .LBB417_25
; %bb.24:
	ds_read_b64 v[8:9], v7 offset:2304
	ds_read_b64 v[10:11], v7
	s_waitcnt lgkmcnt(0)
	v_add_f32_e32 v8, v8, v10
	v_add_f32_e32 v9, v9, v11
	ds_write_b64 v7, v[8:9]
.LBB417_25:
	s_or_b64 exec, exec, s[0:1]
	s_movk_i32 s0, 0x90
	v_cmp_gt_u32_e64 s[0:1], s0, v0
	s_waitcnt lgkmcnt(0)
	s_barrier
	s_and_saveexec_b64 s[2:3], s[0:1]
	s_cbranch_execz .LBB417_27
; %bb.26:
	ds_read2_b64 v[8:11], v7 offset1:144
	s_waitcnt lgkmcnt(0)
	v_add_f32_e32 v8, v10, v8
	v_add_f32_e32 v9, v11, v9
	ds_write_b64 v7, v[8:9]
.LBB417_27:
	s_or_b64 exec, exec, s[2:3]
	s_movk_i32 s0, 0x48
	v_cmp_gt_u32_e64 s[0:1], s0, v0
	s_waitcnt lgkmcnt(0)
	s_barrier
	s_and_saveexec_b64 s[2:3], s[0:1]
	s_cbranch_execz .LBB417_29
; %bb.28:
	ds_read2_b64 v[8:11], v7 offset1:72
	s_waitcnt lgkmcnt(0)
	v_add_f32_e32 v8, v10, v8
	v_add_f32_e32 v9, v11, v9
	ds_write_b64 v7, v[8:9]
.LBB417_29:
	s_or_b64 exec, exec, s[2:3]
	s_waitcnt lgkmcnt(0)
	s_barrier
	s_and_saveexec_b64 s[0:1], vcc
	s_cbranch_execz .LBB417_31
; %bb.30:
	ds_read2_b64 v[8:11], v7 offset1:36
	s_waitcnt lgkmcnt(0)
	v_add_f32_e32 v8, v10, v8
	v_add_f32_e32 v9, v11, v9
	ds_write_b64 v7, v[8:9]
.LBB417_31:
	s_or_b64 exec, exec, s[0:1]
	v_cmp_gt_u32_e32 vcc, 18, v0
	s_waitcnt lgkmcnt(0)
	s_and_saveexec_b64 s[0:1], vcc
	s_cbranch_execz .LBB417_33
; %bb.32:
	ds_read2_b64 v[8:11], v7 offset1:18
	s_waitcnt lgkmcnt(0)
	v_add_f32_e32 v5, v10, v8
	v_add_f32_e32 v6, v11, v9
.LBB417_33:
	s_or_b64 exec, exec, s[0:1]
	v_mov_b32_e32 v9, v6
	v_mov_b32_e32 v8, v5
.LBB417_34:
	v_cmp_gt_u32_e32 vcc, 18, v0
	s_and_b64 exec, exec, vcc
	s_cbranch_execz .LBB417_39
; %bb.35:
	v_cmp_eq_f32_e32 vcc, 0, v1
	v_cmp_eq_f32_e64 s[0:1], 0, v2
	v_mul_f32_e64 v5, v9, -v4
	v_mul_f32_e32 v6, v3, v9
	s_and_b64 s[0:1], vcc, s[0:1]
	v_fmac_f32_e32 v5, v3, v8
	v_fmac_f32_e32 v6, v4, v8
	s_mul_i32 s2, s7, 0x90
	s_mul_hi_u32 s3, s6, 0x90
	s_mul_i32 s4, s6, 0x90
	s_and_saveexec_b64 s[6:7], s[0:1]
	s_xor_b64 s[0:1], exec, s[6:7]
	s_cbranch_execz .LBB417_37
; %bb.36:
	s_add_i32 s5, s3, s2
	s_add_u32 s6, s12, s4
	s_addc_u32 s7, s13, s5
	global_store_dwordx2 v7, v[5:6], s[6:7]
                                        ; implicit-def: $vgpr7
                                        ; implicit-def: $vgpr1_vgpr2
                                        ; implicit-def: $vgpr5
.LBB417_37:
	s_andn2_saveexec_b64 s[0:1], s[0:1]
	s_cbranch_execz .LBB417_39
; %bb.38:
	s_add_i32 s3, s3, s2
	s_add_u32 s0, s12, s4
	s_addc_u32 s1, s13, s3
	global_load_dwordx2 v[3:4], v7, s[0:1]
	s_waitcnt vmcnt(0)
	v_fmac_f32_e32 v5, v1, v3
	v_fmac_f32_e32 v6, v2, v3
	v_fma_f32 v5, -v2, v4, v5
	v_fmac_f32_e32 v6, v1, v4
	global_store_dwordx2 v7, v[5:6], s[0:1]
.LBB417_39:
	s_endpgm
	.section	.rodata,"a",@progbits
	.p2align	6, 0x0
	.amdhsa_kernel _ZN9rocsparseL20bsrxmvn_17_32_kernelILj18E21rocsparse_complex_numIfEllfS2_S2_EEvT2_20rocsparse_direction_NS_24const_host_device_scalarIT0_EES3_PKS3_PKT1_SC_S9_PKT3_PKT4_S7_PT5_21rocsparse_index_base_b
		.amdhsa_group_segment_fixed_size 2592
		.amdhsa_private_segment_fixed_size 0
		.amdhsa_kernarg_size 104
		.amdhsa_user_sgpr_count 6
		.amdhsa_user_sgpr_private_segment_buffer 1
		.amdhsa_user_sgpr_dispatch_ptr 0
		.amdhsa_user_sgpr_queue_ptr 0
		.amdhsa_user_sgpr_kernarg_segment_ptr 1
		.amdhsa_user_sgpr_dispatch_id 0
		.amdhsa_user_sgpr_flat_scratch_init 0
		.amdhsa_user_sgpr_private_segment_size 0
		.amdhsa_uses_dynamic_stack 0
		.amdhsa_system_sgpr_private_segment_wavefront_offset 0
		.amdhsa_system_sgpr_workgroup_id_x 1
		.amdhsa_system_sgpr_workgroup_id_y 0
		.amdhsa_system_sgpr_workgroup_id_z 0
		.amdhsa_system_sgpr_workgroup_info 0
		.amdhsa_system_vgpr_workitem_id 0
		.amdhsa_next_free_vgpr 25
		.amdhsa_next_free_sgpr 61
		.amdhsa_reserve_vcc 1
		.amdhsa_reserve_flat_scratch 0
		.amdhsa_float_round_mode_32 0
		.amdhsa_float_round_mode_16_64 0
		.amdhsa_float_denorm_mode_32 3
		.amdhsa_float_denorm_mode_16_64 3
		.amdhsa_dx10_clamp 1
		.amdhsa_ieee_mode 1
		.amdhsa_fp16_overflow 0
		.amdhsa_exception_fp_ieee_invalid_op 0
		.amdhsa_exception_fp_denorm_src 0
		.amdhsa_exception_fp_ieee_div_zero 0
		.amdhsa_exception_fp_ieee_overflow 0
		.amdhsa_exception_fp_ieee_underflow 0
		.amdhsa_exception_fp_ieee_inexact 0
		.amdhsa_exception_int_div_zero 0
	.end_amdhsa_kernel
	.section	.text._ZN9rocsparseL20bsrxmvn_17_32_kernelILj18E21rocsparse_complex_numIfEllfS2_S2_EEvT2_20rocsparse_direction_NS_24const_host_device_scalarIT0_EES3_PKS3_PKT1_SC_S9_PKT3_PKT4_S7_PT5_21rocsparse_index_base_b,"axG",@progbits,_ZN9rocsparseL20bsrxmvn_17_32_kernelILj18E21rocsparse_complex_numIfEllfS2_S2_EEvT2_20rocsparse_direction_NS_24const_host_device_scalarIT0_EES3_PKS3_PKT1_SC_S9_PKT3_PKT4_S7_PT5_21rocsparse_index_base_b,comdat
.Lfunc_end417:
	.size	_ZN9rocsparseL20bsrxmvn_17_32_kernelILj18E21rocsparse_complex_numIfEllfS2_S2_EEvT2_20rocsparse_direction_NS_24const_host_device_scalarIT0_EES3_PKS3_PKT1_SC_S9_PKT3_PKT4_S7_PT5_21rocsparse_index_base_b, .Lfunc_end417-_ZN9rocsparseL20bsrxmvn_17_32_kernelILj18E21rocsparse_complex_numIfEllfS2_S2_EEvT2_20rocsparse_direction_NS_24const_host_device_scalarIT0_EES3_PKS3_PKT1_SC_S9_PKT3_PKT4_S7_PT5_21rocsparse_index_base_b
                                        ; -- End function
	.set _ZN9rocsparseL20bsrxmvn_17_32_kernelILj18E21rocsparse_complex_numIfEllfS2_S2_EEvT2_20rocsparse_direction_NS_24const_host_device_scalarIT0_EES3_PKS3_PKT1_SC_S9_PKT3_PKT4_S7_PT5_21rocsparse_index_base_b.num_vgpr, 18
	.set _ZN9rocsparseL20bsrxmvn_17_32_kernelILj18E21rocsparse_complex_numIfEllfS2_S2_EEvT2_20rocsparse_direction_NS_24const_host_device_scalarIT0_EES3_PKS3_PKT1_SC_S9_PKT3_PKT4_S7_PT5_21rocsparse_index_base_b.num_agpr, 0
	.set _ZN9rocsparseL20bsrxmvn_17_32_kernelILj18E21rocsparse_complex_numIfEllfS2_S2_EEvT2_20rocsparse_direction_NS_24const_host_device_scalarIT0_EES3_PKS3_PKT1_SC_S9_PKT3_PKT4_S7_PT5_21rocsparse_index_base_b.numbered_sgpr, 22
	.set _ZN9rocsparseL20bsrxmvn_17_32_kernelILj18E21rocsparse_complex_numIfEllfS2_S2_EEvT2_20rocsparse_direction_NS_24const_host_device_scalarIT0_EES3_PKS3_PKT1_SC_S9_PKT3_PKT4_S7_PT5_21rocsparse_index_base_b.num_named_barrier, 0
	.set _ZN9rocsparseL20bsrxmvn_17_32_kernelILj18E21rocsparse_complex_numIfEllfS2_S2_EEvT2_20rocsparse_direction_NS_24const_host_device_scalarIT0_EES3_PKS3_PKT1_SC_S9_PKT3_PKT4_S7_PT5_21rocsparse_index_base_b.private_seg_size, 0
	.set _ZN9rocsparseL20bsrxmvn_17_32_kernelILj18E21rocsparse_complex_numIfEllfS2_S2_EEvT2_20rocsparse_direction_NS_24const_host_device_scalarIT0_EES3_PKS3_PKT1_SC_S9_PKT3_PKT4_S7_PT5_21rocsparse_index_base_b.uses_vcc, 1
	.set _ZN9rocsparseL20bsrxmvn_17_32_kernelILj18E21rocsparse_complex_numIfEllfS2_S2_EEvT2_20rocsparse_direction_NS_24const_host_device_scalarIT0_EES3_PKS3_PKT1_SC_S9_PKT3_PKT4_S7_PT5_21rocsparse_index_base_b.uses_flat_scratch, 0
	.set _ZN9rocsparseL20bsrxmvn_17_32_kernelILj18E21rocsparse_complex_numIfEllfS2_S2_EEvT2_20rocsparse_direction_NS_24const_host_device_scalarIT0_EES3_PKS3_PKT1_SC_S9_PKT3_PKT4_S7_PT5_21rocsparse_index_base_b.has_dyn_sized_stack, 0
	.set _ZN9rocsparseL20bsrxmvn_17_32_kernelILj18E21rocsparse_complex_numIfEllfS2_S2_EEvT2_20rocsparse_direction_NS_24const_host_device_scalarIT0_EES3_PKS3_PKT1_SC_S9_PKT3_PKT4_S7_PT5_21rocsparse_index_base_b.has_recursion, 0
	.set _ZN9rocsparseL20bsrxmvn_17_32_kernelILj18E21rocsparse_complex_numIfEllfS2_S2_EEvT2_20rocsparse_direction_NS_24const_host_device_scalarIT0_EES3_PKS3_PKT1_SC_S9_PKT3_PKT4_S7_PT5_21rocsparse_index_base_b.has_indirect_call, 0
	.section	.AMDGPU.csdata,"",@progbits
; Kernel info:
; codeLenInByte = 1492
; TotalNumSgprs: 26
; NumVgprs: 18
; ScratchSize: 0
; MemoryBound: 0
; FloatMode: 240
; IeeeMode: 1
; LDSByteSize: 2592 bytes/workgroup (compile time only)
; SGPRBlocks: 8
; VGPRBlocks: 6
; NumSGPRsForWavesPerEU: 65
; NumVGPRsForWavesPerEU: 25
; Occupancy: 9
; WaveLimiterHint : 1
; COMPUTE_PGM_RSRC2:SCRATCH_EN: 0
; COMPUTE_PGM_RSRC2:USER_SGPR: 6
; COMPUTE_PGM_RSRC2:TRAP_HANDLER: 0
; COMPUTE_PGM_RSRC2:TGID_X_EN: 1
; COMPUTE_PGM_RSRC2:TGID_Y_EN: 0
; COMPUTE_PGM_RSRC2:TGID_Z_EN: 0
; COMPUTE_PGM_RSRC2:TIDIG_COMP_CNT: 0
	.section	.text._ZN9rocsparseL20bsrxmvn_17_32_kernelILj19E21rocsparse_complex_numIfEllfS2_S2_EEvT2_20rocsparse_direction_NS_24const_host_device_scalarIT0_EES3_PKS3_PKT1_SC_S9_PKT3_PKT4_S7_PT5_21rocsparse_index_base_b,"axG",@progbits,_ZN9rocsparseL20bsrxmvn_17_32_kernelILj19E21rocsparse_complex_numIfEllfS2_S2_EEvT2_20rocsparse_direction_NS_24const_host_device_scalarIT0_EES3_PKS3_PKT1_SC_S9_PKT3_PKT4_S7_PT5_21rocsparse_index_base_b,comdat
	.globl	_ZN9rocsparseL20bsrxmvn_17_32_kernelILj19E21rocsparse_complex_numIfEllfS2_S2_EEvT2_20rocsparse_direction_NS_24const_host_device_scalarIT0_EES3_PKS3_PKT1_SC_S9_PKT3_PKT4_S7_PT5_21rocsparse_index_base_b ; -- Begin function _ZN9rocsparseL20bsrxmvn_17_32_kernelILj19E21rocsparse_complex_numIfEllfS2_S2_EEvT2_20rocsparse_direction_NS_24const_host_device_scalarIT0_EES3_PKS3_PKT1_SC_S9_PKT3_PKT4_S7_PT5_21rocsparse_index_base_b
	.p2align	8
	.type	_ZN9rocsparseL20bsrxmvn_17_32_kernelILj19E21rocsparse_complex_numIfEllfS2_S2_EEvT2_20rocsparse_direction_NS_24const_host_device_scalarIT0_EES3_PKS3_PKT1_SC_S9_PKT3_PKT4_S7_PT5_21rocsparse_index_base_b,@function
_ZN9rocsparseL20bsrxmvn_17_32_kernelILj19E21rocsparse_complex_numIfEllfS2_S2_EEvT2_20rocsparse_direction_NS_24const_host_device_scalarIT0_EES3_PKS3_PKT1_SC_S9_PKT3_PKT4_S7_PT5_21rocsparse_index_base_b: ; @_ZN9rocsparseL20bsrxmvn_17_32_kernelILj19E21rocsparse_complex_numIfEllfS2_S2_EEvT2_20rocsparse_direction_NS_24const_host_device_scalarIT0_EES3_PKS3_PKT1_SC_S9_PKT3_PKT4_S7_PT5_21rocsparse_index_base_b
; %bb.0:
	s_load_dwordx2 s[0:1], s[4:5], 0x10
	s_load_dwordx2 s[14:15], s[4:5], 0x60
	s_add_u32 s7, s4, 16
	s_addc_u32 s8, s5, 0
	s_add_u32 s9, s4, 0x50
	s_load_dwordx2 s[2:3], s[4:5], 0x50
	s_addc_u32 s10, s5, 0
	s_waitcnt lgkmcnt(0)
	s_bitcmp1_b32 s15, 0
	s_cselect_b32 s1, s8, s1
	s_cselect_b32 s0, s7, s0
	v_mov_b32_e32 v1, s0
	v_mov_b32_e32 v2, s1
	flat_load_dwordx2 v[3:4], v[1:2]
	s_cselect_b32 s0, s10, s3
	s_cselect_b32 s1, s9, s2
	v_mov_b32_e32 v1, s1
	v_mov_b32_e32 v2, s0
	flat_load_dwordx2 v[1:2], v[1:2]
	s_waitcnt vmcnt(0) lgkmcnt(0)
	v_cmp_eq_f32_e32 vcc, 0, v3
	v_cmp_eq_f32_e64 s[0:1], 0, v4
	s_and_b64 s[8:9], vcc, s[0:1]
	s_mov_b64 s[0:1], -1
	s_and_saveexec_b64 s[2:3], s[8:9]
; %bb.1:
	v_cmp_neq_f32_e32 vcc, 1.0, v1
	v_cmp_neq_f32_e64 s[0:1], 0, v2
	s_or_b64 s[0:1], vcc, s[0:1]
	s_orn2_b64 s[0:1], s[0:1], exec
; %bb.2:
	s_or_b64 exec, exec, s[2:3]
	s_and_saveexec_b64 s[2:3], s[0:1]
	s_cbranch_execz .LBB418_39
; %bb.3:
	s_load_dwordx4 s[0:3], s[4:5], 0x20
	s_load_dwordx2 s[8:9], s[4:5], 0x30
	s_mov_b32 s7, 0
	s_waitcnt lgkmcnt(0)
	s_cmp_eq_u64 s[0:1], 0
	s_cbranch_scc1 .LBB418_5
; %bb.4:
	s_lshl_b64 s[6:7], s[6:7], 3
	s_add_u32 s0, s0, s6
	s_addc_u32 s1, s1, s7
	s_load_dwordx2 s[0:1], s[0:1], 0x0
	s_waitcnt lgkmcnt(0)
	s_sub_u32 s6, s0, s14
	s_subb_u32 s7, s1, 0
.LBB418_5:
	s_load_dword s10, s[4:5], 0x8
	s_load_dwordx2 s[12:13], s[4:5], 0x58
	v_mul_u32_u24_e32 v7, 0xd7a, v0
	v_mov_b32_e32 v8, 19
	v_mul_lo_u16_sdwa v5, v7, v8 dst_sel:DWORD dst_unused:UNUSED_PAD src0_sel:WORD_1 src1_sel:DWORD
	s_waitcnt lgkmcnt(0)
	s_cmp_eq_u32 s10, 1
	s_cselect_b64 s[0:1], -1, 0
	s_cmp_lg_u32 s10, 1
	s_cselect_b64 s[16:17], -1, 0
	s_lshl_b64 s[10:11], s[6:7], 3
	s_add_u32 s20, s2, s10
	s_addc_u32 s21, s3, s11
	s_add_u32 s2, s20, 8
	s_addc_u32 s3, s21, 0
	;; [unrolled: 2-line block ×3, first 2 shown]
	s_cmp_eq_u64 s[8:9], 0
	s_cselect_b32 s9, s3, s11
	s_cselect_b32 s8, s2, s10
	s_load_dwordx2 s[2:3], s[8:9], 0x0
	s_load_dwordx2 s[18:19], s[20:21], 0x0
	v_sub_u16_e32 v15, v0, v5
	s_waitcnt lgkmcnt(0)
	v_mov_b32_e32 v6, s3
	v_mov_b32_e32 v5, s2
	v_cmp_ge_i64_e32 vcc, s[18:19], v[5:6]
	v_mov_b32_e32 v6, 0
	v_mov_b32_e32 v5, 0
	s_cbranch_vccnz .LBB418_10
; %bb.6:
	v_mov_b32_e32 v5, 14
	v_mul_lo_u16_sdwa v5, v7, v5 dst_sel:DWORD dst_unused:UNUSED_PAD src0_sel:WORD_1 src1_sel:DWORD
	s_load_dwordx4 s[8:11], s[4:5], 0x38
	s_load_dwordx2 s[20:21], s[4:5], 0x48
	v_mul_lo_u16_sdwa v5, v5, v8 dst_sel:DWORD dst_unused:UNUSED_PAD src0_sel:BYTE_1 src1_sel:DWORD
	s_sub_u32 s2, s2, s14
	v_sub_u16_sdwa v5, v7, v5 dst_sel:DWORD dst_unused:UNUSED_PAD src0_sel:WORD_1 src1_sel:DWORD
	s_subb_u32 s3, s3, 0
	v_and_b32_e32 v5, 0xff, v5
	s_sub_u32 s4, s18, s14
	v_cndmask_b32_e64 v5, v15, v5, s[0:1]
	s_subb_u32 s5, s19, 0
	v_lshlrev_b32_e32 v5, 3, v5
	s_mul_i32 s0, s5, 0x5a4
	s_mul_hi_u32 s1, s4, 0x5a4
	s_waitcnt lgkmcnt(0)
	v_mov_b32_e32 v8, s21
	v_add_co_u32_e32 v7, vcc, s20, v5
	s_add_i32 s1, s1, s0
	s_mul_i32 s0, s4, 0x5a4
	v_addc_co_u32_e32 v8, vcc, 0, v8, vcc
	s_add_u32 s0, s10, s0
	v_lshlrev_b32_e32 v5, 2, v0
	s_addc_u32 s1, s11, s1
	v_add_co_u32_e32 v9, vcc, s0, v5
	s_movk_i32 s0, 0xb6
	v_mov_b32_e32 v10, s1
	v_mul_u32_u24_sdwa v5, v0, s0 dst_sel:DWORD dst_unused:UNUSED_PAD src0_sel:WORD_0 src1_sel:DWORD
	v_addc_co_u32_e32 v10, vcc, 0, v10, vcc
	v_lshrrev_b32_e32 v16, 16, v5
	v_mov_b32_e32 v5, s19
	v_add_co_u32_e32 v11, vcc, s18, v16
	v_addc_co_u32_e32 v5, vcc, 0, v5, vcc
	v_subrev_co_u32_e32 v11, vcc, s14, v11
	v_subbrev_co_u32_e32 v12, vcc, 0, v5, vcc
	v_lshlrev_b64 v[11:12], 3, v[11:12]
	v_mov_b32_e32 v6, 0
	v_mov_b32_e32 v5, s9
	v_add_co_u32_e32 v11, vcc, s8, v11
	v_mov_b32_e32 v14, s3
	v_addc_co_u32_e32 v12, vcc, v5, v12, vcc
	s_movk_i32 s8, 0x98
	v_mov_b32_e32 v13, s2
	v_mov_b32_e32 v5, v6
	s_branch .LBB418_8
.LBB418_7:                              ;   in Loop: Header=BB418_8 Depth=1
	s_or_b64 exec, exec, s[0:1]
	s_add_u32 s4, s4, 1
	s_addc_u32 s5, s5, 0
	v_cmp_lt_i64_e32 vcc, s[4:5], v[13:14]
	v_add_co_u32_e64 v11, s[0:1], 8, v11
	v_addc_co_u32_e64 v12, s[0:1], 0, v12, s[0:1]
	s_cbranch_vccz .LBB418_10
.LBB418_8:                              ; =>This Inner Loop Header: Depth=1
	v_mov_b32_e32 v18, s5
	v_add_co_u32_e32 v17, vcc, s4, v16
	v_addc_co_u32_e32 v18, vcc, 0, v18, vcc
	v_cmp_gt_i64_e32 vcc, s[2:3], v[17:18]
	s_and_saveexec_b64 s[0:1], vcc
	s_cbranch_execz .LBB418_7
; %bb.9:                                ;   in Loop: Header=BB418_8 Depth=1
	global_load_dwordx2 v[17:18], v[11:12], off
	s_waitcnt vmcnt(0)
	v_subrev_co_u32_e32 v17, vcc, s14, v17
	v_subbrev_co_u32_e32 v19, vcc, 0, v18, vcc
	v_mad_u64_u32 v[17:18], s[10:11], v17, s8, v[7:8]
	v_mad_u64_u32 v[18:19], s[10:11], v19, s8, v[18:19]
	global_load_dword v19, v[9:10], off
	s_nop 0
	global_load_dwordx2 v[17:18], v[17:18], off
	v_add_co_u32_e32 v9, vcc, 0x5a4, v9
	v_addc_co_u32_e32 v10, vcc, 0, v10, vcc
	s_waitcnt vmcnt(0)
	v_fmac_f32_e32 v5, v19, v17
	v_fmac_f32_e32 v6, 0, v17
	;; [unrolled: 1-line block ×4, first 2 shown]
	s_branch .LBB418_7
.LBB418_10:
	v_lshlrev_b32_e32 v7, 3, v0
	s_and_b64 vcc, exec, s[16:17]
	ds_write_b64 v7, v[5:6]
	s_waitcnt lgkmcnt(0)
	s_barrier
	s_cbranch_vccz .LBB418_22
; %bb.11:
	v_cmp_gt_u16_e32 vcc, 3, v15
	s_and_saveexec_b64 s[0:1], vcc
	s_cbranch_execz .LBB418_13
; %bb.12:
	ds_read2_b64 v[8:11], v7 offset1:16
	s_waitcnt lgkmcnt(0)
	v_add_f32_e32 v8, v10, v8
	v_add_f32_e32 v9, v11, v9
	ds_write_b64 v7, v[8:9]
.LBB418_13:
	s_or_b64 exec, exec, s[0:1]
	v_cmp_gt_u16_e32 vcc, 8, v15
	s_waitcnt lgkmcnt(0)
	s_barrier
	s_and_saveexec_b64 s[0:1], vcc
	s_cbranch_execz .LBB418_15
; %bb.14:
	ds_read2_b64 v[8:11], v7 offset1:8
	s_waitcnt lgkmcnt(0)
	v_add_f32_e32 v8, v10, v8
	v_add_f32_e32 v9, v11, v9
	ds_write_b64 v7, v[8:9]
.LBB418_15:
	s_or_b64 exec, exec, s[0:1]
	v_cmp_gt_u16_e32 vcc, 4, v15
	s_waitcnt lgkmcnt(0)
	s_barrier
	s_and_saveexec_b64 s[0:1], vcc
	s_cbranch_execz .LBB418_17
; %bb.16:
	ds_read2_b64 v[8:11], v7 offset1:4
	s_waitcnt lgkmcnt(0)
	v_add_f32_e32 v8, v10, v8
	v_add_f32_e32 v9, v11, v9
	ds_write_b64 v7, v[8:9]
.LBB418_17:
	s_or_b64 exec, exec, s[0:1]
	v_cmp_gt_u16_e32 vcc, 2, v15
	s_waitcnt lgkmcnt(0)
	s_barrier
	s_and_saveexec_b64 s[0:1], vcc
	s_cbranch_execz .LBB418_19
; %bb.18:
	ds_read2_b64 v[8:11], v7 offset1:2
	s_waitcnt lgkmcnt(0)
	v_add_f32_e32 v8, v10, v8
	v_add_f32_e32 v9, v11, v9
	ds_write_b64 v7, v[8:9]
.LBB418_19:
	s_or_b64 exec, exec, s[0:1]
	v_cmp_gt_u32_e32 vcc, 19, v0
	v_mov_b32_e32 v9, v6
	v_mov_b32_e32 v8, v5
	s_waitcnt lgkmcnt(0)
	s_barrier
	s_and_saveexec_b64 s[0:1], vcc
	s_cbranch_execz .LBB418_21
; %bb.20:
	s_movk_i32 s2, 0x90
	v_mad_u32_u24 v8, v0, s2, v7
	ds_read2_b64 v[8:11], v8 offset1:1
	s_waitcnt lgkmcnt(0)
	v_add_f32_e32 v8, v10, v8
	v_add_f32_e32 v9, v11, v9
.LBB418_21:
	s_or_b64 exec, exec, s[0:1]
	s_branch .LBB418_34
.LBB418_22:
                                        ; implicit-def: $vgpr9
                                        ; implicit-def: $vgpr8
	s_cbranch_execz .LBB418_34
; %bb.23:
	v_cmp_gt_u32_e32 vcc, 57, v0
	s_and_saveexec_b64 s[0:1], vcc
	s_cbranch_execz .LBB418_25
; %bb.24:
	ds_read_b64 v[8:9], v7 offset:2432
	ds_read_b64 v[10:11], v7
	s_waitcnt lgkmcnt(0)
	v_add_f32_e32 v8, v8, v10
	v_add_f32_e32 v9, v9, v11
	ds_write_b64 v7, v[8:9]
.LBB418_25:
	s_or_b64 exec, exec, s[0:1]
	s_movk_i32 s0, 0x98
	v_cmp_gt_u32_e32 vcc, s0, v0
	s_waitcnt lgkmcnt(0)
	s_barrier
	s_and_saveexec_b64 s[0:1], vcc
	s_cbranch_execz .LBB418_27
; %bb.26:
	ds_read2_b64 v[8:11], v7 offset1:152
	s_waitcnt lgkmcnt(0)
	v_add_f32_e32 v8, v10, v8
	v_add_f32_e32 v9, v11, v9
	ds_write_b64 v7, v[8:9]
.LBB418_27:
	s_or_b64 exec, exec, s[0:1]
	s_movk_i32 s0, 0x4c
	v_cmp_gt_u32_e32 vcc, s0, v0
	s_waitcnt lgkmcnt(0)
	s_barrier
	s_and_saveexec_b64 s[0:1], vcc
	s_cbranch_execz .LBB418_29
; %bb.28:
	ds_read2_b64 v[8:11], v7 offset1:76
	s_waitcnt lgkmcnt(0)
	v_add_f32_e32 v8, v10, v8
	v_add_f32_e32 v9, v11, v9
	ds_write_b64 v7, v[8:9]
.LBB418_29:
	s_or_b64 exec, exec, s[0:1]
	v_cmp_gt_u32_e32 vcc, 38, v0
	s_waitcnt lgkmcnt(0)
	s_barrier
	s_and_saveexec_b64 s[0:1], vcc
	s_cbranch_execz .LBB418_31
; %bb.30:
	ds_read2_b64 v[8:11], v7 offset1:38
	s_waitcnt lgkmcnt(0)
	v_add_f32_e32 v8, v10, v8
	v_add_f32_e32 v9, v11, v9
	ds_write_b64 v7, v[8:9]
.LBB418_31:
	s_or_b64 exec, exec, s[0:1]
	v_cmp_gt_u32_e32 vcc, 19, v0
	s_waitcnt lgkmcnt(0)
	s_and_saveexec_b64 s[0:1], vcc
	s_cbranch_execz .LBB418_33
; %bb.32:
	ds_read2_b64 v[8:11], v7 offset1:19
	s_waitcnt lgkmcnt(0)
	v_add_f32_e32 v5, v10, v8
	v_add_f32_e32 v6, v11, v9
.LBB418_33:
	s_or_b64 exec, exec, s[0:1]
	v_mov_b32_e32 v9, v6
	v_mov_b32_e32 v8, v5
.LBB418_34:
	v_cmp_gt_u32_e32 vcc, 19, v0
	s_and_b64 exec, exec, vcc
	s_cbranch_execz .LBB418_39
; %bb.35:
	v_cmp_eq_f32_e32 vcc, 0, v1
	v_cmp_eq_f32_e64 s[0:1], 0, v2
	v_mul_f32_e64 v5, v9, -v4
	v_mul_f32_e32 v6, v3, v9
	s_and_b64 s[0:1], vcc, s[0:1]
	v_fmac_f32_e32 v5, v3, v8
	v_fmac_f32_e32 v6, v4, v8
	s_mul_i32 s2, s7, 0x98
	s_mul_hi_u32 s3, s6, 0x98
	s_mul_i32 s4, s6, 0x98
	s_and_saveexec_b64 s[6:7], s[0:1]
	s_xor_b64 s[0:1], exec, s[6:7]
	s_cbranch_execz .LBB418_37
; %bb.36:
	s_add_i32 s5, s3, s2
	s_add_u32 s6, s12, s4
	s_addc_u32 s7, s13, s5
	global_store_dwordx2 v7, v[5:6], s[6:7]
                                        ; implicit-def: $vgpr7
                                        ; implicit-def: $vgpr1_vgpr2
                                        ; implicit-def: $vgpr5
.LBB418_37:
	s_andn2_saveexec_b64 s[0:1], s[0:1]
	s_cbranch_execz .LBB418_39
; %bb.38:
	s_add_i32 s3, s3, s2
	s_add_u32 s0, s12, s4
	s_addc_u32 s1, s13, s3
	global_load_dwordx2 v[3:4], v7, s[0:1]
	s_waitcnt vmcnt(0)
	v_fmac_f32_e32 v5, v1, v3
	v_fmac_f32_e32 v6, v2, v3
	v_fma_f32 v5, -v2, v4, v5
	v_fmac_f32_e32 v6, v1, v4
	global_store_dwordx2 v7, v[5:6], s[0:1]
.LBB418_39:
	s_endpgm
	.section	.rodata,"a",@progbits
	.p2align	6, 0x0
	.amdhsa_kernel _ZN9rocsparseL20bsrxmvn_17_32_kernelILj19E21rocsparse_complex_numIfEllfS2_S2_EEvT2_20rocsparse_direction_NS_24const_host_device_scalarIT0_EES3_PKS3_PKT1_SC_S9_PKT3_PKT4_S7_PT5_21rocsparse_index_base_b
		.amdhsa_group_segment_fixed_size 2888
		.amdhsa_private_segment_fixed_size 0
		.amdhsa_kernarg_size 104
		.amdhsa_user_sgpr_count 6
		.amdhsa_user_sgpr_private_segment_buffer 1
		.amdhsa_user_sgpr_dispatch_ptr 0
		.amdhsa_user_sgpr_queue_ptr 0
		.amdhsa_user_sgpr_kernarg_segment_ptr 1
		.amdhsa_user_sgpr_dispatch_id 0
		.amdhsa_user_sgpr_flat_scratch_init 0
		.amdhsa_user_sgpr_private_segment_size 0
		.amdhsa_uses_dynamic_stack 0
		.amdhsa_system_sgpr_private_segment_wavefront_offset 0
		.amdhsa_system_sgpr_workgroup_id_x 1
		.amdhsa_system_sgpr_workgroup_id_y 0
		.amdhsa_system_sgpr_workgroup_id_z 0
		.amdhsa_system_sgpr_workgroup_info 0
		.amdhsa_system_vgpr_workitem_id 0
		.amdhsa_next_free_vgpr 25
		.amdhsa_next_free_sgpr 61
		.amdhsa_reserve_vcc 1
		.amdhsa_reserve_flat_scratch 0
		.amdhsa_float_round_mode_32 0
		.amdhsa_float_round_mode_16_64 0
		.amdhsa_float_denorm_mode_32 3
		.amdhsa_float_denorm_mode_16_64 3
		.amdhsa_dx10_clamp 1
		.amdhsa_ieee_mode 1
		.amdhsa_fp16_overflow 0
		.amdhsa_exception_fp_ieee_invalid_op 0
		.amdhsa_exception_fp_denorm_src 0
		.amdhsa_exception_fp_ieee_div_zero 0
		.amdhsa_exception_fp_ieee_overflow 0
		.amdhsa_exception_fp_ieee_underflow 0
		.amdhsa_exception_fp_ieee_inexact 0
		.amdhsa_exception_int_div_zero 0
	.end_amdhsa_kernel
	.section	.text._ZN9rocsparseL20bsrxmvn_17_32_kernelILj19E21rocsparse_complex_numIfEllfS2_S2_EEvT2_20rocsparse_direction_NS_24const_host_device_scalarIT0_EES3_PKS3_PKT1_SC_S9_PKT3_PKT4_S7_PT5_21rocsparse_index_base_b,"axG",@progbits,_ZN9rocsparseL20bsrxmvn_17_32_kernelILj19E21rocsparse_complex_numIfEllfS2_S2_EEvT2_20rocsparse_direction_NS_24const_host_device_scalarIT0_EES3_PKS3_PKT1_SC_S9_PKT3_PKT4_S7_PT5_21rocsparse_index_base_b,comdat
.Lfunc_end418:
	.size	_ZN9rocsparseL20bsrxmvn_17_32_kernelILj19E21rocsparse_complex_numIfEllfS2_S2_EEvT2_20rocsparse_direction_NS_24const_host_device_scalarIT0_EES3_PKS3_PKT1_SC_S9_PKT3_PKT4_S7_PT5_21rocsparse_index_base_b, .Lfunc_end418-_ZN9rocsparseL20bsrxmvn_17_32_kernelILj19E21rocsparse_complex_numIfEllfS2_S2_EEvT2_20rocsparse_direction_NS_24const_host_device_scalarIT0_EES3_PKS3_PKT1_SC_S9_PKT3_PKT4_S7_PT5_21rocsparse_index_base_b
                                        ; -- End function
	.set _ZN9rocsparseL20bsrxmvn_17_32_kernelILj19E21rocsparse_complex_numIfEllfS2_S2_EEvT2_20rocsparse_direction_NS_24const_host_device_scalarIT0_EES3_PKS3_PKT1_SC_S9_PKT3_PKT4_S7_PT5_21rocsparse_index_base_b.num_vgpr, 20
	.set _ZN9rocsparseL20bsrxmvn_17_32_kernelILj19E21rocsparse_complex_numIfEllfS2_S2_EEvT2_20rocsparse_direction_NS_24const_host_device_scalarIT0_EES3_PKS3_PKT1_SC_S9_PKT3_PKT4_S7_PT5_21rocsparse_index_base_b.num_agpr, 0
	.set _ZN9rocsparseL20bsrxmvn_17_32_kernelILj19E21rocsparse_complex_numIfEllfS2_S2_EEvT2_20rocsparse_direction_NS_24const_host_device_scalarIT0_EES3_PKS3_PKT1_SC_S9_PKT3_PKT4_S7_PT5_21rocsparse_index_base_b.numbered_sgpr, 22
	.set _ZN9rocsparseL20bsrxmvn_17_32_kernelILj19E21rocsparse_complex_numIfEllfS2_S2_EEvT2_20rocsparse_direction_NS_24const_host_device_scalarIT0_EES3_PKS3_PKT1_SC_S9_PKT3_PKT4_S7_PT5_21rocsparse_index_base_b.num_named_barrier, 0
	.set _ZN9rocsparseL20bsrxmvn_17_32_kernelILj19E21rocsparse_complex_numIfEllfS2_S2_EEvT2_20rocsparse_direction_NS_24const_host_device_scalarIT0_EES3_PKS3_PKT1_SC_S9_PKT3_PKT4_S7_PT5_21rocsparse_index_base_b.private_seg_size, 0
	.set _ZN9rocsparseL20bsrxmvn_17_32_kernelILj19E21rocsparse_complex_numIfEllfS2_S2_EEvT2_20rocsparse_direction_NS_24const_host_device_scalarIT0_EES3_PKS3_PKT1_SC_S9_PKT3_PKT4_S7_PT5_21rocsparse_index_base_b.uses_vcc, 1
	.set _ZN9rocsparseL20bsrxmvn_17_32_kernelILj19E21rocsparse_complex_numIfEllfS2_S2_EEvT2_20rocsparse_direction_NS_24const_host_device_scalarIT0_EES3_PKS3_PKT1_SC_S9_PKT3_PKT4_S7_PT5_21rocsparse_index_base_b.uses_flat_scratch, 0
	.set _ZN9rocsparseL20bsrxmvn_17_32_kernelILj19E21rocsparse_complex_numIfEllfS2_S2_EEvT2_20rocsparse_direction_NS_24const_host_device_scalarIT0_EES3_PKS3_PKT1_SC_S9_PKT3_PKT4_S7_PT5_21rocsparse_index_base_b.has_dyn_sized_stack, 0
	.set _ZN9rocsparseL20bsrxmvn_17_32_kernelILj19E21rocsparse_complex_numIfEllfS2_S2_EEvT2_20rocsparse_direction_NS_24const_host_device_scalarIT0_EES3_PKS3_PKT1_SC_S9_PKT3_PKT4_S7_PT5_21rocsparse_index_base_b.has_recursion, 0
	.set _ZN9rocsparseL20bsrxmvn_17_32_kernelILj19E21rocsparse_complex_numIfEllfS2_S2_EEvT2_20rocsparse_direction_NS_24const_host_device_scalarIT0_EES3_PKS3_PKT1_SC_S9_PKT3_PKT4_S7_PT5_21rocsparse_index_base_b.has_indirect_call, 0
	.section	.AMDGPU.csdata,"",@progbits
; Kernel info:
; codeLenInByte = 1484
; TotalNumSgprs: 26
; NumVgprs: 20
; ScratchSize: 0
; MemoryBound: 0
; FloatMode: 240
; IeeeMode: 1
; LDSByteSize: 2888 bytes/workgroup (compile time only)
; SGPRBlocks: 8
; VGPRBlocks: 6
; NumSGPRsForWavesPerEU: 65
; NumVGPRsForWavesPerEU: 25
; Occupancy: 9
; WaveLimiterHint : 1
; COMPUTE_PGM_RSRC2:SCRATCH_EN: 0
; COMPUTE_PGM_RSRC2:USER_SGPR: 6
; COMPUTE_PGM_RSRC2:TRAP_HANDLER: 0
; COMPUTE_PGM_RSRC2:TGID_X_EN: 1
; COMPUTE_PGM_RSRC2:TGID_Y_EN: 0
; COMPUTE_PGM_RSRC2:TGID_Z_EN: 0
; COMPUTE_PGM_RSRC2:TIDIG_COMP_CNT: 0
	.section	.text._ZN9rocsparseL20bsrxmvn_17_32_kernelILj20E21rocsparse_complex_numIfEllfS2_S2_EEvT2_20rocsparse_direction_NS_24const_host_device_scalarIT0_EES3_PKS3_PKT1_SC_S9_PKT3_PKT4_S7_PT5_21rocsparse_index_base_b,"axG",@progbits,_ZN9rocsparseL20bsrxmvn_17_32_kernelILj20E21rocsparse_complex_numIfEllfS2_S2_EEvT2_20rocsparse_direction_NS_24const_host_device_scalarIT0_EES3_PKS3_PKT1_SC_S9_PKT3_PKT4_S7_PT5_21rocsparse_index_base_b,comdat
	.globl	_ZN9rocsparseL20bsrxmvn_17_32_kernelILj20E21rocsparse_complex_numIfEllfS2_S2_EEvT2_20rocsparse_direction_NS_24const_host_device_scalarIT0_EES3_PKS3_PKT1_SC_S9_PKT3_PKT4_S7_PT5_21rocsparse_index_base_b ; -- Begin function _ZN9rocsparseL20bsrxmvn_17_32_kernelILj20E21rocsparse_complex_numIfEllfS2_S2_EEvT2_20rocsparse_direction_NS_24const_host_device_scalarIT0_EES3_PKS3_PKT1_SC_S9_PKT3_PKT4_S7_PT5_21rocsparse_index_base_b
	.p2align	8
	.type	_ZN9rocsparseL20bsrxmvn_17_32_kernelILj20E21rocsparse_complex_numIfEllfS2_S2_EEvT2_20rocsparse_direction_NS_24const_host_device_scalarIT0_EES3_PKS3_PKT1_SC_S9_PKT3_PKT4_S7_PT5_21rocsparse_index_base_b,@function
_ZN9rocsparseL20bsrxmvn_17_32_kernelILj20E21rocsparse_complex_numIfEllfS2_S2_EEvT2_20rocsparse_direction_NS_24const_host_device_scalarIT0_EES3_PKS3_PKT1_SC_S9_PKT3_PKT4_S7_PT5_21rocsparse_index_base_b: ; @_ZN9rocsparseL20bsrxmvn_17_32_kernelILj20E21rocsparse_complex_numIfEllfS2_S2_EEvT2_20rocsparse_direction_NS_24const_host_device_scalarIT0_EES3_PKS3_PKT1_SC_S9_PKT3_PKT4_S7_PT5_21rocsparse_index_base_b
; %bb.0:
	s_load_dwordx2 s[0:1], s[4:5], 0x10
	s_load_dwordx2 s[14:15], s[4:5], 0x60
	s_add_u32 s7, s4, 16
	s_addc_u32 s8, s5, 0
	s_add_u32 s9, s4, 0x50
	s_load_dwordx2 s[2:3], s[4:5], 0x50
	s_addc_u32 s10, s5, 0
	s_waitcnt lgkmcnt(0)
	s_bitcmp1_b32 s15, 0
	s_cselect_b32 s1, s8, s1
	s_cselect_b32 s0, s7, s0
	v_mov_b32_e32 v1, s0
	v_mov_b32_e32 v2, s1
	flat_load_dwordx2 v[3:4], v[1:2]
	s_cselect_b32 s0, s10, s3
	s_cselect_b32 s1, s9, s2
	v_mov_b32_e32 v1, s1
	v_mov_b32_e32 v2, s0
	flat_load_dwordx2 v[1:2], v[1:2]
	s_waitcnt vmcnt(0) lgkmcnt(0)
	v_cmp_eq_f32_e32 vcc, 0, v3
	v_cmp_eq_f32_e64 s[0:1], 0, v4
	s_and_b64 s[8:9], vcc, s[0:1]
	s_mov_b64 s[0:1], -1
	s_and_saveexec_b64 s[2:3], s[8:9]
; %bb.1:
	v_cmp_neq_f32_e32 vcc, 1.0, v1
	v_cmp_neq_f32_e64 s[0:1], 0, v2
	s_or_b64 s[0:1], vcc, s[0:1]
	s_orn2_b64 s[0:1], s[0:1], exec
; %bb.2:
	s_or_b64 exec, exec, s[2:3]
	s_and_saveexec_b64 s[2:3], s[0:1]
	s_cbranch_execz .LBB419_39
; %bb.3:
	s_load_dwordx4 s[0:3], s[4:5], 0x20
	s_load_dwordx2 s[8:9], s[4:5], 0x30
	s_mov_b32 s7, 0
	s_waitcnt lgkmcnt(0)
	s_cmp_eq_u64 s[0:1], 0
	s_cbranch_scc1 .LBB419_5
; %bb.4:
	s_lshl_b64 s[6:7], s[6:7], 3
	s_add_u32 s0, s0, s6
	s_addc_u32 s1, s1, s7
	s_load_dwordx2 s[0:1], s[0:1], 0x0
	s_waitcnt lgkmcnt(0)
	s_sub_u32 s6, s0, s14
	s_subb_u32 s7, s1, 0
.LBB419_5:
	s_load_dword s10, s[4:5], 0x8
	s_load_dwordx2 s[12:13], s[4:5], 0x58
	v_mul_u32_u24_e32 v7, 0xccd, v0
	v_mov_b32_e32 v8, 20
	v_mul_lo_u16_sdwa v5, v7, v8 dst_sel:DWORD dst_unused:UNUSED_PAD src0_sel:WORD_1 src1_sel:DWORD
	s_waitcnt lgkmcnt(0)
	s_cmp_eq_u32 s10, 1
	s_cselect_b64 s[0:1], -1, 0
	s_cmp_lg_u32 s10, 1
	s_cselect_b64 s[16:17], -1, 0
	s_lshl_b64 s[10:11], s[6:7], 3
	s_add_u32 s20, s2, s10
	s_addc_u32 s21, s3, s11
	s_add_u32 s2, s20, 8
	s_addc_u32 s3, s21, 0
	s_add_u32 s10, s8, s10
	s_addc_u32 s11, s9, s11
	s_cmp_eq_u64 s[8:9], 0
	s_cselect_b32 s9, s3, s11
	s_cselect_b32 s8, s2, s10
	s_load_dwordx2 s[2:3], s[8:9], 0x0
	s_load_dwordx2 s[18:19], s[20:21], 0x0
	v_sub_u16_e32 v15, v0, v5
	s_waitcnt lgkmcnt(0)
	v_mov_b32_e32 v6, s3
	v_mov_b32_e32 v5, s2
	v_cmp_ge_i64_e32 vcc, s[18:19], v[5:6]
	v_mov_b32_e32 v6, 0
	v_mov_b32_e32 v5, 0
	s_cbranch_vccnz .LBB419_10
; %bb.6:
	v_mov_b32_e32 v5, 13
	v_mul_lo_u16_sdwa v5, v7, v5 dst_sel:DWORD dst_unused:UNUSED_PAD src0_sel:WORD_1 src1_sel:DWORD
	s_load_dwordx4 s[8:11], s[4:5], 0x38
	s_load_dwordx2 s[20:21], s[4:5], 0x48
	v_mul_lo_u16_sdwa v5, v5, v8 dst_sel:DWORD dst_unused:UNUSED_PAD src0_sel:BYTE_1 src1_sel:DWORD
	s_sub_u32 s2, s2, s14
	v_sub_u16_sdwa v5, v7, v5 dst_sel:DWORD dst_unused:UNUSED_PAD src0_sel:WORD_1 src1_sel:DWORD
	s_subb_u32 s3, s3, 0
	v_and_b32_e32 v5, 0xff, v5
	s_sub_u32 s4, s18, s14
	v_cndmask_b32_e64 v5, v15, v5, s[0:1]
	s_subb_u32 s5, s19, 0
	v_lshlrev_b32_e32 v5, 3, v5
	s_mul_i32 s0, s5, 0x640
	s_mul_hi_u32 s1, s4, 0x640
	s_waitcnt lgkmcnt(0)
	v_mov_b32_e32 v8, s21
	v_add_co_u32_e32 v7, vcc, s20, v5
	s_add_i32 s1, s1, s0
	s_mul_i32 s0, s4, 0x640
	v_addc_co_u32_e32 v8, vcc, 0, v8, vcc
	s_add_u32 s0, s10, s0
	v_lshlrev_b32_e32 v5, 2, v0
	s_addc_u32 s1, s11, s1
	v_add_co_u32_e32 v9, vcc, s0, v5
	s_movk_i32 s0, 0xa4
	v_mov_b32_e32 v10, s1
	v_mul_u32_u24_sdwa v5, v0, s0 dst_sel:DWORD dst_unused:UNUSED_PAD src0_sel:WORD_0 src1_sel:DWORD
	v_addc_co_u32_e32 v10, vcc, 0, v10, vcc
	v_lshrrev_b32_e32 v16, 16, v5
	v_mov_b32_e32 v5, s19
	v_add_co_u32_e32 v11, vcc, s18, v16
	v_addc_co_u32_e32 v5, vcc, 0, v5, vcc
	v_subrev_co_u32_e32 v11, vcc, s14, v11
	v_subbrev_co_u32_e32 v12, vcc, 0, v5, vcc
	v_lshlrev_b64 v[11:12], 3, v[11:12]
	v_mov_b32_e32 v6, 0
	v_mov_b32_e32 v5, s9
	v_add_co_u32_e32 v11, vcc, s8, v11
	v_mov_b32_e32 v14, s3
	v_addc_co_u32_e32 v12, vcc, v5, v12, vcc
	s_movk_i32 s8, 0xa0
	v_mov_b32_e32 v13, s2
	v_mov_b32_e32 v5, v6
	s_branch .LBB419_8
.LBB419_7:                              ;   in Loop: Header=BB419_8 Depth=1
	s_or_b64 exec, exec, s[0:1]
	s_add_u32 s4, s4, 1
	s_addc_u32 s5, s5, 0
	v_cmp_lt_i64_e32 vcc, s[4:5], v[13:14]
	v_add_co_u32_e64 v11, s[0:1], 8, v11
	v_addc_co_u32_e64 v12, s[0:1], 0, v12, s[0:1]
	s_cbranch_vccz .LBB419_10
.LBB419_8:                              ; =>This Inner Loop Header: Depth=1
	v_mov_b32_e32 v18, s5
	v_add_co_u32_e32 v17, vcc, s4, v16
	v_addc_co_u32_e32 v18, vcc, 0, v18, vcc
	v_cmp_gt_i64_e32 vcc, s[2:3], v[17:18]
	s_and_saveexec_b64 s[0:1], vcc
	s_cbranch_execz .LBB419_7
; %bb.9:                                ;   in Loop: Header=BB419_8 Depth=1
	global_load_dwordx2 v[17:18], v[11:12], off
	s_waitcnt vmcnt(0)
	v_subrev_co_u32_e32 v17, vcc, s14, v17
	v_subbrev_co_u32_e32 v19, vcc, 0, v18, vcc
	v_mad_u64_u32 v[17:18], s[10:11], v17, s8, v[7:8]
	v_mad_u64_u32 v[18:19], s[10:11], v19, s8, v[18:19]
	global_load_dword v19, v[9:10], off
	s_nop 0
	global_load_dwordx2 v[17:18], v[17:18], off
	v_add_co_u32_e32 v9, vcc, 0x640, v9
	v_addc_co_u32_e32 v10, vcc, 0, v10, vcc
	s_waitcnt vmcnt(0)
	v_fmac_f32_e32 v5, v19, v17
	v_fmac_f32_e32 v6, 0, v17
	;; [unrolled: 1-line block ×4, first 2 shown]
	s_branch .LBB419_7
.LBB419_10:
	v_lshlrev_b32_e32 v7, 3, v0
	s_and_b64 vcc, exec, s[16:17]
	ds_write_b64 v7, v[5:6]
	s_waitcnt lgkmcnt(0)
	s_barrier
	s_cbranch_vccz .LBB419_22
; %bb.11:
	v_cmp_gt_u16_e32 vcc, 4, v15
	s_and_saveexec_b64 s[0:1], vcc
	s_cbranch_execz .LBB419_13
; %bb.12:
	ds_read2_b64 v[8:11], v7 offset1:16
	s_waitcnt lgkmcnt(0)
	v_add_f32_e32 v8, v10, v8
	v_add_f32_e32 v9, v11, v9
	ds_write_b64 v7, v[8:9]
.LBB419_13:
	s_or_b64 exec, exec, s[0:1]
	v_cmp_gt_u16_e64 s[0:1], 8, v15
	s_waitcnt lgkmcnt(0)
	s_barrier
	s_and_saveexec_b64 s[2:3], s[0:1]
	s_cbranch_execz .LBB419_15
; %bb.14:
	ds_read2_b64 v[8:11], v7 offset1:8
	s_waitcnt lgkmcnt(0)
	v_add_f32_e32 v8, v10, v8
	v_add_f32_e32 v9, v11, v9
	ds_write_b64 v7, v[8:9]
.LBB419_15:
	s_or_b64 exec, exec, s[2:3]
	s_waitcnt lgkmcnt(0)
	s_barrier
	s_and_saveexec_b64 s[0:1], vcc
	s_cbranch_execz .LBB419_17
; %bb.16:
	ds_read2_b64 v[8:11], v7 offset1:4
	s_waitcnt lgkmcnt(0)
	v_add_f32_e32 v8, v10, v8
	v_add_f32_e32 v9, v11, v9
	ds_write_b64 v7, v[8:9]
.LBB419_17:
	s_or_b64 exec, exec, s[0:1]
	v_cmp_gt_u16_e32 vcc, 2, v15
	s_waitcnt lgkmcnt(0)
	s_barrier
	s_and_saveexec_b64 s[0:1], vcc
	s_cbranch_execz .LBB419_19
; %bb.18:
	ds_read2_b64 v[8:11], v7 offset1:2
	s_waitcnt lgkmcnt(0)
	v_add_f32_e32 v8, v10, v8
	v_add_f32_e32 v9, v11, v9
	ds_write_b64 v7, v[8:9]
.LBB419_19:
	s_or_b64 exec, exec, s[0:1]
	v_cmp_gt_u32_e32 vcc, 20, v0
	v_mov_b32_e32 v9, v6
	v_mov_b32_e32 v8, v5
	s_waitcnt lgkmcnt(0)
	s_barrier
	s_and_saveexec_b64 s[0:1], vcc
	s_cbranch_execz .LBB419_21
; %bb.20:
	s_movk_i32 s2, 0x98
	v_mad_u32_u24 v8, v0, s2, v7
	ds_read2_b64 v[8:11], v8 offset1:1
	s_waitcnt lgkmcnt(0)
	v_add_f32_e32 v8, v10, v8
	v_add_f32_e32 v9, v11, v9
.LBB419_21:
	s_or_b64 exec, exec, s[0:1]
	s_branch .LBB419_34
.LBB419_22:
                                        ; implicit-def: $vgpr9
                                        ; implicit-def: $vgpr8
	s_cbranch_execz .LBB419_34
; %bb.23:
	s_movk_i32 s0, 0x50
	v_cmp_gt_u32_e32 vcc, s0, v0
	s_and_saveexec_b64 s[0:1], vcc
	s_cbranch_execz .LBB419_25
; %bb.24:
	ds_read2st64_b64 v[8:11], v7 offset1:5
	s_waitcnt lgkmcnt(0)
	v_add_f32_e32 v8, v10, v8
	v_add_f32_e32 v9, v11, v9
	ds_write_b64 v7, v[8:9]
.LBB419_25:
	s_or_b64 exec, exec, s[0:1]
	s_movk_i32 s0, 0xa0
	v_cmp_gt_u32_e64 s[0:1], s0, v0
	s_waitcnt lgkmcnt(0)
	s_barrier
	s_and_saveexec_b64 s[2:3], s[0:1]
	s_cbranch_execz .LBB419_27
; %bb.26:
	ds_read2_b64 v[8:11], v7 offset1:160
	s_waitcnt lgkmcnt(0)
	v_add_f32_e32 v8, v10, v8
	v_add_f32_e32 v9, v11, v9
	ds_write_b64 v7, v[8:9]
.LBB419_27:
	s_or_b64 exec, exec, s[2:3]
	s_waitcnt lgkmcnt(0)
	s_barrier
	s_and_saveexec_b64 s[0:1], vcc
	s_cbranch_execz .LBB419_29
; %bb.28:
	ds_read2_b64 v[8:11], v7 offset1:80
	s_waitcnt lgkmcnt(0)
	v_add_f32_e32 v8, v10, v8
	v_add_f32_e32 v9, v11, v9
	ds_write_b64 v7, v[8:9]
.LBB419_29:
	s_or_b64 exec, exec, s[0:1]
	v_cmp_gt_u32_e32 vcc, 40, v0
	s_waitcnt lgkmcnt(0)
	s_barrier
	s_and_saveexec_b64 s[0:1], vcc
	s_cbranch_execz .LBB419_31
; %bb.30:
	ds_read2_b64 v[8:11], v7 offset1:40
	s_waitcnt lgkmcnt(0)
	v_add_f32_e32 v8, v10, v8
	v_add_f32_e32 v9, v11, v9
	ds_write_b64 v7, v[8:9]
.LBB419_31:
	s_or_b64 exec, exec, s[0:1]
	v_cmp_gt_u32_e32 vcc, 20, v0
	s_waitcnt lgkmcnt(0)
	s_and_saveexec_b64 s[0:1], vcc
	s_cbranch_execz .LBB419_33
; %bb.32:
	ds_read2_b64 v[8:11], v7 offset1:20
	s_waitcnt lgkmcnt(0)
	v_add_f32_e32 v5, v10, v8
	v_add_f32_e32 v6, v11, v9
.LBB419_33:
	s_or_b64 exec, exec, s[0:1]
	v_mov_b32_e32 v9, v6
	v_mov_b32_e32 v8, v5
.LBB419_34:
	v_cmp_gt_u32_e32 vcc, 20, v0
	s_and_b64 exec, exec, vcc
	s_cbranch_execz .LBB419_39
; %bb.35:
	v_cmp_eq_f32_e32 vcc, 0, v1
	v_cmp_eq_f32_e64 s[0:1], 0, v2
	v_mul_f32_e64 v5, v9, -v4
	v_mul_f32_e32 v6, v3, v9
	s_and_b64 s[0:1], vcc, s[0:1]
	v_fmac_f32_e32 v5, v3, v8
	v_fmac_f32_e32 v6, v4, v8
	s_mul_i32 s2, s7, 0xa0
	s_mul_hi_u32 s3, s6, 0xa0
	s_mul_i32 s4, s6, 0xa0
	s_and_saveexec_b64 s[6:7], s[0:1]
	s_xor_b64 s[0:1], exec, s[6:7]
	s_cbranch_execz .LBB419_37
; %bb.36:
	s_add_i32 s5, s3, s2
	s_add_u32 s6, s12, s4
	s_addc_u32 s7, s13, s5
	global_store_dwordx2 v7, v[5:6], s[6:7]
                                        ; implicit-def: $vgpr7
                                        ; implicit-def: $vgpr1_vgpr2
                                        ; implicit-def: $vgpr5
.LBB419_37:
	s_andn2_saveexec_b64 s[0:1], s[0:1]
	s_cbranch_execz .LBB419_39
; %bb.38:
	s_add_i32 s3, s3, s2
	s_add_u32 s0, s12, s4
	s_addc_u32 s1, s13, s3
	global_load_dwordx2 v[3:4], v7, s[0:1]
	s_waitcnt vmcnt(0)
	v_fmac_f32_e32 v5, v1, v3
	v_fmac_f32_e32 v6, v2, v3
	v_fma_f32 v5, -v2, v4, v5
	v_fmac_f32_e32 v6, v1, v4
	global_store_dwordx2 v7, v[5:6], s[0:1]
.LBB419_39:
	s_endpgm
	.section	.rodata,"a",@progbits
	.p2align	6, 0x0
	.amdhsa_kernel _ZN9rocsparseL20bsrxmvn_17_32_kernelILj20E21rocsparse_complex_numIfEllfS2_S2_EEvT2_20rocsparse_direction_NS_24const_host_device_scalarIT0_EES3_PKS3_PKT1_SC_S9_PKT3_PKT4_S7_PT5_21rocsparse_index_base_b
		.amdhsa_group_segment_fixed_size 3200
		.amdhsa_private_segment_fixed_size 0
		.amdhsa_kernarg_size 104
		.amdhsa_user_sgpr_count 6
		.amdhsa_user_sgpr_private_segment_buffer 1
		.amdhsa_user_sgpr_dispatch_ptr 0
		.amdhsa_user_sgpr_queue_ptr 0
		.amdhsa_user_sgpr_kernarg_segment_ptr 1
		.amdhsa_user_sgpr_dispatch_id 0
		.amdhsa_user_sgpr_flat_scratch_init 0
		.amdhsa_user_sgpr_private_segment_size 0
		.amdhsa_uses_dynamic_stack 0
		.amdhsa_system_sgpr_private_segment_wavefront_offset 0
		.amdhsa_system_sgpr_workgroup_id_x 1
		.amdhsa_system_sgpr_workgroup_id_y 0
		.amdhsa_system_sgpr_workgroup_id_z 0
		.amdhsa_system_sgpr_workgroup_info 0
		.amdhsa_system_vgpr_workitem_id 0
		.amdhsa_next_free_vgpr 25
		.amdhsa_next_free_sgpr 61
		.amdhsa_reserve_vcc 1
		.amdhsa_reserve_flat_scratch 0
		.amdhsa_float_round_mode_32 0
		.amdhsa_float_round_mode_16_64 0
		.amdhsa_float_denorm_mode_32 3
		.amdhsa_float_denorm_mode_16_64 3
		.amdhsa_dx10_clamp 1
		.amdhsa_ieee_mode 1
		.amdhsa_fp16_overflow 0
		.amdhsa_exception_fp_ieee_invalid_op 0
		.amdhsa_exception_fp_denorm_src 0
		.amdhsa_exception_fp_ieee_div_zero 0
		.amdhsa_exception_fp_ieee_overflow 0
		.amdhsa_exception_fp_ieee_underflow 0
		.amdhsa_exception_fp_ieee_inexact 0
		.amdhsa_exception_int_div_zero 0
	.end_amdhsa_kernel
	.section	.text._ZN9rocsparseL20bsrxmvn_17_32_kernelILj20E21rocsparse_complex_numIfEllfS2_S2_EEvT2_20rocsparse_direction_NS_24const_host_device_scalarIT0_EES3_PKS3_PKT1_SC_S9_PKT3_PKT4_S7_PT5_21rocsparse_index_base_b,"axG",@progbits,_ZN9rocsparseL20bsrxmvn_17_32_kernelILj20E21rocsparse_complex_numIfEllfS2_S2_EEvT2_20rocsparse_direction_NS_24const_host_device_scalarIT0_EES3_PKS3_PKT1_SC_S9_PKT3_PKT4_S7_PT5_21rocsparse_index_base_b,comdat
.Lfunc_end419:
	.size	_ZN9rocsparseL20bsrxmvn_17_32_kernelILj20E21rocsparse_complex_numIfEllfS2_S2_EEvT2_20rocsparse_direction_NS_24const_host_device_scalarIT0_EES3_PKS3_PKT1_SC_S9_PKT3_PKT4_S7_PT5_21rocsparse_index_base_b, .Lfunc_end419-_ZN9rocsparseL20bsrxmvn_17_32_kernelILj20E21rocsparse_complex_numIfEllfS2_S2_EEvT2_20rocsparse_direction_NS_24const_host_device_scalarIT0_EES3_PKS3_PKT1_SC_S9_PKT3_PKT4_S7_PT5_21rocsparse_index_base_b
                                        ; -- End function
	.set _ZN9rocsparseL20bsrxmvn_17_32_kernelILj20E21rocsparse_complex_numIfEllfS2_S2_EEvT2_20rocsparse_direction_NS_24const_host_device_scalarIT0_EES3_PKS3_PKT1_SC_S9_PKT3_PKT4_S7_PT5_21rocsparse_index_base_b.num_vgpr, 20
	.set _ZN9rocsparseL20bsrxmvn_17_32_kernelILj20E21rocsparse_complex_numIfEllfS2_S2_EEvT2_20rocsparse_direction_NS_24const_host_device_scalarIT0_EES3_PKS3_PKT1_SC_S9_PKT3_PKT4_S7_PT5_21rocsparse_index_base_b.num_agpr, 0
	.set _ZN9rocsparseL20bsrxmvn_17_32_kernelILj20E21rocsparse_complex_numIfEllfS2_S2_EEvT2_20rocsparse_direction_NS_24const_host_device_scalarIT0_EES3_PKS3_PKT1_SC_S9_PKT3_PKT4_S7_PT5_21rocsparse_index_base_b.numbered_sgpr, 22
	.set _ZN9rocsparseL20bsrxmvn_17_32_kernelILj20E21rocsparse_complex_numIfEllfS2_S2_EEvT2_20rocsparse_direction_NS_24const_host_device_scalarIT0_EES3_PKS3_PKT1_SC_S9_PKT3_PKT4_S7_PT5_21rocsparse_index_base_b.num_named_barrier, 0
	.set _ZN9rocsparseL20bsrxmvn_17_32_kernelILj20E21rocsparse_complex_numIfEllfS2_S2_EEvT2_20rocsparse_direction_NS_24const_host_device_scalarIT0_EES3_PKS3_PKT1_SC_S9_PKT3_PKT4_S7_PT5_21rocsparse_index_base_b.private_seg_size, 0
	.set _ZN9rocsparseL20bsrxmvn_17_32_kernelILj20E21rocsparse_complex_numIfEllfS2_S2_EEvT2_20rocsparse_direction_NS_24const_host_device_scalarIT0_EES3_PKS3_PKT1_SC_S9_PKT3_PKT4_S7_PT5_21rocsparse_index_base_b.uses_vcc, 1
	.set _ZN9rocsparseL20bsrxmvn_17_32_kernelILj20E21rocsparse_complex_numIfEllfS2_S2_EEvT2_20rocsparse_direction_NS_24const_host_device_scalarIT0_EES3_PKS3_PKT1_SC_S9_PKT3_PKT4_S7_PT5_21rocsparse_index_base_b.uses_flat_scratch, 0
	.set _ZN9rocsparseL20bsrxmvn_17_32_kernelILj20E21rocsparse_complex_numIfEllfS2_S2_EEvT2_20rocsparse_direction_NS_24const_host_device_scalarIT0_EES3_PKS3_PKT1_SC_S9_PKT3_PKT4_S7_PT5_21rocsparse_index_base_b.has_dyn_sized_stack, 0
	.set _ZN9rocsparseL20bsrxmvn_17_32_kernelILj20E21rocsparse_complex_numIfEllfS2_S2_EEvT2_20rocsparse_direction_NS_24const_host_device_scalarIT0_EES3_PKS3_PKT1_SC_S9_PKT3_PKT4_S7_PT5_21rocsparse_index_base_b.has_recursion, 0
	.set _ZN9rocsparseL20bsrxmvn_17_32_kernelILj20E21rocsparse_complex_numIfEllfS2_S2_EEvT2_20rocsparse_direction_NS_24const_host_device_scalarIT0_EES3_PKS3_PKT1_SC_S9_PKT3_PKT4_S7_PT5_21rocsparse_index_base_b.has_indirect_call, 0
	.section	.AMDGPU.csdata,"",@progbits
; Kernel info:
; codeLenInByte = 1476
; TotalNumSgprs: 26
; NumVgprs: 20
; ScratchSize: 0
; MemoryBound: 0
; FloatMode: 240
; IeeeMode: 1
; LDSByteSize: 3200 bytes/workgroup (compile time only)
; SGPRBlocks: 8
; VGPRBlocks: 6
; NumSGPRsForWavesPerEU: 65
; NumVGPRsForWavesPerEU: 25
; Occupancy: 9
; WaveLimiterHint : 1
; COMPUTE_PGM_RSRC2:SCRATCH_EN: 0
; COMPUTE_PGM_RSRC2:USER_SGPR: 6
; COMPUTE_PGM_RSRC2:TRAP_HANDLER: 0
; COMPUTE_PGM_RSRC2:TGID_X_EN: 1
; COMPUTE_PGM_RSRC2:TGID_Y_EN: 0
; COMPUTE_PGM_RSRC2:TGID_Z_EN: 0
; COMPUTE_PGM_RSRC2:TIDIG_COMP_CNT: 0
	.section	.text._ZN9rocsparseL20bsrxmvn_17_32_kernelILj21E21rocsparse_complex_numIfEllfS2_S2_EEvT2_20rocsparse_direction_NS_24const_host_device_scalarIT0_EES3_PKS3_PKT1_SC_S9_PKT3_PKT4_S7_PT5_21rocsparse_index_base_b,"axG",@progbits,_ZN9rocsparseL20bsrxmvn_17_32_kernelILj21E21rocsparse_complex_numIfEllfS2_S2_EEvT2_20rocsparse_direction_NS_24const_host_device_scalarIT0_EES3_PKS3_PKT1_SC_S9_PKT3_PKT4_S7_PT5_21rocsparse_index_base_b,comdat
	.globl	_ZN9rocsparseL20bsrxmvn_17_32_kernelILj21E21rocsparse_complex_numIfEllfS2_S2_EEvT2_20rocsparse_direction_NS_24const_host_device_scalarIT0_EES3_PKS3_PKT1_SC_S9_PKT3_PKT4_S7_PT5_21rocsparse_index_base_b ; -- Begin function _ZN9rocsparseL20bsrxmvn_17_32_kernelILj21E21rocsparse_complex_numIfEllfS2_S2_EEvT2_20rocsparse_direction_NS_24const_host_device_scalarIT0_EES3_PKS3_PKT1_SC_S9_PKT3_PKT4_S7_PT5_21rocsparse_index_base_b
	.p2align	8
	.type	_ZN9rocsparseL20bsrxmvn_17_32_kernelILj21E21rocsparse_complex_numIfEllfS2_S2_EEvT2_20rocsparse_direction_NS_24const_host_device_scalarIT0_EES3_PKS3_PKT1_SC_S9_PKT3_PKT4_S7_PT5_21rocsparse_index_base_b,@function
_ZN9rocsparseL20bsrxmvn_17_32_kernelILj21E21rocsparse_complex_numIfEllfS2_S2_EEvT2_20rocsparse_direction_NS_24const_host_device_scalarIT0_EES3_PKS3_PKT1_SC_S9_PKT3_PKT4_S7_PT5_21rocsparse_index_base_b: ; @_ZN9rocsparseL20bsrxmvn_17_32_kernelILj21E21rocsparse_complex_numIfEllfS2_S2_EEvT2_20rocsparse_direction_NS_24const_host_device_scalarIT0_EES3_PKS3_PKT1_SC_S9_PKT3_PKT4_S7_PT5_21rocsparse_index_base_b
; %bb.0:
	s_load_dwordx2 s[0:1], s[4:5], 0x10
	s_load_dwordx2 s[14:15], s[4:5], 0x60
	s_add_u32 s7, s4, 16
	s_addc_u32 s8, s5, 0
	s_add_u32 s9, s4, 0x50
	s_load_dwordx2 s[2:3], s[4:5], 0x50
	s_addc_u32 s10, s5, 0
	s_waitcnt lgkmcnt(0)
	s_bitcmp1_b32 s15, 0
	s_cselect_b32 s1, s8, s1
	s_cselect_b32 s0, s7, s0
	v_mov_b32_e32 v1, s0
	v_mov_b32_e32 v2, s1
	flat_load_dwordx2 v[3:4], v[1:2]
	s_cselect_b32 s0, s10, s3
	s_cselect_b32 s1, s9, s2
	v_mov_b32_e32 v1, s1
	v_mov_b32_e32 v2, s0
	flat_load_dwordx2 v[1:2], v[1:2]
	s_waitcnt vmcnt(0) lgkmcnt(0)
	v_cmp_eq_f32_e32 vcc, 0, v3
	v_cmp_eq_f32_e64 s[0:1], 0, v4
	s_and_b64 s[8:9], vcc, s[0:1]
	s_mov_b64 s[0:1], -1
	s_and_saveexec_b64 s[2:3], s[8:9]
; %bb.1:
	v_cmp_neq_f32_e32 vcc, 1.0, v1
	v_cmp_neq_f32_e64 s[0:1], 0, v2
	s_or_b64 s[0:1], vcc, s[0:1]
	s_orn2_b64 s[0:1], s[0:1], exec
; %bb.2:
	s_or_b64 exec, exec, s[2:3]
	s_and_saveexec_b64 s[2:3], s[0:1]
	s_cbranch_execz .LBB420_39
; %bb.3:
	s_load_dwordx4 s[0:3], s[4:5], 0x20
	s_load_dwordx2 s[8:9], s[4:5], 0x30
	s_mov_b32 s7, 0
	s_waitcnt lgkmcnt(0)
	s_cmp_eq_u64 s[0:1], 0
	s_cbranch_scc1 .LBB420_5
; %bb.4:
	s_lshl_b64 s[6:7], s[6:7], 3
	s_add_u32 s0, s0, s6
	s_addc_u32 s1, s1, s7
	s_load_dwordx2 s[0:1], s[0:1], 0x0
	s_waitcnt lgkmcnt(0)
	s_sub_u32 s6, s0, s14
	s_subb_u32 s7, s1, 0
.LBB420_5:
	s_load_dword s10, s[4:5], 0x8
	s_load_dwordx2 s[12:13], s[4:5], 0x58
	v_mul_u32_u24_e32 v7, 0xc31, v0
	v_mov_b32_e32 v5, 21
	v_mul_lo_u16_sdwa v5, v7, v5 dst_sel:DWORD dst_unused:UNUSED_PAD src0_sel:WORD_1 src1_sel:DWORD
	s_waitcnt lgkmcnt(0)
	s_cmp_eq_u32 s10, 1
	s_cselect_b64 s[0:1], -1, 0
	s_cmp_lg_u32 s10, 1
	s_cselect_b64 s[16:17], -1, 0
	s_lshl_b64 s[10:11], s[6:7], 3
	s_add_u32 s20, s2, s10
	s_addc_u32 s21, s3, s11
	s_add_u32 s2, s20, 8
	s_addc_u32 s3, s21, 0
	;; [unrolled: 2-line block ×3, first 2 shown]
	s_cmp_eq_u64 s[8:9], 0
	s_cselect_b32 s9, s3, s11
	s_cselect_b32 s8, s2, s10
	s_load_dwordx2 s[2:3], s[8:9], 0x0
	s_load_dwordx2 s[18:19], s[20:21], 0x0
	v_sub_u16_e32 v15, v0, v5
	s_waitcnt lgkmcnt(0)
	v_mov_b32_e32 v6, s3
	v_mov_b32_e32 v5, s2
	v_cmp_ge_i64_e32 vcc, s[18:19], v[5:6]
	v_mov_b32_e32 v6, 0
	v_mov_b32_e32 v5, 0
	s_cbranch_vccnz .LBB420_10
; %bb.6:
	v_mov_b32_e32 v5, 25
	v_mul_lo_u16_sdwa v5, v7, v5 dst_sel:DWORD dst_unused:UNUSED_PAD src0_sel:WORD_1 src1_sel:DWORD
	v_lshrrev_b16_e32 v5, 9, v5
	s_load_dwordx4 s[8:11], s[4:5], 0x38
	s_load_dwordx2 s[20:21], s[4:5], 0x48
	v_mul_lo_u16_e32 v5, 21, v5
	s_sub_u32 s2, s2, s14
	v_sub_u16_sdwa v5, v7, v5 dst_sel:DWORD dst_unused:UNUSED_PAD src0_sel:WORD_1 src1_sel:DWORD
	s_subb_u32 s3, s3, 0
	v_and_b32_e32 v5, 0xff, v5
	s_sub_u32 s4, s18, s14
	v_cndmask_b32_e64 v5, v15, v5, s[0:1]
	s_subb_u32 s5, s19, 0
	v_lshlrev_b32_e32 v5, 3, v5
	s_mul_i32 s0, s5, 0x6e4
	s_mul_hi_u32 s1, s4, 0x6e4
	s_waitcnt lgkmcnt(0)
	v_mov_b32_e32 v8, s21
	v_add_co_u32_e32 v7, vcc, s20, v5
	s_add_i32 s1, s1, s0
	s_mul_i32 s0, s4, 0x6e4
	v_addc_co_u32_e32 v8, vcc, 0, v8, vcc
	s_add_u32 s0, s10, s0
	v_lshlrev_b32_e32 v5, 2, v0
	s_addc_u32 s1, s11, s1
	v_add_co_u32_e32 v9, vcc, s0, v5
	s_movk_i32 s0, 0x253
	v_mov_b32_e32 v10, s1
	v_mul_u32_u24_sdwa v5, v0, s0 dst_sel:DWORD dst_unused:UNUSED_PAD src0_sel:WORD_0 src1_sel:DWORD
	v_addc_co_u32_e32 v10, vcc, 0, v10, vcc
	v_lshrrev_b32_e32 v16, 18, v5
	v_mov_b32_e32 v5, s19
	v_add_co_u32_e32 v11, vcc, s18, v16
	v_addc_co_u32_e32 v5, vcc, 0, v5, vcc
	v_subrev_co_u32_e32 v11, vcc, s14, v11
	v_subbrev_co_u32_e32 v12, vcc, 0, v5, vcc
	v_lshlrev_b64 v[11:12], 3, v[11:12]
	v_mov_b32_e32 v6, 0
	v_mov_b32_e32 v5, s9
	v_add_co_u32_e32 v11, vcc, s8, v11
	v_mov_b32_e32 v14, s3
	v_addc_co_u32_e32 v12, vcc, v5, v12, vcc
	s_movk_i32 s8, 0xa8
	v_mov_b32_e32 v13, s2
	v_mov_b32_e32 v5, v6
	s_branch .LBB420_8
.LBB420_7:                              ;   in Loop: Header=BB420_8 Depth=1
	s_or_b64 exec, exec, s[0:1]
	s_add_u32 s4, s4, 1
	s_addc_u32 s5, s5, 0
	v_cmp_lt_i64_e32 vcc, s[4:5], v[13:14]
	v_add_co_u32_e64 v11, s[0:1], 8, v11
	v_addc_co_u32_e64 v12, s[0:1], 0, v12, s[0:1]
	s_cbranch_vccz .LBB420_10
.LBB420_8:                              ; =>This Inner Loop Header: Depth=1
	v_mov_b32_e32 v18, s5
	v_add_co_u32_e32 v17, vcc, s4, v16
	v_addc_co_u32_e32 v18, vcc, 0, v18, vcc
	v_cmp_gt_i64_e32 vcc, s[2:3], v[17:18]
	s_and_saveexec_b64 s[0:1], vcc
	s_cbranch_execz .LBB420_7
; %bb.9:                                ;   in Loop: Header=BB420_8 Depth=1
	global_load_dwordx2 v[17:18], v[11:12], off
	s_waitcnt vmcnt(0)
	v_subrev_co_u32_e32 v17, vcc, s14, v17
	v_subbrev_co_u32_e32 v19, vcc, 0, v18, vcc
	v_mad_u64_u32 v[17:18], s[10:11], v17, s8, v[7:8]
	v_mad_u64_u32 v[18:19], s[10:11], v19, s8, v[18:19]
	global_load_dword v19, v[9:10], off
	s_nop 0
	global_load_dwordx2 v[17:18], v[17:18], off
	v_add_co_u32_e32 v9, vcc, 0x6e4, v9
	v_addc_co_u32_e32 v10, vcc, 0, v10, vcc
	s_waitcnt vmcnt(0)
	v_fmac_f32_e32 v5, v19, v17
	v_fmac_f32_e32 v6, 0, v17
	;; [unrolled: 1-line block ×4, first 2 shown]
	s_branch .LBB420_7
.LBB420_10:
	v_lshlrev_b32_e32 v7, 3, v0
	s_and_b64 vcc, exec, s[16:17]
	ds_write_b64 v7, v[5:6]
	s_waitcnt lgkmcnt(0)
	s_barrier
	s_cbranch_vccz .LBB420_22
; %bb.11:
	v_cmp_gt_u16_e32 vcc, 5, v15
	s_and_saveexec_b64 s[0:1], vcc
	s_cbranch_execz .LBB420_13
; %bb.12:
	ds_read2_b64 v[8:11], v7 offset1:16
	s_waitcnt lgkmcnt(0)
	v_add_f32_e32 v8, v10, v8
	v_add_f32_e32 v9, v11, v9
	ds_write_b64 v7, v[8:9]
.LBB420_13:
	s_or_b64 exec, exec, s[0:1]
	v_cmp_gt_u16_e32 vcc, 8, v15
	s_waitcnt lgkmcnt(0)
	s_barrier
	s_and_saveexec_b64 s[0:1], vcc
	s_cbranch_execz .LBB420_15
; %bb.14:
	ds_read2_b64 v[8:11], v7 offset1:8
	s_waitcnt lgkmcnt(0)
	v_add_f32_e32 v8, v10, v8
	v_add_f32_e32 v9, v11, v9
	ds_write_b64 v7, v[8:9]
.LBB420_15:
	s_or_b64 exec, exec, s[0:1]
	v_cmp_gt_u16_e32 vcc, 4, v15
	s_waitcnt lgkmcnt(0)
	s_barrier
	;; [unrolled: 13-line block ×3, first 2 shown]
	s_and_saveexec_b64 s[0:1], vcc
	s_cbranch_execz .LBB420_19
; %bb.18:
	ds_read2_b64 v[8:11], v7 offset1:2
	s_waitcnt lgkmcnt(0)
	v_add_f32_e32 v8, v10, v8
	v_add_f32_e32 v9, v11, v9
	ds_write_b64 v7, v[8:9]
.LBB420_19:
	s_or_b64 exec, exec, s[0:1]
	v_cmp_gt_u32_e32 vcc, 21, v0
	v_mov_b32_e32 v9, v6
	v_mov_b32_e32 v8, v5
	s_waitcnt lgkmcnt(0)
	s_barrier
	s_and_saveexec_b64 s[0:1], vcc
	s_cbranch_execz .LBB420_21
; %bb.20:
	s_movk_i32 s2, 0xa0
	v_mad_u32_u24 v8, v0, s2, v7
	ds_read2_b64 v[8:11], v8 offset1:1
	s_waitcnt lgkmcnt(0)
	v_add_f32_e32 v8, v10, v8
	v_add_f32_e32 v9, v11, v9
.LBB420_21:
	s_or_b64 exec, exec, s[0:1]
	s_branch .LBB420_34
.LBB420_22:
                                        ; implicit-def: $vgpr9
                                        ; implicit-def: $vgpr8
	s_cbranch_execz .LBB420_34
; %bb.23:
	s_movk_i32 s0, 0x69
	v_cmp_gt_u32_e32 vcc, s0, v0
	s_and_saveexec_b64 s[0:1], vcc
	s_cbranch_execz .LBB420_25
; %bb.24:
	ds_read_b64 v[8:9], v7 offset:2688
	ds_read_b64 v[10:11], v7
	s_waitcnt lgkmcnt(0)
	v_add_f32_e32 v8, v8, v10
	v_add_f32_e32 v9, v9, v11
	ds_write_b64 v7, v[8:9]
.LBB420_25:
	s_or_b64 exec, exec, s[0:1]
	s_movk_i32 s0, 0xa8
	v_cmp_gt_u32_e32 vcc, s0, v0
	s_waitcnt lgkmcnt(0)
	s_barrier
	s_and_saveexec_b64 s[0:1], vcc
	s_cbranch_execz .LBB420_27
; %bb.26:
	ds_read2_b64 v[8:11], v7 offset1:168
	s_waitcnt lgkmcnt(0)
	v_add_f32_e32 v8, v10, v8
	v_add_f32_e32 v9, v11, v9
	ds_write_b64 v7, v[8:9]
.LBB420_27:
	s_or_b64 exec, exec, s[0:1]
	s_movk_i32 s0, 0x54
	v_cmp_gt_u32_e32 vcc, s0, v0
	s_waitcnt lgkmcnt(0)
	s_barrier
	s_and_saveexec_b64 s[0:1], vcc
	s_cbranch_execz .LBB420_29
; %bb.28:
	ds_read2_b64 v[8:11], v7 offset1:84
	s_waitcnt lgkmcnt(0)
	v_add_f32_e32 v8, v10, v8
	v_add_f32_e32 v9, v11, v9
	ds_write_b64 v7, v[8:9]
.LBB420_29:
	s_or_b64 exec, exec, s[0:1]
	v_cmp_gt_u32_e32 vcc, 42, v0
	s_waitcnt lgkmcnt(0)
	s_barrier
	s_and_saveexec_b64 s[0:1], vcc
	s_cbranch_execz .LBB420_31
; %bb.30:
	ds_read2_b64 v[8:11], v7 offset1:42
	s_waitcnt lgkmcnt(0)
	v_add_f32_e32 v8, v10, v8
	v_add_f32_e32 v9, v11, v9
	ds_write_b64 v7, v[8:9]
.LBB420_31:
	s_or_b64 exec, exec, s[0:1]
	v_cmp_gt_u32_e32 vcc, 21, v0
	s_waitcnt lgkmcnt(0)
	s_and_saveexec_b64 s[0:1], vcc
	s_cbranch_execz .LBB420_33
; %bb.32:
	ds_read2_b64 v[8:11], v7 offset1:21
	s_waitcnt lgkmcnt(0)
	v_add_f32_e32 v5, v10, v8
	v_add_f32_e32 v6, v11, v9
.LBB420_33:
	s_or_b64 exec, exec, s[0:1]
	v_mov_b32_e32 v9, v6
	v_mov_b32_e32 v8, v5
.LBB420_34:
	v_cmp_gt_u32_e32 vcc, 21, v0
	s_and_b64 exec, exec, vcc
	s_cbranch_execz .LBB420_39
; %bb.35:
	v_cmp_eq_f32_e32 vcc, 0, v1
	v_cmp_eq_f32_e64 s[0:1], 0, v2
	v_mul_f32_e64 v5, v9, -v4
	v_mul_f32_e32 v6, v3, v9
	s_and_b64 s[0:1], vcc, s[0:1]
	v_fmac_f32_e32 v5, v3, v8
	v_fmac_f32_e32 v6, v4, v8
	s_mul_i32 s2, s7, 0xa8
	s_mul_hi_u32 s3, s6, 0xa8
	s_mul_i32 s4, s6, 0xa8
	s_and_saveexec_b64 s[6:7], s[0:1]
	s_xor_b64 s[0:1], exec, s[6:7]
	s_cbranch_execz .LBB420_37
; %bb.36:
	s_add_i32 s5, s3, s2
	s_add_u32 s6, s12, s4
	s_addc_u32 s7, s13, s5
	global_store_dwordx2 v7, v[5:6], s[6:7]
                                        ; implicit-def: $vgpr7
                                        ; implicit-def: $vgpr1_vgpr2
                                        ; implicit-def: $vgpr5
.LBB420_37:
	s_andn2_saveexec_b64 s[0:1], s[0:1]
	s_cbranch_execz .LBB420_39
; %bb.38:
	s_add_i32 s3, s3, s2
	s_add_u32 s0, s12, s4
	s_addc_u32 s1, s13, s3
	global_load_dwordx2 v[3:4], v7, s[0:1]
	s_waitcnt vmcnt(0)
	v_fmac_f32_e32 v5, v1, v3
	v_fmac_f32_e32 v6, v2, v3
	v_fma_f32 v5, -v2, v4, v5
	v_fmac_f32_e32 v6, v1, v4
	global_store_dwordx2 v7, v[5:6], s[0:1]
.LBB420_39:
	s_endpgm
	.section	.rodata,"a",@progbits
	.p2align	6, 0x0
	.amdhsa_kernel _ZN9rocsparseL20bsrxmvn_17_32_kernelILj21E21rocsparse_complex_numIfEllfS2_S2_EEvT2_20rocsparse_direction_NS_24const_host_device_scalarIT0_EES3_PKS3_PKT1_SC_S9_PKT3_PKT4_S7_PT5_21rocsparse_index_base_b
		.amdhsa_group_segment_fixed_size 3528
		.amdhsa_private_segment_fixed_size 0
		.amdhsa_kernarg_size 104
		.amdhsa_user_sgpr_count 6
		.amdhsa_user_sgpr_private_segment_buffer 1
		.amdhsa_user_sgpr_dispatch_ptr 0
		.amdhsa_user_sgpr_queue_ptr 0
		.amdhsa_user_sgpr_kernarg_segment_ptr 1
		.amdhsa_user_sgpr_dispatch_id 0
		.amdhsa_user_sgpr_flat_scratch_init 0
		.amdhsa_user_sgpr_private_segment_size 0
		.amdhsa_uses_dynamic_stack 0
		.amdhsa_system_sgpr_private_segment_wavefront_offset 0
		.amdhsa_system_sgpr_workgroup_id_x 1
		.amdhsa_system_sgpr_workgroup_id_y 0
		.amdhsa_system_sgpr_workgroup_id_z 0
		.amdhsa_system_sgpr_workgroup_info 0
		.amdhsa_system_vgpr_workitem_id 0
		.amdhsa_next_free_vgpr 25
		.amdhsa_next_free_sgpr 61
		.amdhsa_reserve_vcc 1
		.amdhsa_reserve_flat_scratch 0
		.amdhsa_float_round_mode_32 0
		.amdhsa_float_round_mode_16_64 0
		.amdhsa_float_denorm_mode_32 3
		.amdhsa_float_denorm_mode_16_64 3
		.amdhsa_dx10_clamp 1
		.amdhsa_ieee_mode 1
		.amdhsa_fp16_overflow 0
		.amdhsa_exception_fp_ieee_invalid_op 0
		.amdhsa_exception_fp_denorm_src 0
		.amdhsa_exception_fp_ieee_div_zero 0
		.amdhsa_exception_fp_ieee_overflow 0
		.amdhsa_exception_fp_ieee_underflow 0
		.amdhsa_exception_fp_ieee_inexact 0
		.amdhsa_exception_int_div_zero 0
	.end_amdhsa_kernel
	.section	.text._ZN9rocsparseL20bsrxmvn_17_32_kernelILj21E21rocsparse_complex_numIfEllfS2_S2_EEvT2_20rocsparse_direction_NS_24const_host_device_scalarIT0_EES3_PKS3_PKT1_SC_S9_PKT3_PKT4_S7_PT5_21rocsparse_index_base_b,"axG",@progbits,_ZN9rocsparseL20bsrxmvn_17_32_kernelILj21E21rocsparse_complex_numIfEllfS2_S2_EEvT2_20rocsparse_direction_NS_24const_host_device_scalarIT0_EES3_PKS3_PKT1_SC_S9_PKT3_PKT4_S7_PT5_21rocsparse_index_base_b,comdat
.Lfunc_end420:
	.size	_ZN9rocsparseL20bsrxmvn_17_32_kernelILj21E21rocsparse_complex_numIfEllfS2_S2_EEvT2_20rocsparse_direction_NS_24const_host_device_scalarIT0_EES3_PKS3_PKT1_SC_S9_PKT3_PKT4_S7_PT5_21rocsparse_index_base_b, .Lfunc_end420-_ZN9rocsparseL20bsrxmvn_17_32_kernelILj21E21rocsparse_complex_numIfEllfS2_S2_EEvT2_20rocsparse_direction_NS_24const_host_device_scalarIT0_EES3_PKS3_PKT1_SC_S9_PKT3_PKT4_S7_PT5_21rocsparse_index_base_b
                                        ; -- End function
	.set _ZN9rocsparseL20bsrxmvn_17_32_kernelILj21E21rocsparse_complex_numIfEllfS2_S2_EEvT2_20rocsparse_direction_NS_24const_host_device_scalarIT0_EES3_PKS3_PKT1_SC_S9_PKT3_PKT4_S7_PT5_21rocsparse_index_base_b.num_vgpr, 20
	.set _ZN9rocsparseL20bsrxmvn_17_32_kernelILj21E21rocsparse_complex_numIfEllfS2_S2_EEvT2_20rocsparse_direction_NS_24const_host_device_scalarIT0_EES3_PKS3_PKT1_SC_S9_PKT3_PKT4_S7_PT5_21rocsparse_index_base_b.num_agpr, 0
	.set _ZN9rocsparseL20bsrxmvn_17_32_kernelILj21E21rocsparse_complex_numIfEllfS2_S2_EEvT2_20rocsparse_direction_NS_24const_host_device_scalarIT0_EES3_PKS3_PKT1_SC_S9_PKT3_PKT4_S7_PT5_21rocsparse_index_base_b.numbered_sgpr, 22
	.set _ZN9rocsparseL20bsrxmvn_17_32_kernelILj21E21rocsparse_complex_numIfEllfS2_S2_EEvT2_20rocsparse_direction_NS_24const_host_device_scalarIT0_EES3_PKS3_PKT1_SC_S9_PKT3_PKT4_S7_PT5_21rocsparse_index_base_b.num_named_barrier, 0
	.set _ZN9rocsparseL20bsrxmvn_17_32_kernelILj21E21rocsparse_complex_numIfEllfS2_S2_EEvT2_20rocsparse_direction_NS_24const_host_device_scalarIT0_EES3_PKS3_PKT1_SC_S9_PKT3_PKT4_S7_PT5_21rocsparse_index_base_b.private_seg_size, 0
	.set _ZN9rocsparseL20bsrxmvn_17_32_kernelILj21E21rocsparse_complex_numIfEllfS2_S2_EEvT2_20rocsparse_direction_NS_24const_host_device_scalarIT0_EES3_PKS3_PKT1_SC_S9_PKT3_PKT4_S7_PT5_21rocsparse_index_base_b.uses_vcc, 1
	.set _ZN9rocsparseL20bsrxmvn_17_32_kernelILj21E21rocsparse_complex_numIfEllfS2_S2_EEvT2_20rocsparse_direction_NS_24const_host_device_scalarIT0_EES3_PKS3_PKT1_SC_S9_PKT3_PKT4_S7_PT5_21rocsparse_index_base_b.uses_flat_scratch, 0
	.set _ZN9rocsparseL20bsrxmvn_17_32_kernelILj21E21rocsparse_complex_numIfEllfS2_S2_EEvT2_20rocsparse_direction_NS_24const_host_device_scalarIT0_EES3_PKS3_PKT1_SC_S9_PKT3_PKT4_S7_PT5_21rocsparse_index_base_b.has_dyn_sized_stack, 0
	.set _ZN9rocsparseL20bsrxmvn_17_32_kernelILj21E21rocsparse_complex_numIfEllfS2_S2_EEvT2_20rocsparse_direction_NS_24const_host_device_scalarIT0_EES3_PKS3_PKT1_SC_S9_PKT3_PKT4_S7_PT5_21rocsparse_index_base_b.has_recursion, 0
	.set _ZN9rocsparseL20bsrxmvn_17_32_kernelILj21E21rocsparse_complex_numIfEllfS2_S2_EEvT2_20rocsparse_direction_NS_24const_host_device_scalarIT0_EES3_PKS3_PKT1_SC_S9_PKT3_PKT4_S7_PT5_21rocsparse_index_base_b.has_indirect_call, 0
	.section	.AMDGPU.csdata,"",@progbits
; Kernel info:
; codeLenInByte = 1488
; TotalNumSgprs: 26
; NumVgprs: 20
; ScratchSize: 0
; MemoryBound: 0
; FloatMode: 240
; IeeeMode: 1
; LDSByteSize: 3528 bytes/workgroup (compile time only)
; SGPRBlocks: 8
; VGPRBlocks: 6
; NumSGPRsForWavesPerEU: 65
; NumVGPRsForWavesPerEU: 25
; Occupancy: 9
; WaveLimiterHint : 1
; COMPUTE_PGM_RSRC2:SCRATCH_EN: 0
; COMPUTE_PGM_RSRC2:USER_SGPR: 6
; COMPUTE_PGM_RSRC2:TRAP_HANDLER: 0
; COMPUTE_PGM_RSRC2:TGID_X_EN: 1
; COMPUTE_PGM_RSRC2:TGID_Y_EN: 0
; COMPUTE_PGM_RSRC2:TGID_Z_EN: 0
; COMPUTE_PGM_RSRC2:TIDIG_COMP_CNT: 0
	.section	.text._ZN9rocsparseL20bsrxmvn_17_32_kernelILj22E21rocsparse_complex_numIfEllfS2_S2_EEvT2_20rocsparse_direction_NS_24const_host_device_scalarIT0_EES3_PKS3_PKT1_SC_S9_PKT3_PKT4_S7_PT5_21rocsparse_index_base_b,"axG",@progbits,_ZN9rocsparseL20bsrxmvn_17_32_kernelILj22E21rocsparse_complex_numIfEllfS2_S2_EEvT2_20rocsparse_direction_NS_24const_host_device_scalarIT0_EES3_PKS3_PKT1_SC_S9_PKT3_PKT4_S7_PT5_21rocsparse_index_base_b,comdat
	.globl	_ZN9rocsparseL20bsrxmvn_17_32_kernelILj22E21rocsparse_complex_numIfEllfS2_S2_EEvT2_20rocsparse_direction_NS_24const_host_device_scalarIT0_EES3_PKS3_PKT1_SC_S9_PKT3_PKT4_S7_PT5_21rocsparse_index_base_b ; -- Begin function _ZN9rocsparseL20bsrxmvn_17_32_kernelILj22E21rocsparse_complex_numIfEllfS2_S2_EEvT2_20rocsparse_direction_NS_24const_host_device_scalarIT0_EES3_PKS3_PKT1_SC_S9_PKT3_PKT4_S7_PT5_21rocsparse_index_base_b
	.p2align	8
	.type	_ZN9rocsparseL20bsrxmvn_17_32_kernelILj22E21rocsparse_complex_numIfEllfS2_S2_EEvT2_20rocsparse_direction_NS_24const_host_device_scalarIT0_EES3_PKS3_PKT1_SC_S9_PKT3_PKT4_S7_PT5_21rocsparse_index_base_b,@function
_ZN9rocsparseL20bsrxmvn_17_32_kernelILj22E21rocsparse_complex_numIfEllfS2_S2_EEvT2_20rocsparse_direction_NS_24const_host_device_scalarIT0_EES3_PKS3_PKT1_SC_S9_PKT3_PKT4_S7_PT5_21rocsparse_index_base_b: ; @_ZN9rocsparseL20bsrxmvn_17_32_kernelILj22E21rocsparse_complex_numIfEllfS2_S2_EEvT2_20rocsparse_direction_NS_24const_host_device_scalarIT0_EES3_PKS3_PKT1_SC_S9_PKT3_PKT4_S7_PT5_21rocsparse_index_base_b
; %bb.0:
	s_load_dwordx2 s[0:1], s[4:5], 0x10
	s_load_dwordx2 s[14:15], s[4:5], 0x60
	s_add_u32 s7, s4, 16
	s_addc_u32 s8, s5, 0
	s_add_u32 s9, s4, 0x50
	s_load_dwordx2 s[2:3], s[4:5], 0x50
	s_addc_u32 s10, s5, 0
	s_waitcnt lgkmcnt(0)
	s_bitcmp1_b32 s15, 0
	s_cselect_b32 s1, s8, s1
	s_cselect_b32 s0, s7, s0
	v_mov_b32_e32 v1, s0
	v_mov_b32_e32 v2, s1
	flat_load_dwordx2 v[3:4], v[1:2]
	s_cselect_b32 s0, s10, s3
	s_cselect_b32 s1, s9, s2
	v_mov_b32_e32 v1, s1
	v_mov_b32_e32 v2, s0
	flat_load_dwordx2 v[1:2], v[1:2]
	s_waitcnt vmcnt(0) lgkmcnt(0)
	v_cmp_eq_f32_e32 vcc, 0, v3
	v_cmp_eq_f32_e64 s[0:1], 0, v4
	s_and_b64 s[8:9], vcc, s[0:1]
	s_mov_b64 s[0:1], -1
	s_and_saveexec_b64 s[2:3], s[8:9]
; %bb.1:
	v_cmp_neq_f32_e32 vcc, 1.0, v1
	v_cmp_neq_f32_e64 s[0:1], 0, v2
	s_or_b64 s[0:1], vcc, s[0:1]
	s_orn2_b64 s[0:1], s[0:1], exec
; %bb.2:
	s_or_b64 exec, exec, s[2:3]
	s_and_saveexec_b64 s[2:3], s[0:1]
	s_cbranch_execz .LBB421_39
; %bb.3:
	s_load_dwordx4 s[0:3], s[4:5], 0x20
	s_load_dwordx2 s[8:9], s[4:5], 0x30
	s_mov_b32 s7, 0
	s_waitcnt lgkmcnt(0)
	s_cmp_eq_u64 s[0:1], 0
	s_cbranch_scc1 .LBB421_5
; %bb.4:
	s_lshl_b64 s[6:7], s[6:7], 3
	s_add_u32 s0, s0, s6
	s_addc_u32 s1, s1, s7
	s_load_dwordx2 s[0:1], s[0:1], 0x0
	s_waitcnt lgkmcnt(0)
	s_sub_u32 s6, s0, s14
	s_subb_u32 s7, s1, 0
.LBB421_5:
	s_load_dword s10, s[4:5], 0x8
	s_load_dwordx2 s[12:13], s[4:5], 0x58
	v_mul_u32_u24_e32 v7, 0xba3, v0
	v_mov_b32_e32 v8, 22
	v_mul_lo_u16_sdwa v5, v7, v8 dst_sel:DWORD dst_unused:UNUSED_PAD src0_sel:WORD_1 src1_sel:DWORD
	s_waitcnt lgkmcnt(0)
	s_cmp_eq_u32 s10, 1
	s_cselect_b64 s[0:1], -1, 0
	s_cmp_lg_u32 s10, 1
	s_cselect_b64 s[16:17], -1, 0
	s_lshl_b64 s[10:11], s[6:7], 3
	s_add_u32 s20, s2, s10
	s_addc_u32 s21, s3, s11
	s_add_u32 s2, s20, 8
	s_addc_u32 s3, s21, 0
	;; [unrolled: 2-line block ×3, first 2 shown]
	s_cmp_eq_u64 s[8:9], 0
	s_cselect_b32 s9, s3, s11
	s_cselect_b32 s8, s2, s10
	s_load_dwordx2 s[2:3], s[8:9], 0x0
	s_load_dwordx2 s[18:19], s[20:21], 0x0
	v_sub_u16_e32 v15, v0, v5
	s_waitcnt lgkmcnt(0)
	v_mov_b32_e32 v6, s3
	v_mov_b32_e32 v5, s2
	v_cmp_ge_i64_e32 vcc, s[18:19], v[5:6]
	v_mov_b32_e32 v6, 0
	v_mov_b32_e32 v5, 0
	s_cbranch_vccnz .LBB421_10
; %bb.6:
	v_mov_b32_e32 v5, 12
	v_mul_lo_u16_sdwa v5, v7, v5 dst_sel:DWORD dst_unused:UNUSED_PAD src0_sel:WORD_1 src1_sel:DWORD
	s_load_dwordx4 s[8:11], s[4:5], 0x38
	s_load_dwordx2 s[20:21], s[4:5], 0x48
	v_mul_lo_u16_sdwa v5, v5, v8 dst_sel:DWORD dst_unused:UNUSED_PAD src0_sel:BYTE_1 src1_sel:DWORD
	s_sub_u32 s2, s2, s14
	v_sub_u16_sdwa v5, v7, v5 dst_sel:DWORD dst_unused:UNUSED_PAD src0_sel:WORD_1 src1_sel:DWORD
	s_subb_u32 s3, s3, 0
	v_and_b32_e32 v5, 0xff, v5
	s_sub_u32 s4, s18, s14
	v_cndmask_b32_e64 v5, v15, v5, s[0:1]
	s_subb_u32 s5, s19, 0
	v_lshlrev_b32_e32 v5, 3, v5
	s_mul_i32 s0, s5, 0x790
	s_mul_hi_u32 s1, s4, 0x790
	s_waitcnt lgkmcnt(0)
	v_mov_b32_e32 v8, s21
	v_add_co_u32_e32 v7, vcc, s20, v5
	s_add_i32 s1, s1, s0
	s_mul_i32 s0, s4, 0x790
	v_addc_co_u32_e32 v8, vcc, 0, v8, vcc
	s_add_u32 s0, s10, s0
	v_lshlrev_b32_e32 v5, 2, v0
	s_addc_u32 s1, s11, s1
	v_add_co_u32_e32 v9, vcc, s0, v5
	s_movk_i32 s0, 0x10f
	v_mov_b32_e32 v10, s1
	v_mul_u32_u24_sdwa v5, v0, s0 dst_sel:DWORD dst_unused:UNUSED_PAD src0_sel:WORD_0 src1_sel:DWORD
	v_addc_co_u32_e32 v10, vcc, 0, v10, vcc
	v_lshrrev_b32_e32 v16, 17, v5
	v_mov_b32_e32 v5, s19
	v_add_co_u32_e32 v11, vcc, s18, v16
	v_addc_co_u32_e32 v5, vcc, 0, v5, vcc
	v_subrev_co_u32_e32 v11, vcc, s14, v11
	v_subbrev_co_u32_e32 v12, vcc, 0, v5, vcc
	v_lshlrev_b64 v[11:12], 3, v[11:12]
	v_mov_b32_e32 v6, 0
	v_mov_b32_e32 v5, s9
	v_add_co_u32_e32 v11, vcc, s8, v11
	v_mov_b32_e32 v14, s3
	v_addc_co_u32_e32 v12, vcc, v5, v12, vcc
	s_movk_i32 s8, 0xb0
	v_mov_b32_e32 v13, s2
	v_mov_b32_e32 v5, v6
	s_branch .LBB421_8
.LBB421_7:                              ;   in Loop: Header=BB421_8 Depth=1
	s_or_b64 exec, exec, s[0:1]
	s_add_u32 s4, s4, 1
	s_addc_u32 s5, s5, 0
	v_cmp_lt_i64_e32 vcc, s[4:5], v[13:14]
	v_add_co_u32_e64 v11, s[0:1], 8, v11
	v_addc_co_u32_e64 v12, s[0:1], 0, v12, s[0:1]
	s_cbranch_vccz .LBB421_10
.LBB421_8:                              ; =>This Inner Loop Header: Depth=1
	v_mov_b32_e32 v18, s5
	v_add_co_u32_e32 v17, vcc, s4, v16
	v_addc_co_u32_e32 v18, vcc, 0, v18, vcc
	v_cmp_gt_i64_e32 vcc, s[2:3], v[17:18]
	s_and_saveexec_b64 s[0:1], vcc
	s_cbranch_execz .LBB421_7
; %bb.9:                                ;   in Loop: Header=BB421_8 Depth=1
	global_load_dwordx2 v[17:18], v[11:12], off
	s_waitcnt vmcnt(0)
	v_subrev_co_u32_e32 v17, vcc, s14, v17
	v_subbrev_co_u32_e32 v19, vcc, 0, v18, vcc
	v_mad_u64_u32 v[17:18], s[10:11], v17, s8, v[7:8]
	v_mad_u64_u32 v[18:19], s[10:11], v19, s8, v[18:19]
	global_load_dword v19, v[9:10], off
	s_nop 0
	global_load_dwordx2 v[17:18], v[17:18], off
	v_add_co_u32_e32 v9, vcc, 0x790, v9
	v_addc_co_u32_e32 v10, vcc, 0, v10, vcc
	s_waitcnt vmcnt(0)
	v_fmac_f32_e32 v5, v19, v17
	v_fmac_f32_e32 v6, 0, v17
	;; [unrolled: 1-line block ×4, first 2 shown]
	s_branch .LBB421_7
.LBB421_10:
	v_lshlrev_b32_e32 v7, 3, v0
	s_and_b64 vcc, exec, s[16:17]
	ds_write_b64 v7, v[5:6]
	s_waitcnt lgkmcnt(0)
	s_barrier
	s_cbranch_vccz .LBB421_22
; %bb.11:
	v_cmp_gt_u16_e32 vcc, 6, v15
	s_and_saveexec_b64 s[0:1], vcc
	s_cbranch_execz .LBB421_13
; %bb.12:
	ds_read2_b64 v[8:11], v7 offset1:16
	s_waitcnt lgkmcnt(0)
	v_add_f32_e32 v8, v10, v8
	v_add_f32_e32 v9, v11, v9
	ds_write_b64 v7, v[8:9]
.LBB421_13:
	s_or_b64 exec, exec, s[0:1]
	v_cmp_gt_u16_e32 vcc, 8, v15
	s_waitcnt lgkmcnt(0)
	s_barrier
	s_and_saveexec_b64 s[0:1], vcc
	s_cbranch_execz .LBB421_15
; %bb.14:
	ds_read2_b64 v[8:11], v7 offset1:8
	s_waitcnt lgkmcnt(0)
	v_add_f32_e32 v8, v10, v8
	v_add_f32_e32 v9, v11, v9
	ds_write_b64 v7, v[8:9]
.LBB421_15:
	s_or_b64 exec, exec, s[0:1]
	v_cmp_gt_u16_e32 vcc, 4, v15
	s_waitcnt lgkmcnt(0)
	s_barrier
	;; [unrolled: 13-line block ×3, first 2 shown]
	s_and_saveexec_b64 s[0:1], vcc
	s_cbranch_execz .LBB421_19
; %bb.18:
	ds_read2_b64 v[8:11], v7 offset1:2
	s_waitcnt lgkmcnt(0)
	v_add_f32_e32 v8, v10, v8
	v_add_f32_e32 v9, v11, v9
	ds_write_b64 v7, v[8:9]
.LBB421_19:
	s_or_b64 exec, exec, s[0:1]
	v_cmp_gt_u32_e32 vcc, 22, v0
	v_mov_b32_e32 v9, v6
	v_mov_b32_e32 v8, v5
	s_waitcnt lgkmcnt(0)
	s_barrier
	s_and_saveexec_b64 s[0:1], vcc
	s_cbranch_execz .LBB421_21
; %bb.20:
	s_movk_i32 s2, 0xa8
	v_mad_u32_u24 v8, v0, s2, v7
	ds_read2_b64 v[8:11], v8 offset1:1
	s_waitcnt lgkmcnt(0)
	v_add_f32_e32 v8, v10, v8
	v_add_f32_e32 v9, v11, v9
.LBB421_21:
	s_or_b64 exec, exec, s[0:1]
	s_branch .LBB421_34
.LBB421_22:
                                        ; implicit-def: $vgpr9
                                        ; implicit-def: $vgpr8
	s_cbranch_execz .LBB421_34
; %bb.23:
	s_movk_i32 s0, 0x84
	v_cmp_gt_u32_e32 vcc, s0, v0
	s_and_saveexec_b64 s[0:1], vcc
	s_cbranch_execz .LBB421_25
; %bb.24:
	ds_read_b64 v[8:9], v7 offset:2816
	ds_read_b64 v[10:11], v7
	s_waitcnt lgkmcnt(0)
	v_add_f32_e32 v8, v8, v10
	v_add_f32_e32 v9, v9, v11
	ds_write_b64 v7, v[8:9]
.LBB421_25:
	s_or_b64 exec, exec, s[0:1]
	s_movk_i32 s0, 0xb0
	v_cmp_gt_u32_e32 vcc, s0, v0
	s_waitcnt lgkmcnt(0)
	s_barrier
	s_and_saveexec_b64 s[0:1], vcc
	s_cbranch_execz .LBB421_27
; %bb.26:
	ds_read2_b64 v[8:11], v7 offset1:176
	s_waitcnt lgkmcnt(0)
	v_add_f32_e32 v8, v10, v8
	v_add_f32_e32 v9, v11, v9
	ds_write_b64 v7, v[8:9]
.LBB421_27:
	s_or_b64 exec, exec, s[0:1]
	s_movk_i32 s0, 0x58
	v_cmp_gt_u32_e32 vcc, s0, v0
	s_waitcnt lgkmcnt(0)
	s_barrier
	s_and_saveexec_b64 s[0:1], vcc
	s_cbranch_execz .LBB421_29
; %bb.28:
	ds_read2_b64 v[8:11], v7 offset1:88
	s_waitcnt lgkmcnt(0)
	v_add_f32_e32 v8, v10, v8
	v_add_f32_e32 v9, v11, v9
	ds_write_b64 v7, v[8:9]
.LBB421_29:
	s_or_b64 exec, exec, s[0:1]
	v_cmp_gt_u32_e32 vcc, 44, v0
	s_waitcnt lgkmcnt(0)
	s_barrier
	s_and_saveexec_b64 s[0:1], vcc
	s_cbranch_execz .LBB421_31
; %bb.30:
	ds_read2_b64 v[8:11], v7 offset1:44
	s_waitcnt lgkmcnt(0)
	v_add_f32_e32 v8, v10, v8
	v_add_f32_e32 v9, v11, v9
	ds_write_b64 v7, v[8:9]
.LBB421_31:
	s_or_b64 exec, exec, s[0:1]
	v_cmp_gt_u32_e32 vcc, 22, v0
	s_waitcnt lgkmcnt(0)
	s_and_saveexec_b64 s[0:1], vcc
	s_cbranch_execz .LBB421_33
; %bb.32:
	ds_read2_b64 v[8:11], v7 offset1:22
	s_waitcnt lgkmcnt(0)
	v_add_f32_e32 v5, v10, v8
	v_add_f32_e32 v6, v11, v9
.LBB421_33:
	s_or_b64 exec, exec, s[0:1]
	v_mov_b32_e32 v9, v6
	v_mov_b32_e32 v8, v5
.LBB421_34:
	v_cmp_gt_u32_e32 vcc, 22, v0
	s_and_b64 exec, exec, vcc
	s_cbranch_execz .LBB421_39
; %bb.35:
	v_cmp_eq_f32_e32 vcc, 0, v1
	v_cmp_eq_f32_e64 s[0:1], 0, v2
	v_mul_f32_e64 v5, v9, -v4
	v_mul_f32_e32 v6, v3, v9
	s_and_b64 s[0:1], vcc, s[0:1]
	v_fmac_f32_e32 v5, v3, v8
	v_fmac_f32_e32 v6, v4, v8
	s_mul_i32 s2, s7, 0xb0
	s_mul_hi_u32 s3, s6, 0xb0
	s_mul_i32 s4, s6, 0xb0
	s_and_saveexec_b64 s[6:7], s[0:1]
	s_xor_b64 s[0:1], exec, s[6:7]
	s_cbranch_execz .LBB421_37
; %bb.36:
	s_add_i32 s5, s3, s2
	s_add_u32 s6, s12, s4
	s_addc_u32 s7, s13, s5
	global_store_dwordx2 v7, v[5:6], s[6:7]
                                        ; implicit-def: $vgpr7
                                        ; implicit-def: $vgpr1_vgpr2
                                        ; implicit-def: $vgpr5
.LBB421_37:
	s_andn2_saveexec_b64 s[0:1], s[0:1]
	s_cbranch_execz .LBB421_39
; %bb.38:
	s_add_i32 s3, s3, s2
	s_add_u32 s0, s12, s4
	s_addc_u32 s1, s13, s3
	global_load_dwordx2 v[3:4], v7, s[0:1]
	s_waitcnt vmcnt(0)
	v_fmac_f32_e32 v5, v1, v3
	v_fmac_f32_e32 v6, v2, v3
	v_fma_f32 v5, -v2, v4, v5
	v_fmac_f32_e32 v6, v1, v4
	global_store_dwordx2 v7, v[5:6], s[0:1]
.LBB421_39:
	s_endpgm
	.section	.rodata,"a",@progbits
	.p2align	6, 0x0
	.amdhsa_kernel _ZN9rocsparseL20bsrxmvn_17_32_kernelILj22E21rocsparse_complex_numIfEllfS2_S2_EEvT2_20rocsparse_direction_NS_24const_host_device_scalarIT0_EES3_PKS3_PKT1_SC_S9_PKT3_PKT4_S7_PT5_21rocsparse_index_base_b
		.amdhsa_group_segment_fixed_size 3872
		.amdhsa_private_segment_fixed_size 0
		.amdhsa_kernarg_size 104
		.amdhsa_user_sgpr_count 6
		.amdhsa_user_sgpr_private_segment_buffer 1
		.amdhsa_user_sgpr_dispatch_ptr 0
		.amdhsa_user_sgpr_queue_ptr 0
		.amdhsa_user_sgpr_kernarg_segment_ptr 1
		.amdhsa_user_sgpr_dispatch_id 0
		.amdhsa_user_sgpr_flat_scratch_init 0
		.amdhsa_user_sgpr_private_segment_size 0
		.amdhsa_uses_dynamic_stack 0
		.amdhsa_system_sgpr_private_segment_wavefront_offset 0
		.amdhsa_system_sgpr_workgroup_id_x 1
		.amdhsa_system_sgpr_workgroup_id_y 0
		.amdhsa_system_sgpr_workgroup_id_z 0
		.amdhsa_system_sgpr_workgroup_info 0
		.amdhsa_system_vgpr_workitem_id 0
		.amdhsa_next_free_vgpr 20
		.amdhsa_next_free_sgpr 22
		.amdhsa_reserve_vcc 1
		.amdhsa_reserve_flat_scratch 0
		.amdhsa_float_round_mode_32 0
		.amdhsa_float_round_mode_16_64 0
		.amdhsa_float_denorm_mode_32 3
		.amdhsa_float_denorm_mode_16_64 3
		.amdhsa_dx10_clamp 1
		.amdhsa_ieee_mode 1
		.amdhsa_fp16_overflow 0
		.amdhsa_exception_fp_ieee_invalid_op 0
		.amdhsa_exception_fp_denorm_src 0
		.amdhsa_exception_fp_ieee_div_zero 0
		.amdhsa_exception_fp_ieee_overflow 0
		.amdhsa_exception_fp_ieee_underflow 0
		.amdhsa_exception_fp_ieee_inexact 0
		.amdhsa_exception_int_div_zero 0
	.end_amdhsa_kernel
	.section	.text._ZN9rocsparseL20bsrxmvn_17_32_kernelILj22E21rocsparse_complex_numIfEllfS2_S2_EEvT2_20rocsparse_direction_NS_24const_host_device_scalarIT0_EES3_PKS3_PKT1_SC_S9_PKT3_PKT4_S7_PT5_21rocsparse_index_base_b,"axG",@progbits,_ZN9rocsparseL20bsrxmvn_17_32_kernelILj22E21rocsparse_complex_numIfEllfS2_S2_EEvT2_20rocsparse_direction_NS_24const_host_device_scalarIT0_EES3_PKS3_PKT1_SC_S9_PKT3_PKT4_S7_PT5_21rocsparse_index_base_b,comdat
.Lfunc_end421:
	.size	_ZN9rocsparseL20bsrxmvn_17_32_kernelILj22E21rocsparse_complex_numIfEllfS2_S2_EEvT2_20rocsparse_direction_NS_24const_host_device_scalarIT0_EES3_PKS3_PKT1_SC_S9_PKT3_PKT4_S7_PT5_21rocsparse_index_base_b, .Lfunc_end421-_ZN9rocsparseL20bsrxmvn_17_32_kernelILj22E21rocsparse_complex_numIfEllfS2_S2_EEvT2_20rocsparse_direction_NS_24const_host_device_scalarIT0_EES3_PKS3_PKT1_SC_S9_PKT3_PKT4_S7_PT5_21rocsparse_index_base_b
                                        ; -- End function
	.set _ZN9rocsparseL20bsrxmvn_17_32_kernelILj22E21rocsparse_complex_numIfEllfS2_S2_EEvT2_20rocsparse_direction_NS_24const_host_device_scalarIT0_EES3_PKS3_PKT1_SC_S9_PKT3_PKT4_S7_PT5_21rocsparse_index_base_b.num_vgpr, 20
	.set _ZN9rocsparseL20bsrxmvn_17_32_kernelILj22E21rocsparse_complex_numIfEllfS2_S2_EEvT2_20rocsparse_direction_NS_24const_host_device_scalarIT0_EES3_PKS3_PKT1_SC_S9_PKT3_PKT4_S7_PT5_21rocsparse_index_base_b.num_agpr, 0
	.set _ZN9rocsparseL20bsrxmvn_17_32_kernelILj22E21rocsparse_complex_numIfEllfS2_S2_EEvT2_20rocsparse_direction_NS_24const_host_device_scalarIT0_EES3_PKS3_PKT1_SC_S9_PKT3_PKT4_S7_PT5_21rocsparse_index_base_b.numbered_sgpr, 22
	.set _ZN9rocsparseL20bsrxmvn_17_32_kernelILj22E21rocsparse_complex_numIfEllfS2_S2_EEvT2_20rocsparse_direction_NS_24const_host_device_scalarIT0_EES3_PKS3_PKT1_SC_S9_PKT3_PKT4_S7_PT5_21rocsparse_index_base_b.num_named_barrier, 0
	.set _ZN9rocsparseL20bsrxmvn_17_32_kernelILj22E21rocsparse_complex_numIfEllfS2_S2_EEvT2_20rocsparse_direction_NS_24const_host_device_scalarIT0_EES3_PKS3_PKT1_SC_S9_PKT3_PKT4_S7_PT5_21rocsparse_index_base_b.private_seg_size, 0
	.set _ZN9rocsparseL20bsrxmvn_17_32_kernelILj22E21rocsparse_complex_numIfEllfS2_S2_EEvT2_20rocsparse_direction_NS_24const_host_device_scalarIT0_EES3_PKS3_PKT1_SC_S9_PKT3_PKT4_S7_PT5_21rocsparse_index_base_b.uses_vcc, 1
	.set _ZN9rocsparseL20bsrxmvn_17_32_kernelILj22E21rocsparse_complex_numIfEllfS2_S2_EEvT2_20rocsparse_direction_NS_24const_host_device_scalarIT0_EES3_PKS3_PKT1_SC_S9_PKT3_PKT4_S7_PT5_21rocsparse_index_base_b.uses_flat_scratch, 0
	.set _ZN9rocsparseL20bsrxmvn_17_32_kernelILj22E21rocsparse_complex_numIfEllfS2_S2_EEvT2_20rocsparse_direction_NS_24const_host_device_scalarIT0_EES3_PKS3_PKT1_SC_S9_PKT3_PKT4_S7_PT5_21rocsparse_index_base_b.has_dyn_sized_stack, 0
	.set _ZN9rocsparseL20bsrxmvn_17_32_kernelILj22E21rocsparse_complex_numIfEllfS2_S2_EEvT2_20rocsparse_direction_NS_24const_host_device_scalarIT0_EES3_PKS3_PKT1_SC_S9_PKT3_PKT4_S7_PT5_21rocsparse_index_base_b.has_recursion, 0
	.set _ZN9rocsparseL20bsrxmvn_17_32_kernelILj22E21rocsparse_complex_numIfEllfS2_S2_EEvT2_20rocsparse_direction_NS_24const_host_device_scalarIT0_EES3_PKS3_PKT1_SC_S9_PKT3_PKT4_S7_PT5_21rocsparse_index_base_b.has_indirect_call, 0
	.section	.AMDGPU.csdata,"",@progbits
; Kernel info:
; codeLenInByte = 1488
; TotalNumSgprs: 26
; NumVgprs: 20
; ScratchSize: 0
; MemoryBound: 0
; FloatMode: 240
; IeeeMode: 1
; LDSByteSize: 3872 bytes/workgroup (compile time only)
; SGPRBlocks: 3
; VGPRBlocks: 4
; NumSGPRsForWavesPerEU: 26
; NumVGPRsForWavesPerEU: 20
; Occupancy: 10
; WaveLimiterHint : 1
; COMPUTE_PGM_RSRC2:SCRATCH_EN: 0
; COMPUTE_PGM_RSRC2:USER_SGPR: 6
; COMPUTE_PGM_RSRC2:TRAP_HANDLER: 0
; COMPUTE_PGM_RSRC2:TGID_X_EN: 1
; COMPUTE_PGM_RSRC2:TGID_Y_EN: 0
; COMPUTE_PGM_RSRC2:TGID_Z_EN: 0
; COMPUTE_PGM_RSRC2:TIDIG_COMP_CNT: 0
	.section	.text._ZN9rocsparseL20bsrxmvn_17_32_kernelILj23E21rocsparse_complex_numIfEllfS2_S2_EEvT2_20rocsparse_direction_NS_24const_host_device_scalarIT0_EES3_PKS3_PKT1_SC_S9_PKT3_PKT4_S7_PT5_21rocsparse_index_base_b,"axG",@progbits,_ZN9rocsparseL20bsrxmvn_17_32_kernelILj23E21rocsparse_complex_numIfEllfS2_S2_EEvT2_20rocsparse_direction_NS_24const_host_device_scalarIT0_EES3_PKS3_PKT1_SC_S9_PKT3_PKT4_S7_PT5_21rocsparse_index_base_b,comdat
	.globl	_ZN9rocsparseL20bsrxmvn_17_32_kernelILj23E21rocsparse_complex_numIfEllfS2_S2_EEvT2_20rocsparse_direction_NS_24const_host_device_scalarIT0_EES3_PKS3_PKT1_SC_S9_PKT3_PKT4_S7_PT5_21rocsparse_index_base_b ; -- Begin function _ZN9rocsparseL20bsrxmvn_17_32_kernelILj23E21rocsparse_complex_numIfEllfS2_S2_EEvT2_20rocsparse_direction_NS_24const_host_device_scalarIT0_EES3_PKS3_PKT1_SC_S9_PKT3_PKT4_S7_PT5_21rocsparse_index_base_b
	.p2align	8
	.type	_ZN9rocsparseL20bsrxmvn_17_32_kernelILj23E21rocsparse_complex_numIfEllfS2_S2_EEvT2_20rocsparse_direction_NS_24const_host_device_scalarIT0_EES3_PKS3_PKT1_SC_S9_PKT3_PKT4_S7_PT5_21rocsparse_index_base_b,@function
_ZN9rocsparseL20bsrxmvn_17_32_kernelILj23E21rocsparse_complex_numIfEllfS2_S2_EEvT2_20rocsparse_direction_NS_24const_host_device_scalarIT0_EES3_PKS3_PKT1_SC_S9_PKT3_PKT4_S7_PT5_21rocsparse_index_base_b: ; @_ZN9rocsparseL20bsrxmvn_17_32_kernelILj23E21rocsparse_complex_numIfEllfS2_S2_EEvT2_20rocsparse_direction_NS_24const_host_device_scalarIT0_EES3_PKS3_PKT1_SC_S9_PKT3_PKT4_S7_PT5_21rocsparse_index_base_b
; %bb.0:
	s_load_dwordx2 s[0:1], s[4:5], 0x10
	s_load_dwordx2 s[14:15], s[4:5], 0x60
	s_add_u32 s7, s4, 16
	s_addc_u32 s8, s5, 0
	s_add_u32 s9, s4, 0x50
	s_load_dwordx2 s[2:3], s[4:5], 0x50
	s_addc_u32 s10, s5, 0
	s_waitcnt lgkmcnt(0)
	s_bitcmp1_b32 s15, 0
	s_cselect_b32 s1, s8, s1
	s_cselect_b32 s0, s7, s0
	v_mov_b32_e32 v1, s0
	v_mov_b32_e32 v2, s1
	flat_load_dwordx2 v[3:4], v[1:2]
	s_cselect_b32 s0, s10, s3
	s_cselect_b32 s1, s9, s2
	v_mov_b32_e32 v1, s1
	v_mov_b32_e32 v2, s0
	flat_load_dwordx2 v[1:2], v[1:2]
	s_waitcnt vmcnt(0) lgkmcnt(0)
	v_cmp_eq_f32_e32 vcc, 0, v3
	v_cmp_eq_f32_e64 s[0:1], 0, v4
	s_and_b64 s[8:9], vcc, s[0:1]
	s_mov_b64 s[0:1], -1
	s_and_saveexec_b64 s[2:3], s[8:9]
; %bb.1:
	v_cmp_neq_f32_e32 vcc, 1.0, v1
	v_cmp_neq_f32_e64 s[0:1], 0, v2
	s_or_b64 s[0:1], vcc, s[0:1]
	s_orn2_b64 s[0:1], s[0:1], exec
; %bb.2:
	s_or_b64 exec, exec, s[2:3]
	s_and_saveexec_b64 s[2:3], s[0:1]
	s_cbranch_execz .LBB422_39
; %bb.3:
	s_load_dwordx4 s[0:3], s[4:5], 0x20
	s_load_dwordx2 s[8:9], s[4:5], 0x30
	s_mov_b32 s7, 0
	s_waitcnt lgkmcnt(0)
	s_cmp_eq_u64 s[0:1], 0
	s_cbranch_scc1 .LBB422_5
; %bb.4:
	s_lshl_b64 s[6:7], s[6:7], 3
	s_add_u32 s0, s0, s6
	s_addc_u32 s1, s1, s7
	s_load_dwordx2 s[0:1], s[0:1], 0x0
	s_waitcnt lgkmcnt(0)
	s_sub_u32 s6, s0, s14
	s_subb_u32 s7, s1, 0
.LBB422_5:
	s_load_dword s10, s[4:5], 0x8
	s_load_dwordx2 s[12:13], s[4:5], 0x58
	v_mul_u32_u24_e32 v7, 0xb22, v0
	v_mov_b32_e32 v5, 23
	v_mul_lo_u16_sdwa v5, v7, v5 dst_sel:DWORD dst_unused:UNUSED_PAD src0_sel:WORD_1 src1_sel:DWORD
	s_waitcnt lgkmcnt(0)
	s_cmp_eq_u32 s10, 1
	s_cselect_b64 s[0:1], -1, 0
	s_cmp_lg_u32 s10, 1
	s_cselect_b64 s[16:17], -1, 0
	s_lshl_b64 s[10:11], s[6:7], 3
	s_add_u32 s20, s2, s10
	s_addc_u32 s21, s3, s11
	s_add_u32 s2, s20, 8
	s_addc_u32 s3, s21, 0
	;; [unrolled: 2-line block ×3, first 2 shown]
	s_cmp_eq_u64 s[8:9], 0
	s_cselect_b32 s9, s3, s11
	s_cselect_b32 s8, s2, s10
	s_load_dwordx2 s[2:3], s[8:9], 0x0
	s_load_dwordx2 s[18:19], s[20:21], 0x0
	v_sub_u16_e32 v15, v0, v5
	s_waitcnt lgkmcnt(0)
	v_mov_b32_e32 v6, s3
	v_mov_b32_e32 v5, s2
	v_cmp_ge_i64_e32 vcc, s[18:19], v[5:6]
	v_mov_b32_e32 v6, 0
	v_mov_b32_e32 v5, 0
	s_cbranch_vccnz .LBB422_10
; %bb.6:
	s_load_dwordx4 s[8:11], s[4:5], 0x38
	s_load_dwordx2 s[20:21], s[4:5], 0x48
	s_mov_b32 s4, 0xffff
	s_movk_i32 s5, 0x211
	v_and_b32_sdwa v5, s4, v7 dst_sel:DWORD dst_unused:UNUSED_PAD src0_sel:DWORD src1_sel:WORD_1
	s_sub_u32 s2, s2, s14
	v_subrev_u32_e32 v6, 23, v5
	v_cmp_gt_u32_e32 vcc, s5, v0
	s_subb_u32 s3, s3, 0
	v_cndmask_b32_e32 v5, v6, v5, vcc
	s_sub_u32 s4, s18, s14
	v_cndmask_b32_e64 v5, v15, v5, s[0:1]
	v_mov_b32_e32 v6, 0
	s_subb_u32 s5, s19, 0
	v_lshlrev_b64 v[7:8], 3, v[5:6]
	s_mul_i32 s0, s5, 0x844
	s_mul_hi_u32 s1, s4, 0x844
	s_add_i32 s1, s1, s0
	s_mul_i32 s0, s4, 0x844
	s_waitcnt lgkmcnt(0)
	v_mov_b32_e32 v5, s21
	v_add_co_u32_e32 v7, vcc, s20, v7
	s_add_u32 s0, s10, s0
	v_addc_co_u32_e32 v8, vcc, v5, v8, vcc
	s_addc_u32 s1, s11, s1
	v_lshlrev_b32_e32 v5, 2, v0
	v_mov_b32_e32 v10, s1
	v_add_co_u32_e32 v9, vcc, s0, v5
	v_addc_co_u32_e32 v10, vcc, 0, v10, vcc
	s_movk_i32 s0, 0x210
	v_cmp_lt_u32_e32 vcc, s0, v0
	v_cndmask_b32_e64 v16, 0, 1, vcc
	v_mov_b32_e32 v5, s19
	v_add_co_u32_e32 v11, vcc, s18, v16
	v_addc_co_u32_e32 v5, vcc, 0, v5, vcc
	v_subrev_co_u32_e32 v11, vcc, s14, v11
	v_subbrev_co_u32_e32 v12, vcc, 0, v5, vcc
	v_lshlrev_b64 v[11:12], 3, v[11:12]
	v_mov_b32_e32 v5, s9
	v_add_co_u32_e32 v11, vcc, s8, v11
	v_mov_b32_e32 v14, s3
	v_addc_co_u32_e32 v12, vcc, v5, v12, vcc
	s_movk_i32 s8, 0xb8
	v_mov_b32_e32 v13, s2
	v_mov_b32_e32 v5, v6
	s_branch .LBB422_8
.LBB422_7:                              ;   in Loop: Header=BB422_8 Depth=1
	s_or_b64 exec, exec, s[0:1]
	s_add_u32 s4, s4, 1
	s_addc_u32 s5, s5, 0
	v_cmp_lt_i64_e32 vcc, s[4:5], v[13:14]
	v_add_co_u32_e64 v11, s[0:1], 8, v11
	v_addc_co_u32_e64 v12, s[0:1], 0, v12, s[0:1]
	s_cbranch_vccz .LBB422_10
.LBB422_8:                              ; =>This Inner Loop Header: Depth=1
	v_mov_b32_e32 v18, s5
	v_add_co_u32_e32 v17, vcc, s4, v16
	v_addc_co_u32_e32 v18, vcc, 0, v18, vcc
	v_cmp_gt_i64_e32 vcc, s[2:3], v[17:18]
	s_and_saveexec_b64 s[0:1], vcc
	s_cbranch_execz .LBB422_7
; %bb.9:                                ;   in Loop: Header=BB422_8 Depth=1
	global_load_dwordx2 v[17:18], v[11:12], off
	s_waitcnt vmcnt(0)
	v_subrev_co_u32_e32 v17, vcc, s14, v17
	v_subbrev_co_u32_e32 v19, vcc, 0, v18, vcc
	v_mad_u64_u32 v[17:18], s[10:11], v17, s8, v[7:8]
	v_mad_u64_u32 v[18:19], s[10:11], v19, s8, v[18:19]
	global_load_dword v19, v[9:10], off
	s_nop 0
	global_load_dwordx2 v[17:18], v[17:18], off
	v_add_co_u32_e32 v9, vcc, 0x844, v9
	v_addc_co_u32_e32 v10, vcc, 0, v10, vcc
	s_waitcnt vmcnt(0)
	v_fmac_f32_e32 v5, v19, v17
	v_fmac_f32_e32 v6, 0, v17
	;; [unrolled: 1-line block ×4, first 2 shown]
	s_branch .LBB422_7
.LBB422_10:
	v_lshlrev_b32_e32 v7, 3, v0
	s_and_b64 vcc, exec, s[16:17]
	ds_write_b64 v7, v[5:6]
	s_waitcnt lgkmcnt(0)
	s_barrier
	s_cbranch_vccz .LBB422_22
; %bb.11:
	v_cmp_gt_u16_e32 vcc, 7, v15
	s_and_saveexec_b64 s[0:1], vcc
	s_cbranch_execz .LBB422_13
; %bb.12:
	ds_read2_b64 v[8:11], v7 offset1:16
	s_waitcnt lgkmcnt(0)
	v_add_f32_e32 v8, v10, v8
	v_add_f32_e32 v9, v11, v9
	ds_write_b64 v7, v[8:9]
.LBB422_13:
	s_or_b64 exec, exec, s[0:1]
	v_cmp_gt_u16_e32 vcc, 8, v15
	s_waitcnt lgkmcnt(0)
	s_barrier
	s_and_saveexec_b64 s[0:1], vcc
	s_cbranch_execz .LBB422_15
; %bb.14:
	ds_read2_b64 v[8:11], v7 offset1:8
	s_waitcnt lgkmcnt(0)
	v_add_f32_e32 v8, v10, v8
	v_add_f32_e32 v9, v11, v9
	ds_write_b64 v7, v[8:9]
.LBB422_15:
	s_or_b64 exec, exec, s[0:1]
	v_cmp_gt_u16_e32 vcc, 4, v15
	s_waitcnt lgkmcnt(0)
	s_barrier
	;; [unrolled: 13-line block ×3, first 2 shown]
	s_and_saveexec_b64 s[0:1], vcc
	s_cbranch_execz .LBB422_19
; %bb.18:
	ds_read2_b64 v[8:11], v7 offset1:2
	s_waitcnt lgkmcnt(0)
	v_add_f32_e32 v8, v10, v8
	v_add_f32_e32 v9, v11, v9
	ds_write_b64 v7, v[8:9]
.LBB422_19:
	s_or_b64 exec, exec, s[0:1]
	v_cmp_gt_u32_e32 vcc, 23, v0
	v_mov_b32_e32 v9, v6
	v_mov_b32_e32 v8, v5
	s_waitcnt lgkmcnt(0)
	s_barrier
	s_and_saveexec_b64 s[0:1], vcc
	s_cbranch_execz .LBB422_21
; %bb.20:
	s_movk_i32 s2, 0xb0
	v_mad_u32_u24 v8, v0, s2, v7
	ds_read2_b64 v[8:11], v8 offset1:1
	s_waitcnt lgkmcnt(0)
	v_add_f32_e32 v8, v10, v8
	v_add_f32_e32 v9, v11, v9
.LBB422_21:
	s_or_b64 exec, exec, s[0:1]
	s_branch .LBB422_34
.LBB422_22:
                                        ; implicit-def: $vgpr9
                                        ; implicit-def: $vgpr8
	s_cbranch_execz .LBB422_34
; %bb.23:
	s_movk_i32 s0, 0xa1
	v_cmp_gt_u32_e32 vcc, s0, v0
	s_and_saveexec_b64 s[0:1], vcc
	s_cbranch_execz .LBB422_25
; %bb.24:
	ds_read_b64 v[8:9], v7 offset:2944
	ds_read_b64 v[10:11], v7
	s_waitcnt lgkmcnt(0)
	v_add_f32_e32 v8, v8, v10
	v_add_f32_e32 v9, v9, v11
	ds_write_b64 v7, v[8:9]
.LBB422_25:
	s_or_b64 exec, exec, s[0:1]
	s_movk_i32 s0, 0xb8
	v_cmp_gt_u32_e32 vcc, s0, v0
	s_waitcnt lgkmcnt(0)
	s_barrier
	s_and_saveexec_b64 s[0:1], vcc
	s_cbranch_execz .LBB422_27
; %bb.26:
	ds_read2_b64 v[8:11], v7 offset1:184
	s_waitcnt lgkmcnt(0)
	v_add_f32_e32 v8, v10, v8
	v_add_f32_e32 v9, v11, v9
	ds_write_b64 v7, v[8:9]
.LBB422_27:
	s_or_b64 exec, exec, s[0:1]
	s_movk_i32 s0, 0x5c
	v_cmp_gt_u32_e32 vcc, s0, v0
	s_waitcnt lgkmcnt(0)
	s_barrier
	s_and_saveexec_b64 s[0:1], vcc
	s_cbranch_execz .LBB422_29
; %bb.28:
	ds_read2_b64 v[8:11], v7 offset1:92
	s_waitcnt lgkmcnt(0)
	v_add_f32_e32 v8, v10, v8
	v_add_f32_e32 v9, v11, v9
	ds_write_b64 v7, v[8:9]
.LBB422_29:
	s_or_b64 exec, exec, s[0:1]
	v_cmp_gt_u32_e32 vcc, 46, v0
	s_waitcnt lgkmcnt(0)
	s_barrier
	s_and_saveexec_b64 s[0:1], vcc
	s_cbranch_execz .LBB422_31
; %bb.30:
	ds_read2_b64 v[8:11], v7 offset1:46
	s_waitcnt lgkmcnt(0)
	v_add_f32_e32 v8, v10, v8
	v_add_f32_e32 v9, v11, v9
	ds_write_b64 v7, v[8:9]
.LBB422_31:
	s_or_b64 exec, exec, s[0:1]
	v_cmp_gt_u32_e32 vcc, 23, v0
	s_waitcnt lgkmcnt(0)
	s_and_saveexec_b64 s[0:1], vcc
	s_cbranch_execz .LBB422_33
; %bb.32:
	ds_read2_b64 v[8:11], v7 offset1:23
	s_waitcnt lgkmcnt(0)
	v_add_f32_e32 v5, v10, v8
	v_add_f32_e32 v6, v11, v9
.LBB422_33:
	s_or_b64 exec, exec, s[0:1]
	v_mov_b32_e32 v9, v6
	v_mov_b32_e32 v8, v5
.LBB422_34:
	v_cmp_gt_u32_e32 vcc, 23, v0
	s_and_b64 exec, exec, vcc
	s_cbranch_execz .LBB422_39
; %bb.35:
	v_cmp_eq_f32_e32 vcc, 0, v1
	v_cmp_eq_f32_e64 s[0:1], 0, v2
	v_mul_f32_e64 v5, v9, -v4
	v_mul_f32_e32 v6, v3, v9
	s_and_b64 s[0:1], vcc, s[0:1]
	v_fmac_f32_e32 v5, v3, v8
	v_fmac_f32_e32 v6, v4, v8
	s_mul_i32 s2, s7, 0xb8
	s_mul_hi_u32 s3, s6, 0xb8
	s_mul_i32 s4, s6, 0xb8
	s_and_saveexec_b64 s[6:7], s[0:1]
	s_xor_b64 s[0:1], exec, s[6:7]
	s_cbranch_execz .LBB422_37
; %bb.36:
	s_add_i32 s5, s3, s2
	s_add_u32 s6, s12, s4
	s_addc_u32 s7, s13, s5
	global_store_dwordx2 v7, v[5:6], s[6:7]
                                        ; implicit-def: $vgpr7
                                        ; implicit-def: $vgpr1_vgpr2
                                        ; implicit-def: $vgpr5
.LBB422_37:
	s_andn2_saveexec_b64 s[0:1], s[0:1]
	s_cbranch_execz .LBB422_39
; %bb.38:
	s_add_i32 s3, s3, s2
	s_add_u32 s0, s12, s4
	s_addc_u32 s1, s13, s3
	global_load_dwordx2 v[3:4], v7, s[0:1]
	s_waitcnt vmcnt(0)
	v_fmac_f32_e32 v5, v1, v3
	v_fmac_f32_e32 v6, v2, v3
	v_fma_f32 v5, -v2, v4, v5
	v_fmac_f32_e32 v6, v1, v4
	global_store_dwordx2 v7, v[5:6], s[0:1]
.LBB422_39:
	s_endpgm
	.section	.rodata,"a",@progbits
	.p2align	6, 0x0
	.amdhsa_kernel _ZN9rocsparseL20bsrxmvn_17_32_kernelILj23E21rocsparse_complex_numIfEllfS2_S2_EEvT2_20rocsparse_direction_NS_24const_host_device_scalarIT0_EES3_PKS3_PKT1_SC_S9_PKT3_PKT4_S7_PT5_21rocsparse_index_base_b
		.amdhsa_group_segment_fixed_size 4232
		.amdhsa_private_segment_fixed_size 0
		.amdhsa_kernarg_size 104
		.amdhsa_user_sgpr_count 6
		.amdhsa_user_sgpr_private_segment_buffer 1
		.amdhsa_user_sgpr_dispatch_ptr 0
		.amdhsa_user_sgpr_queue_ptr 0
		.amdhsa_user_sgpr_kernarg_segment_ptr 1
		.amdhsa_user_sgpr_dispatch_id 0
		.amdhsa_user_sgpr_flat_scratch_init 0
		.amdhsa_user_sgpr_private_segment_size 0
		.amdhsa_uses_dynamic_stack 0
		.amdhsa_system_sgpr_private_segment_wavefront_offset 0
		.amdhsa_system_sgpr_workgroup_id_x 1
		.amdhsa_system_sgpr_workgroup_id_y 0
		.amdhsa_system_sgpr_workgroup_id_z 0
		.amdhsa_system_sgpr_workgroup_info 0
		.amdhsa_system_vgpr_workitem_id 0
		.amdhsa_next_free_vgpr 25
		.amdhsa_next_free_sgpr 61
		.amdhsa_reserve_vcc 1
		.amdhsa_reserve_flat_scratch 0
		.amdhsa_float_round_mode_32 0
		.amdhsa_float_round_mode_16_64 0
		.amdhsa_float_denorm_mode_32 3
		.amdhsa_float_denorm_mode_16_64 3
		.amdhsa_dx10_clamp 1
		.amdhsa_ieee_mode 1
		.amdhsa_fp16_overflow 0
		.amdhsa_exception_fp_ieee_invalid_op 0
		.amdhsa_exception_fp_denorm_src 0
		.amdhsa_exception_fp_ieee_div_zero 0
		.amdhsa_exception_fp_ieee_overflow 0
		.amdhsa_exception_fp_ieee_underflow 0
		.amdhsa_exception_fp_ieee_inexact 0
		.amdhsa_exception_int_div_zero 0
	.end_amdhsa_kernel
	.section	.text._ZN9rocsparseL20bsrxmvn_17_32_kernelILj23E21rocsparse_complex_numIfEllfS2_S2_EEvT2_20rocsparse_direction_NS_24const_host_device_scalarIT0_EES3_PKS3_PKT1_SC_S9_PKT3_PKT4_S7_PT5_21rocsparse_index_base_b,"axG",@progbits,_ZN9rocsparseL20bsrxmvn_17_32_kernelILj23E21rocsparse_complex_numIfEllfS2_S2_EEvT2_20rocsparse_direction_NS_24const_host_device_scalarIT0_EES3_PKS3_PKT1_SC_S9_PKT3_PKT4_S7_PT5_21rocsparse_index_base_b,comdat
.Lfunc_end422:
	.size	_ZN9rocsparseL20bsrxmvn_17_32_kernelILj23E21rocsparse_complex_numIfEllfS2_S2_EEvT2_20rocsparse_direction_NS_24const_host_device_scalarIT0_EES3_PKS3_PKT1_SC_S9_PKT3_PKT4_S7_PT5_21rocsparse_index_base_b, .Lfunc_end422-_ZN9rocsparseL20bsrxmvn_17_32_kernelILj23E21rocsparse_complex_numIfEllfS2_S2_EEvT2_20rocsparse_direction_NS_24const_host_device_scalarIT0_EES3_PKS3_PKT1_SC_S9_PKT3_PKT4_S7_PT5_21rocsparse_index_base_b
                                        ; -- End function
	.set _ZN9rocsparseL20bsrxmvn_17_32_kernelILj23E21rocsparse_complex_numIfEllfS2_S2_EEvT2_20rocsparse_direction_NS_24const_host_device_scalarIT0_EES3_PKS3_PKT1_SC_S9_PKT3_PKT4_S7_PT5_21rocsparse_index_base_b.num_vgpr, 20
	.set _ZN9rocsparseL20bsrxmvn_17_32_kernelILj23E21rocsparse_complex_numIfEllfS2_S2_EEvT2_20rocsparse_direction_NS_24const_host_device_scalarIT0_EES3_PKS3_PKT1_SC_S9_PKT3_PKT4_S7_PT5_21rocsparse_index_base_b.num_agpr, 0
	.set _ZN9rocsparseL20bsrxmvn_17_32_kernelILj23E21rocsparse_complex_numIfEllfS2_S2_EEvT2_20rocsparse_direction_NS_24const_host_device_scalarIT0_EES3_PKS3_PKT1_SC_S9_PKT3_PKT4_S7_PT5_21rocsparse_index_base_b.numbered_sgpr, 22
	.set _ZN9rocsparseL20bsrxmvn_17_32_kernelILj23E21rocsparse_complex_numIfEllfS2_S2_EEvT2_20rocsparse_direction_NS_24const_host_device_scalarIT0_EES3_PKS3_PKT1_SC_S9_PKT3_PKT4_S7_PT5_21rocsparse_index_base_b.num_named_barrier, 0
	.set _ZN9rocsparseL20bsrxmvn_17_32_kernelILj23E21rocsparse_complex_numIfEllfS2_S2_EEvT2_20rocsparse_direction_NS_24const_host_device_scalarIT0_EES3_PKS3_PKT1_SC_S9_PKT3_PKT4_S7_PT5_21rocsparse_index_base_b.private_seg_size, 0
	.set _ZN9rocsparseL20bsrxmvn_17_32_kernelILj23E21rocsparse_complex_numIfEllfS2_S2_EEvT2_20rocsparse_direction_NS_24const_host_device_scalarIT0_EES3_PKS3_PKT1_SC_S9_PKT3_PKT4_S7_PT5_21rocsparse_index_base_b.uses_vcc, 1
	.set _ZN9rocsparseL20bsrxmvn_17_32_kernelILj23E21rocsparse_complex_numIfEllfS2_S2_EEvT2_20rocsparse_direction_NS_24const_host_device_scalarIT0_EES3_PKS3_PKT1_SC_S9_PKT3_PKT4_S7_PT5_21rocsparse_index_base_b.uses_flat_scratch, 0
	.set _ZN9rocsparseL20bsrxmvn_17_32_kernelILj23E21rocsparse_complex_numIfEllfS2_S2_EEvT2_20rocsparse_direction_NS_24const_host_device_scalarIT0_EES3_PKS3_PKT1_SC_S9_PKT3_PKT4_S7_PT5_21rocsparse_index_base_b.has_dyn_sized_stack, 0
	.set _ZN9rocsparseL20bsrxmvn_17_32_kernelILj23E21rocsparse_complex_numIfEllfS2_S2_EEvT2_20rocsparse_direction_NS_24const_host_device_scalarIT0_EES3_PKS3_PKT1_SC_S9_PKT3_PKT4_S7_PT5_21rocsparse_index_base_b.has_recursion, 0
	.set _ZN9rocsparseL20bsrxmvn_17_32_kernelILj23E21rocsparse_complex_numIfEllfS2_S2_EEvT2_20rocsparse_direction_NS_24const_host_device_scalarIT0_EES3_PKS3_PKT1_SC_S9_PKT3_PKT4_S7_PT5_21rocsparse_index_base_b.has_indirect_call, 0
	.section	.AMDGPU.csdata,"",@progbits
; Kernel info:
; codeLenInByte = 1488
; TotalNumSgprs: 26
; NumVgprs: 20
; ScratchSize: 0
; MemoryBound: 0
; FloatMode: 240
; IeeeMode: 1
; LDSByteSize: 4232 bytes/workgroup (compile time only)
; SGPRBlocks: 8
; VGPRBlocks: 6
; NumSGPRsForWavesPerEU: 65
; NumVGPRsForWavesPerEU: 25
; Occupancy: 9
; WaveLimiterHint : 1
; COMPUTE_PGM_RSRC2:SCRATCH_EN: 0
; COMPUTE_PGM_RSRC2:USER_SGPR: 6
; COMPUTE_PGM_RSRC2:TRAP_HANDLER: 0
; COMPUTE_PGM_RSRC2:TGID_X_EN: 1
; COMPUTE_PGM_RSRC2:TGID_Y_EN: 0
; COMPUTE_PGM_RSRC2:TGID_Z_EN: 0
; COMPUTE_PGM_RSRC2:TIDIG_COMP_CNT: 0
	.section	.text._ZN9rocsparseL20bsrxmvn_17_32_kernelILj24E21rocsparse_complex_numIfEllfS2_S2_EEvT2_20rocsparse_direction_NS_24const_host_device_scalarIT0_EES3_PKS3_PKT1_SC_S9_PKT3_PKT4_S7_PT5_21rocsparse_index_base_b,"axG",@progbits,_ZN9rocsparseL20bsrxmvn_17_32_kernelILj24E21rocsparse_complex_numIfEllfS2_S2_EEvT2_20rocsparse_direction_NS_24const_host_device_scalarIT0_EES3_PKS3_PKT1_SC_S9_PKT3_PKT4_S7_PT5_21rocsparse_index_base_b,comdat
	.globl	_ZN9rocsparseL20bsrxmvn_17_32_kernelILj24E21rocsparse_complex_numIfEllfS2_S2_EEvT2_20rocsparse_direction_NS_24const_host_device_scalarIT0_EES3_PKS3_PKT1_SC_S9_PKT3_PKT4_S7_PT5_21rocsparse_index_base_b ; -- Begin function _ZN9rocsparseL20bsrxmvn_17_32_kernelILj24E21rocsparse_complex_numIfEllfS2_S2_EEvT2_20rocsparse_direction_NS_24const_host_device_scalarIT0_EES3_PKS3_PKT1_SC_S9_PKT3_PKT4_S7_PT5_21rocsparse_index_base_b
	.p2align	8
	.type	_ZN9rocsparseL20bsrxmvn_17_32_kernelILj24E21rocsparse_complex_numIfEllfS2_S2_EEvT2_20rocsparse_direction_NS_24const_host_device_scalarIT0_EES3_PKS3_PKT1_SC_S9_PKT3_PKT4_S7_PT5_21rocsparse_index_base_b,@function
_ZN9rocsparseL20bsrxmvn_17_32_kernelILj24E21rocsparse_complex_numIfEllfS2_S2_EEvT2_20rocsparse_direction_NS_24const_host_device_scalarIT0_EES3_PKS3_PKT1_SC_S9_PKT3_PKT4_S7_PT5_21rocsparse_index_base_b: ; @_ZN9rocsparseL20bsrxmvn_17_32_kernelILj24E21rocsparse_complex_numIfEllfS2_S2_EEvT2_20rocsparse_direction_NS_24const_host_device_scalarIT0_EES3_PKS3_PKT1_SC_S9_PKT3_PKT4_S7_PT5_21rocsparse_index_base_b
; %bb.0:
	s_load_dwordx2 s[0:1], s[4:5], 0x10
	s_load_dwordx2 s[14:15], s[4:5], 0x60
	s_add_u32 s7, s4, 16
	s_addc_u32 s8, s5, 0
	s_add_u32 s9, s4, 0x50
	s_load_dwordx2 s[2:3], s[4:5], 0x50
	s_addc_u32 s10, s5, 0
	s_waitcnt lgkmcnt(0)
	s_bitcmp1_b32 s15, 0
	s_cselect_b32 s1, s8, s1
	s_cselect_b32 s0, s7, s0
	v_mov_b32_e32 v1, s0
	v_mov_b32_e32 v2, s1
	flat_load_dwordx2 v[3:4], v[1:2]
	s_cselect_b32 s0, s10, s3
	s_cselect_b32 s1, s9, s2
	v_mov_b32_e32 v1, s1
	v_mov_b32_e32 v2, s0
	flat_load_dwordx2 v[1:2], v[1:2]
	s_waitcnt vmcnt(0) lgkmcnt(0)
	v_cmp_eq_f32_e32 vcc, 0, v3
	v_cmp_eq_f32_e64 s[0:1], 0, v4
	s_and_b64 s[8:9], vcc, s[0:1]
	s_mov_b64 s[0:1], -1
	s_and_saveexec_b64 s[2:3], s[8:9]
; %bb.1:
	v_cmp_neq_f32_e32 vcc, 1.0, v1
	v_cmp_neq_f32_e64 s[0:1], 0, v2
	s_or_b64 s[0:1], vcc, s[0:1]
	s_orn2_b64 s[0:1], s[0:1], exec
; %bb.2:
	s_or_b64 exec, exec, s[2:3]
	s_and_saveexec_b64 s[2:3], s[0:1]
	s_cbranch_execz .LBB423_39
; %bb.3:
	s_load_dwordx4 s[0:3], s[4:5], 0x20
	s_load_dwordx2 s[8:9], s[4:5], 0x30
	s_mov_b32 s7, 0
	s_waitcnt lgkmcnt(0)
	s_cmp_eq_u64 s[0:1], 0
	s_cbranch_scc1 .LBB423_5
; %bb.4:
	s_lshl_b64 s[6:7], s[6:7], 3
	s_add_u32 s0, s0, s6
	s_addc_u32 s1, s1, s7
	s_load_dwordx2 s[0:1], s[0:1], 0x0
	s_waitcnt lgkmcnt(0)
	s_sub_u32 s6, s0, s14
	s_subb_u32 s7, s1, 0
.LBB423_5:
	s_load_dword s10, s[4:5], 0x8
	s_load_dwordx2 s[12:13], s[4:5], 0x58
	v_mul_u32_u24_e32 v7, 0xaab, v0
	v_mov_b32_e32 v5, 24
	v_mul_lo_u16_sdwa v5, v7, v5 dst_sel:DWORD dst_unused:UNUSED_PAD src0_sel:WORD_1 src1_sel:DWORD
	s_waitcnt lgkmcnt(0)
	s_cmp_eq_u32 s10, 1
	s_cselect_b64 s[0:1], -1, 0
	s_cmp_lg_u32 s10, 1
	s_cselect_b64 s[16:17], -1, 0
	s_lshl_b64 s[10:11], s[6:7], 3
	s_add_u32 s20, s2, s10
	s_addc_u32 s21, s3, s11
	s_add_u32 s2, s20, 8
	s_addc_u32 s3, s21, 0
	;; [unrolled: 2-line block ×3, first 2 shown]
	s_cmp_eq_u64 s[8:9], 0
	s_cselect_b32 s9, s3, s11
	s_cselect_b32 s8, s2, s10
	s_load_dwordx2 s[2:3], s[8:9], 0x0
	s_load_dwordx2 s[18:19], s[20:21], 0x0
	v_sub_u16_e32 v15, v0, v5
	s_waitcnt lgkmcnt(0)
	v_mov_b32_e32 v6, s3
	v_mov_b32_e32 v5, s2
	v_cmp_ge_i64_e32 vcc, s[18:19], v[5:6]
	v_mov_b32_e32 v6, 0
	v_mov_b32_e32 v5, 0
	s_cbranch_vccnz .LBB423_10
; %bb.6:
	s_load_dwordx4 s[8:11], s[4:5], 0x38
	s_load_dwordx2 s[20:21], s[4:5], 0x48
	s_mov_b32 s4, 0xffff
	s_movk_i32 s5, 0x240
	v_and_b32_sdwa v5, s4, v7 dst_sel:DWORD dst_unused:UNUSED_PAD src0_sel:DWORD src1_sel:WORD_1
	s_sub_u32 s2, s2, s14
	v_subrev_u32_e32 v6, 24, v5
	v_cmp_gt_u32_e32 vcc, s5, v0
	s_subb_u32 s3, s3, 0
	v_cndmask_b32_e32 v5, v6, v5, vcc
	s_sub_u32 s4, s18, s14
	v_cndmask_b32_e64 v5, v15, v5, s[0:1]
	v_mov_b32_e32 v6, 0
	s_subb_u32 s5, s19, 0
	v_lshlrev_b64 v[7:8], 3, v[5:6]
	s_mul_i32 s0, s5, 0x900
	s_mul_hi_u32 s1, s4, 0x900
	s_add_i32 s1, s1, s0
	s_mul_i32 s0, s4, 0x900
	s_waitcnt lgkmcnt(0)
	v_mov_b32_e32 v5, s21
	v_add_co_u32_e32 v7, vcc, s20, v7
	s_add_u32 s0, s10, s0
	v_addc_co_u32_e32 v8, vcc, v5, v8, vcc
	s_addc_u32 s1, s11, s1
	v_lshlrev_b32_e32 v5, 2, v0
	v_mov_b32_e32 v10, s1
	v_add_co_u32_e32 v9, vcc, s0, v5
	v_addc_co_u32_e32 v10, vcc, 0, v10, vcc
	s_movk_i32 s0, 0x23f
	v_cmp_lt_u32_e32 vcc, s0, v0
	v_cndmask_b32_e64 v16, 0, 1, vcc
	v_mov_b32_e32 v5, s19
	v_add_co_u32_e32 v11, vcc, s18, v16
	v_addc_co_u32_e32 v5, vcc, 0, v5, vcc
	v_subrev_co_u32_e32 v11, vcc, s14, v11
	v_subbrev_co_u32_e32 v12, vcc, 0, v5, vcc
	v_lshlrev_b64 v[11:12], 3, v[11:12]
	v_mov_b32_e32 v5, s9
	v_add_co_u32_e32 v11, vcc, s8, v11
	v_mov_b32_e32 v14, s3
	v_addc_co_u32_e32 v12, vcc, v5, v12, vcc
	s_movk_i32 s8, 0xc0
	v_mov_b32_e32 v13, s2
	v_mov_b32_e32 v5, v6
	s_branch .LBB423_8
.LBB423_7:                              ;   in Loop: Header=BB423_8 Depth=1
	s_or_b64 exec, exec, s[0:1]
	s_add_u32 s4, s4, 1
	s_addc_u32 s5, s5, 0
	v_cmp_lt_i64_e32 vcc, s[4:5], v[13:14]
	v_add_co_u32_e64 v11, s[0:1], 8, v11
	v_addc_co_u32_e64 v12, s[0:1], 0, v12, s[0:1]
	s_cbranch_vccz .LBB423_10
.LBB423_8:                              ; =>This Inner Loop Header: Depth=1
	v_mov_b32_e32 v18, s5
	v_add_co_u32_e32 v17, vcc, s4, v16
	v_addc_co_u32_e32 v18, vcc, 0, v18, vcc
	v_cmp_gt_i64_e32 vcc, s[2:3], v[17:18]
	s_and_saveexec_b64 s[0:1], vcc
	s_cbranch_execz .LBB423_7
; %bb.9:                                ;   in Loop: Header=BB423_8 Depth=1
	global_load_dwordx2 v[17:18], v[11:12], off
	s_waitcnt vmcnt(0)
	v_subrev_co_u32_e32 v17, vcc, s14, v17
	v_subbrev_co_u32_e32 v19, vcc, 0, v18, vcc
	v_mad_u64_u32 v[17:18], s[10:11], v17, s8, v[7:8]
	v_mad_u64_u32 v[18:19], s[10:11], v19, s8, v[18:19]
	global_load_dword v19, v[9:10], off
	s_nop 0
	global_load_dwordx2 v[17:18], v[17:18], off
	v_add_co_u32_e32 v9, vcc, 0x900, v9
	v_addc_co_u32_e32 v10, vcc, 0, v10, vcc
	s_waitcnt vmcnt(0)
	v_fmac_f32_e32 v5, v19, v17
	v_fmac_f32_e32 v6, 0, v17
	;; [unrolled: 1-line block ×4, first 2 shown]
	s_branch .LBB423_7
.LBB423_10:
	v_lshlrev_b32_e32 v7, 3, v0
	s_and_b64 vcc, exec, s[16:17]
	ds_write_b64 v7, v[5:6]
	s_waitcnt lgkmcnt(0)
	s_barrier
	s_cbranch_vccz .LBB423_22
; %bb.11:
	v_cmp_gt_u16_e32 vcc, 8, v15
	s_and_saveexec_b64 s[0:1], vcc
	s_cbranch_execz .LBB423_13
; %bb.12:
	ds_read2_b64 v[8:11], v7 offset1:16
	s_waitcnt lgkmcnt(0)
	v_add_f32_e32 v8, v10, v8
	v_add_f32_e32 v9, v11, v9
	ds_write_b64 v7, v[8:9]
.LBB423_13:
	s_or_b64 exec, exec, s[0:1]
	s_waitcnt lgkmcnt(0)
	s_barrier
	s_and_saveexec_b64 s[0:1], vcc
	s_cbranch_execz .LBB423_15
; %bb.14:
	ds_read2_b64 v[8:11], v7 offset1:8
	s_waitcnt lgkmcnt(0)
	v_add_f32_e32 v8, v10, v8
	v_add_f32_e32 v9, v11, v9
	ds_write_b64 v7, v[8:9]
.LBB423_15:
	s_or_b64 exec, exec, s[0:1]
	v_cmp_gt_u16_e32 vcc, 4, v15
	s_waitcnt lgkmcnt(0)
	s_barrier
	s_and_saveexec_b64 s[0:1], vcc
	s_cbranch_execz .LBB423_17
; %bb.16:
	ds_read2_b64 v[8:11], v7 offset1:4
	s_waitcnt lgkmcnt(0)
	v_add_f32_e32 v8, v10, v8
	v_add_f32_e32 v9, v11, v9
	ds_write_b64 v7, v[8:9]
.LBB423_17:
	s_or_b64 exec, exec, s[0:1]
	v_cmp_gt_u16_e32 vcc, 2, v15
	s_waitcnt lgkmcnt(0)
	s_barrier
	s_and_saveexec_b64 s[0:1], vcc
	s_cbranch_execz .LBB423_19
; %bb.18:
	ds_read2_b64 v[8:11], v7 offset1:2
	s_waitcnt lgkmcnt(0)
	v_add_f32_e32 v8, v10, v8
	v_add_f32_e32 v9, v11, v9
	ds_write_b64 v7, v[8:9]
.LBB423_19:
	s_or_b64 exec, exec, s[0:1]
	v_cmp_gt_u32_e32 vcc, 24, v0
	v_mov_b32_e32 v9, v6
	v_mov_b32_e32 v8, v5
	s_waitcnt lgkmcnt(0)
	s_barrier
	s_and_saveexec_b64 s[0:1], vcc
	s_cbranch_execz .LBB423_21
; %bb.20:
	s_movk_i32 s2, 0xb8
	v_mad_u32_u24 v8, v0, s2, v7
	ds_read2_b64 v[8:11], v8 offset1:1
	s_waitcnt lgkmcnt(0)
	v_add_f32_e32 v8, v10, v8
	v_add_f32_e32 v9, v11, v9
.LBB423_21:
	s_or_b64 exec, exec, s[0:1]
	s_branch .LBB423_34
.LBB423_22:
                                        ; implicit-def: $vgpr9
                                        ; implicit-def: $vgpr8
	s_cbranch_execz .LBB423_34
; %bb.23:
	s_movk_i32 s0, 0xc0
	v_cmp_gt_u32_e32 vcc, s0, v0
	s_and_saveexec_b64 s[0:1], vcc
	s_cbranch_execz .LBB423_25
; %bb.24:
	ds_read2st64_b64 v[8:11], v7 offset1:6
	s_waitcnt lgkmcnt(0)
	v_add_f32_e32 v8, v10, v8
	v_add_f32_e32 v9, v11, v9
	ds_write_b64 v7, v[8:9]
.LBB423_25:
	s_or_b64 exec, exec, s[0:1]
	s_waitcnt lgkmcnt(0)
	s_barrier
	s_and_saveexec_b64 s[0:1], vcc
	s_cbranch_execz .LBB423_27
; %bb.26:
	ds_read2st64_b64 v[8:11], v7 offset1:3
	s_waitcnt lgkmcnt(0)
	v_add_f32_e32 v8, v10, v8
	v_add_f32_e32 v9, v11, v9
	ds_write_b64 v7, v[8:9]
.LBB423_27:
	s_or_b64 exec, exec, s[0:1]
	s_movk_i32 s0, 0x60
	v_cmp_gt_u32_e32 vcc, s0, v0
	s_waitcnt lgkmcnt(0)
	s_barrier
	s_and_saveexec_b64 s[0:1], vcc
	s_cbranch_execz .LBB423_29
; %bb.28:
	ds_read2_b64 v[8:11], v7 offset1:96
	s_waitcnt lgkmcnt(0)
	v_add_f32_e32 v8, v10, v8
	v_add_f32_e32 v9, v11, v9
	ds_write_b64 v7, v[8:9]
.LBB423_29:
	s_or_b64 exec, exec, s[0:1]
	v_cmp_gt_u32_e32 vcc, 48, v0
	s_waitcnt lgkmcnt(0)
	s_barrier
	s_and_saveexec_b64 s[0:1], vcc
	s_cbranch_execz .LBB423_31
; %bb.30:
	ds_read2_b64 v[8:11], v7 offset1:48
	s_waitcnt lgkmcnt(0)
	v_add_f32_e32 v8, v10, v8
	v_add_f32_e32 v9, v11, v9
	ds_write_b64 v7, v[8:9]
.LBB423_31:
	s_or_b64 exec, exec, s[0:1]
	v_cmp_gt_u32_e32 vcc, 24, v0
	s_waitcnt lgkmcnt(0)
	s_and_saveexec_b64 s[0:1], vcc
	s_cbranch_execz .LBB423_33
; %bb.32:
	ds_read2_b64 v[8:11], v7 offset1:24
	s_waitcnt lgkmcnt(0)
	v_add_f32_e32 v5, v10, v8
	v_add_f32_e32 v6, v11, v9
.LBB423_33:
	s_or_b64 exec, exec, s[0:1]
	v_mov_b32_e32 v9, v6
	v_mov_b32_e32 v8, v5
.LBB423_34:
	v_cmp_gt_u32_e32 vcc, 24, v0
	s_and_b64 exec, exec, vcc
	s_cbranch_execz .LBB423_39
; %bb.35:
	v_cmp_eq_f32_e32 vcc, 0, v1
	v_cmp_eq_f32_e64 s[0:1], 0, v2
	v_mul_f32_e64 v5, v9, -v4
	v_mul_f32_e32 v6, v3, v9
	s_and_b64 s[0:1], vcc, s[0:1]
	v_fmac_f32_e32 v5, v3, v8
	v_fmac_f32_e32 v6, v4, v8
	s_mul_i32 s2, s7, 0xc0
	s_mul_hi_u32 s3, s6, 0xc0
	s_mul_i32 s4, s6, 0xc0
	s_and_saveexec_b64 s[6:7], s[0:1]
	s_xor_b64 s[0:1], exec, s[6:7]
	s_cbranch_execz .LBB423_37
; %bb.36:
	s_add_i32 s5, s3, s2
	s_add_u32 s6, s12, s4
	s_addc_u32 s7, s13, s5
	global_store_dwordx2 v7, v[5:6], s[6:7]
                                        ; implicit-def: $vgpr7
                                        ; implicit-def: $vgpr1_vgpr2
                                        ; implicit-def: $vgpr5
.LBB423_37:
	s_andn2_saveexec_b64 s[0:1], s[0:1]
	s_cbranch_execz .LBB423_39
; %bb.38:
	s_add_i32 s3, s3, s2
	s_add_u32 s0, s12, s4
	s_addc_u32 s1, s13, s3
	global_load_dwordx2 v[3:4], v7, s[0:1]
	s_waitcnt vmcnt(0)
	v_fmac_f32_e32 v5, v1, v3
	v_fmac_f32_e32 v6, v2, v3
	v_fma_f32 v5, -v2, v4, v5
	v_fmac_f32_e32 v6, v1, v4
	global_store_dwordx2 v7, v[5:6], s[0:1]
.LBB423_39:
	s_endpgm
	.section	.rodata,"a",@progbits
	.p2align	6, 0x0
	.amdhsa_kernel _ZN9rocsparseL20bsrxmvn_17_32_kernelILj24E21rocsparse_complex_numIfEllfS2_S2_EEvT2_20rocsparse_direction_NS_24const_host_device_scalarIT0_EES3_PKS3_PKT1_SC_S9_PKT3_PKT4_S7_PT5_21rocsparse_index_base_b
		.amdhsa_group_segment_fixed_size 4608
		.amdhsa_private_segment_fixed_size 0
		.amdhsa_kernarg_size 104
		.amdhsa_user_sgpr_count 6
		.amdhsa_user_sgpr_private_segment_buffer 1
		.amdhsa_user_sgpr_dispatch_ptr 0
		.amdhsa_user_sgpr_queue_ptr 0
		.amdhsa_user_sgpr_kernarg_segment_ptr 1
		.amdhsa_user_sgpr_dispatch_id 0
		.amdhsa_user_sgpr_flat_scratch_init 0
		.amdhsa_user_sgpr_private_segment_size 0
		.amdhsa_uses_dynamic_stack 0
		.amdhsa_system_sgpr_private_segment_wavefront_offset 0
		.amdhsa_system_sgpr_workgroup_id_x 1
		.amdhsa_system_sgpr_workgroup_id_y 0
		.amdhsa_system_sgpr_workgroup_id_z 0
		.amdhsa_system_sgpr_workgroup_info 0
		.amdhsa_system_vgpr_workitem_id 0
		.amdhsa_next_free_vgpr 25
		.amdhsa_next_free_sgpr 61
		.amdhsa_reserve_vcc 1
		.amdhsa_reserve_flat_scratch 0
		.amdhsa_float_round_mode_32 0
		.amdhsa_float_round_mode_16_64 0
		.amdhsa_float_denorm_mode_32 3
		.amdhsa_float_denorm_mode_16_64 3
		.amdhsa_dx10_clamp 1
		.amdhsa_ieee_mode 1
		.amdhsa_fp16_overflow 0
		.amdhsa_exception_fp_ieee_invalid_op 0
		.amdhsa_exception_fp_denorm_src 0
		.amdhsa_exception_fp_ieee_div_zero 0
		.amdhsa_exception_fp_ieee_overflow 0
		.amdhsa_exception_fp_ieee_underflow 0
		.amdhsa_exception_fp_ieee_inexact 0
		.amdhsa_exception_int_div_zero 0
	.end_amdhsa_kernel
	.section	.text._ZN9rocsparseL20bsrxmvn_17_32_kernelILj24E21rocsparse_complex_numIfEllfS2_S2_EEvT2_20rocsparse_direction_NS_24const_host_device_scalarIT0_EES3_PKS3_PKT1_SC_S9_PKT3_PKT4_S7_PT5_21rocsparse_index_base_b,"axG",@progbits,_ZN9rocsparseL20bsrxmvn_17_32_kernelILj24E21rocsparse_complex_numIfEllfS2_S2_EEvT2_20rocsparse_direction_NS_24const_host_device_scalarIT0_EES3_PKS3_PKT1_SC_S9_PKT3_PKT4_S7_PT5_21rocsparse_index_base_b,comdat
.Lfunc_end423:
	.size	_ZN9rocsparseL20bsrxmvn_17_32_kernelILj24E21rocsparse_complex_numIfEllfS2_S2_EEvT2_20rocsparse_direction_NS_24const_host_device_scalarIT0_EES3_PKS3_PKT1_SC_S9_PKT3_PKT4_S7_PT5_21rocsparse_index_base_b, .Lfunc_end423-_ZN9rocsparseL20bsrxmvn_17_32_kernelILj24E21rocsparse_complex_numIfEllfS2_S2_EEvT2_20rocsparse_direction_NS_24const_host_device_scalarIT0_EES3_PKS3_PKT1_SC_S9_PKT3_PKT4_S7_PT5_21rocsparse_index_base_b
                                        ; -- End function
	.set _ZN9rocsparseL20bsrxmvn_17_32_kernelILj24E21rocsparse_complex_numIfEllfS2_S2_EEvT2_20rocsparse_direction_NS_24const_host_device_scalarIT0_EES3_PKS3_PKT1_SC_S9_PKT3_PKT4_S7_PT5_21rocsparse_index_base_b.num_vgpr, 20
	.set _ZN9rocsparseL20bsrxmvn_17_32_kernelILj24E21rocsparse_complex_numIfEllfS2_S2_EEvT2_20rocsparse_direction_NS_24const_host_device_scalarIT0_EES3_PKS3_PKT1_SC_S9_PKT3_PKT4_S7_PT5_21rocsparse_index_base_b.num_agpr, 0
	.set _ZN9rocsparseL20bsrxmvn_17_32_kernelILj24E21rocsparse_complex_numIfEllfS2_S2_EEvT2_20rocsparse_direction_NS_24const_host_device_scalarIT0_EES3_PKS3_PKT1_SC_S9_PKT3_PKT4_S7_PT5_21rocsparse_index_base_b.numbered_sgpr, 22
	.set _ZN9rocsparseL20bsrxmvn_17_32_kernelILj24E21rocsparse_complex_numIfEllfS2_S2_EEvT2_20rocsparse_direction_NS_24const_host_device_scalarIT0_EES3_PKS3_PKT1_SC_S9_PKT3_PKT4_S7_PT5_21rocsparse_index_base_b.num_named_barrier, 0
	.set _ZN9rocsparseL20bsrxmvn_17_32_kernelILj24E21rocsparse_complex_numIfEllfS2_S2_EEvT2_20rocsparse_direction_NS_24const_host_device_scalarIT0_EES3_PKS3_PKT1_SC_S9_PKT3_PKT4_S7_PT5_21rocsparse_index_base_b.private_seg_size, 0
	.set _ZN9rocsparseL20bsrxmvn_17_32_kernelILj24E21rocsparse_complex_numIfEllfS2_S2_EEvT2_20rocsparse_direction_NS_24const_host_device_scalarIT0_EES3_PKS3_PKT1_SC_S9_PKT3_PKT4_S7_PT5_21rocsparse_index_base_b.uses_vcc, 1
	.set _ZN9rocsparseL20bsrxmvn_17_32_kernelILj24E21rocsparse_complex_numIfEllfS2_S2_EEvT2_20rocsparse_direction_NS_24const_host_device_scalarIT0_EES3_PKS3_PKT1_SC_S9_PKT3_PKT4_S7_PT5_21rocsparse_index_base_b.uses_flat_scratch, 0
	.set _ZN9rocsparseL20bsrxmvn_17_32_kernelILj24E21rocsparse_complex_numIfEllfS2_S2_EEvT2_20rocsparse_direction_NS_24const_host_device_scalarIT0_EES3_PKS3_PKT1_SC_S9_PKT3_PKT4_S7_PT5_21rocsparse_index_base_b.has_dyn_sized_stack, 0
	.set _ZN9rocsparseL20bsrxmvn_17_32_kernelILj24E21rocsparse_complex_numIfEllfS2_S2_EEvT2_20rocsparse_direction_NS_24const_host_device_scalarIT0_EES3_PKS3_PKT1_SC_S9_PKT3_PKT4_S7_PT5_21rocsparse_index_base_b.has_recursion, 0
	.set _ZN9rocsparseL20bsrxmvn_17_32_kernelILj24E21rocsparse_complex_numIfEllfS2_S2_EEvT2_20rocsparse_direction_NS_24const_host_device_scalarIT0_EES3_PKS3_PKT1_SC_S9_PKT3_PKT4_S7_PT5_21rocsparse_index_base_b.has_indirect_call, 0
	.section	.AMDGPU.csdata,"",@progbits
; Kernel info:
; codeLenInByte = 1468
; TotalNumSgprs: 26
; NumVgprs: 20
; ScratchSize: 0
; MemoryBound: 0
; FloatMode: 240
; IeeeMode: 1
; LDSByteSize: 4608 bytes/workgroup (compile time only)
; SGPRBlocks: 8
; VGPRBlocks: 6
; NumSGPRsForWavesPerEU: 65
; NumVGPRsForWavesPerEU: 25
; Occupancy: 9
; WaveLimiterHint : 1
; COMPUTE_PGM_RSRC2:SCRATCH_EN: 0
; COMPUTE_PGM_RSRC2:USER_SGPR: 6
; COMPUTE_PGM_RSRC2:TRAP_HANDLER: 0
; COMPUTE_PGM_RSRC2:TGID_X_EN: 1
; COMPUTE_PGM_RSRC2:TGID_Y_EN: 0
; COMPUTE_PGM_RSRC2:TGID_Z_EN: 0
; COMPUTE_PGM_RSRC2:TIDIG_COMP_CNT: 0
	.section	.text._ZN9rocsparseL20bsrxmvn_17_32_kernelILj25E21rocsparse_complex_numIfEllfS2_S2_EEvT2_20rocsparse_direction_NS_24const_host_device_scalarIT0_EES3_PKS3_PKT1_SC_S9_PKT3_PKT4_S7_PT5_21rocsparse_index_base_b,"axG",@progbits,_ZN9rocsparseL20bsrxmvn_17_32_kernelILj25E21rocsparse_complex_numIfEllfS2_S2_EEvT2_20rocsparse_direction_NS_24const_host_device_scalarIT0_EES3_PKS3_PKT1_SC_S9_PKT3_PKT4_S7_PT5_21rocsparse_index_base_b,comdat
	.globl	_ZN9rocsparseL20bsrxmvn_17_32_kernelILj25E21rocsparse_complex_numIfEllfS2_S2_EEvT2_20rocsparse_direction_NS_24const_host_device_scalarIT0_EES3_PKS3_PKT1_SC_S9_PKT3_PKT4_S7_PT5_21rocsparse_index_base_b ; -- Begin function _ZN9rocsparseL20bsrxmvn_17_32_kernelILj25E21rocsparse_complex_numIfEllfS2_S2_EEvT2_20rocsparse_direction_NS_24const_host_device_scalarIT0_EES3_PKS3_PKT1_SC_S9_PKT3_PKT4_S7_PT5_21rocsparse_index_base_b
	.p2align	8
	.type	_ZN9rocsparseL20bsrxmvn_17_32_kernelILj25E21rocsparse_complex_numIfEllfS2_S2_EEvT2_20rocsparse_direction_NS_24const_host_device_scalarIT0_EES3_PKS3_PKT1_SC_S9_PKT3_PKT4_S7_PT5_21rocsparse_index_base_b,@function
_ZN9rocsparseL20bsrxmvn_17_32_kernelILj25E21rocsparse_complex_numIfEllfS2_S2_EEvT2_20rocsparse_direction_NS_24const_host_device_scalarIT0_EES3_PKS3_PKT1_SC_S9_PKT3_PKT4_S7_PT5_21rocsparse_index_base_b: ; @_ZN9rocsparseL20bsrxmvn_17_32_kernelILj25E21rocsparse_complex_numIfEllfS2_S2_EEvT2_20rocsparse_direction_NS_24const_host_device_scalarIT0_EES3_PKS3_PKT1_SC_S9_PKT3_PKT4_S7_PT5_21rocsparse_index_base_b
; %bb.0:
	s_load_dwordx2 s[0:1], s[4:5], 0x10
	s_load_dwordx2 s[14:15], s[4:5], 0x60
	s_add_u32 s7, s4, 16
	s_addc_u32 s8, s5, 0
	s_add_u32 s9, s4, 0x50
	s_load_dwordx2 s[2:3], s[4:5], 0x50
	s_addc_u32 s10, s5, 0
	s_waitcnt lgkmcnt(0)
	s_bitcmp1_b32 s15, 0
	s_cselect_b32 s1, s8, s1
	s_cselect_b32 s0, s7, s0
	v_mov_b32_e32 v1, s0
	v_mov_b32_e32 v2, s1
	flat_load_dwordx2 v[3:4], v[1:2]
	s_cselect_b32 s0, s10, s3
	s_cselect_b32 s1, s9, s2
	v_mov_b32_e32 v1, s1
	v_mov_b32_e32 v2, s0
	flat_load_dwordx2 v[1:2], v[1:2]
	s_waitcnt vmcnt(0) lgkmcnt(0)
	v_cmp_eq_f32_e32 vcc, 0, v3
	v_cmp_eq_f32_e64 s[0:1], 0, v4
	s_and_b64 s[8:9], vcc, s[0:1]
	s_mov_b64 s[0:1], -1
	s_and_saveexec_b64 s[2:3], s[8:9]
; %bb.1:
	v_cmp_neq_f32_e32 vcc, 1.0, v1
	v_cmp_neq_f32_e64 s[0:1], 0, v2
	s_or_b64 s[0:1], vcc, s[0:1]
	s_orn2_b64 s[0:1], s[0:1], exec
; %bb.2:
	s_or_b64 exec, exec, s[2:3]
	s_and_saveexec_b64 s[2:3], s[0:1]
	s_cbranch_execz .LBB424_39
; %bb.3:
	s_load_dwordx4 s[0:3], s[4:5], 0x20
	s_load_dwordx2 s[8:9], s[4:5], 0x30
	s_mov_b32 s7, 0
	s_waitcnt lgkmcnt(0)
	s_cmp_eq_u64 s[0:1], 0
	s_cbranch_scc1 .LBB424_5
; %bb.4:
	s_lshl_b64 s[6:7], s[6:7], 3
	s_add_u32 s0, s0, s6
	s_addc_u32 s1, s1, s7
	s_load_dwordx2 s[0:1], s[0:1], 0x0
	s_waitcnt lgkmcnt(0)
	s_sub_u32 s6, s0, s14
	s_subb_u32 s7, s1, 0
.LBB424_5:
	s_load_dword s10, s[4:5], 0x8
	s_load_dwordx2 s[12:13], s[4:5], 0x58
	v_mul_u32_u24_e32 v7, 0xa3e, v0
	v_mov_b32_e32 v5, 25
	v_mul_lo_u16_sdwa v5, v7, v5 dst_sel:DWORD dst_unused:UNUSED_PAD src0_sel:WORD_1 src1_sel:DWORD
	s_waitcnt lgkmcnt(0)
	s_cmp_eq_u32 s10, 1
	s_cselect_b64 s[0:1], -1, 0
	s_cmp_lg_u32 s10, 1
	s_cselect_b64 s[16:17], -1, 0
	s_lshl_b64 s[10:11], s[6:7], 3
	s_add_u32 s20, s2, s10
	s_addc_u32 s21, s3, s11
	s_add_u32 s2, s20, 8
	s_addc_u32 s3, s21, 0
	;; [unrolled: 2-line block ×3, first 2 shown]
	s_cmp_eq_u64 s[8:9], 0
	s_cselect_b32 s9, s3, s11
	s_cselect_b32 s8, s2, s10
	s_load_dwordx2 s[2:3], s[8:9], 0x0
	s_load_dwordx2 s[18:19], s[20:21], 0x0
	v_sub_u16_e32 v15, v0, v5
	s_waitcnt lgkmcnt(0)
	v_mov_b32_e32 v6, s3
	v_mov_b32_e32 v5, s2
	v_cmp_ge_i64_e32 vcc, s[18:19], v[5:6]
	v_mov_b32_e32 v6, 0
	v_mov_b32_e32 v5, 0
	s_cbranch_vccnz .LBB424_10
; %bb.6:
	s_load_dwordx4 s[8:11], s[4:5], 0x38
	s_load_dwordx2 s[20:21], s[4:5], 0x48
	s_mov_b32 s4, 0xffff
	s_movk_i32 s5, 0x271
	v_and_b32_sdwa v5, s4, v7 dst_sel:DWORD dst_unused:UNUSED_PAD src0_sel:DWORD src1_sel:WORD_1
	s_sub_u32 s2, s2, s14
	v_subrev_u32_e32 v6, 25, v5
	v_cmp_gt_u32_e32 vcc, s5, v0
	s_subb_u32 s3, s3, 0
	v_cndmask_b32_e32 v5, v6, v5, vcc
	s_sub_u32 s4, s18, s14
	v_cndmask_b32_e64 v5, v15, v5, s[0:1]
	v_mov_b32_e32 v6, 0
	s_subb_u32 s5, s19, 0
	v_lshlrev_b64 v[7:8], 3, v[5:6]
	s_mul_i32 s0, s5, 0x9c4
	s_mul_hi_u32 s1, s4, 0x9c4
	s_add_i32 s1, s1, s0
	s_mul_i32 s0, s4, 0x9c4
	s_waitcnt lgkmcnt(0)
	v_mov_b32_e32 v5, s21
	v_add_co_u32_e32 v7, vcc, s20, v7
	s_add_u32 s0, s10, s0
	v_addc_co_u32_e32 v8, vcc, v5, v8, vcc
	s_addc_u32 s1, s11, s1
	v_lshlrev_b32_e32 v5, 2, v0
	v_mov_b32_e32 v10, s1
	v_add_co_u32_e32 v9, vcc, s0, v5
	v_addc_co_u32_e32 v10, vcc, 0, v10, vcc
	s_movk_i32 s0, 0x270
	v_cmp_lt_u32_e32 vcc, s0, v0
	v_cndmask_b32_e64 v16, 0, 1, vcc
	v_mov_b32_e32 v5, s19
	v_add_co_u32_e32 v11, vcc, s18, v16
	v_addc_co_u32_e32 v5, vcc, 0, v5, vcc
	v_subrev_co_u32_e32 v11, vcc, s14, v11
	v_subbrev_co_u32_e32 v12, vcc, 0, v5, vcc
	v_lshlrev_b64 v[11:12], 3, v[11:12]
	v_mov_b32_e32 v5, s9
	v_add_co_u32_e32 v11, vcc, s8, v11
	v_mov_b32_e32 v14, s3
	v_addc_co_u32_e32 v12, vcc, v5, v12, vcc
	s_movk_i32 s8, 0xc8
	v_mov_b32_e32 v13, s2
	v_mov_b32_e32 v5, v6
	s_branch .LBB424_8
.LBB424_7:                              ;   in Loop: Header=BB424_8 Depth=1
	s_or_b64 exec, exec, s[0:1]
	s_add_u32 s4, s4, 1
	s_addc_u32 s5, s5, 0
	v_cmp_lt_i64_e32 vcc, s[4:5], v[13:14]
	v_add_co_u32_e64 v11, s[0:1], 8, v11
	v_addc_co_u32_e64 v12, s[0:1], 0, v12, s[0:1]
	s_cbranch_vccz .LBB424_10
.LBB424_8:                              ; =>This Inner Loop Header: Depth=1
	v_mov_b32_e32 v18, s5
	v_add_co_u32_e32 v17, vcc, s4, v16
	v_addc_co_u32_e32 v18, vcc, 0, v18, vcc
	v_cmp_gt_i64_e32 vcc, s[2:3], v[17:18]
	s_and_saveexec_b64 s[0:1], vcc
	s_cbranch_execz .LBB424_7
; %bb.9:                                ;   in Loop: Header=BB424_8 Depth=1
	global_load_dwordx2 v[17:18], v[11:12], off
	s_waitcnt vmcnt(0)
	v_subrev_co_u32_e32 v17, vcc, s14, v17
	v_subbrev_co_u32_e32 v19, vcc, 0, v18, vcc
	v_mad_u64_u32 v[17:18], s[10:11], v17, s8, v[7:8]
	v_mad_u64_u32 v[18:19], s[10:11], v19, s8, v[18:19]
	global_load_dword v19, v[9:10], off
	s_nop 0
	global_load_dwordx2 v[17:18], v[17:18], off
	v_add_co_u32_e32 v9, vcc, 0x9c4, v9
	v_addc_co_u32_e32 v10, vcc, 0, v10, vcc
	s_waitcnt vmcnt(0)
	v_fmac_f32_e32 v5, v19, v17
	v_fmac_f32_e32 v6, 0, v17
	v_fmac_f32_e32 v5, 0x80000000, v18
	v_fmac_f32_e32 v6, v19, v18
	s_branch .LBB424_7
.LBB424_10:
	v_lshlrev_b32_e32 v7, 3, v0
	s_and_b64 vcc, exec, s[16:17]
	ds_write_b64 v7, v[5:6]
	s_waitcnt lgkmcnt(0)
	s_barrier
	s_cbranch_vccz .LBB424_22
; %bb.11:
	v_cmp_gt_u16_e32 vcc, 9, v15
	s_and_saveexec_b64 s[0:1], vcc
	s_cbranch_execz .LBB424_13
; %bb.12:
	ds_read2_b64 v[8:11], v7 offset1:16
	s_waitcnt lgkmcnt(0)
	v_add_f32_e32 v8, v10, v8
	v_add_f32_e32 v9, v11, v9
	ds_write_b64 v7, v[8:9]
.LBB424_13:
	s_or_b64 exec, exec, s[0:1]
	v_cmp_gt_u16_e32 vcc, 8, v15
	s_waitcnt lgkmcnt(0)
	s_barrier
	s_and_saveexec_b64 s[0:1], vcc
	s_cbranch_execz .LBB424_15
; %bb.14:
	ds_read2_b64 v[8:11], v7 offset1:8
	s_waitcnt lgkmcnt(0)
	v_add_f32_e32 v8, v10, v8
	v_add_f32_e32 v9, v11, v9
	ds_write_b64 v7, v[8:9]
.LBB424_15:
	s_or_b64 exec, exec, s[0:1]
	v_cmp_gt_u16_e32 vcc, 4, v15
	s_waitcnt lgkmcnt(0)
	s_barrier
	;; [unrolled: 13-line block ×3, first 2 shown]
	s_and_saveexec_b64 s[0:1], vcc
	s_cbranch_execz .LBB424_19
; %bb.18:
	ds_read2_b64 v[8:11], v7 offset1:2
	s_waitcnt lgkmcnt(0)
	v_add_f32_e32 v8, v10, v8
	v_add_f32_e32 v9, v11, v9
	ds_write_b64 v7, v[8:9]
.LBB424_19:
	s_or_b64 exec, exec, s[0:1]
	v_cmp_gt_u32_e32 vcc, 25, v0
	v_mov_b32_e32 v9, v6
	v_mov_b32_e32 v8, v5
	s_waitcnt lgkmcnt(0)
	s_barrier
	s_and_saveexec_b64 s[0:1], vcc
	s_cbranch_execz .LBB424_21
; %bb.20:
	s_movk_i32 s2, 0xc0
	v_mad_u32_u24 v8, v0, s2, v7
	ds_read2_b64 v[8:11], v8 offset1:1
	s_waitcnt lgkmcnt(0)
	v_add_f32_e32 v8, v10, v8
	v_add_f32_e32 v9, v11, v9
.LBB424_21:
	s_or_b64 exec, exec, s[0:1]
	s_branch .LBB424_34
.LBB424_22:
                                        ; implicit-def: $vgpr9
                                        ; implicit-def: $vgpr8
	s_cbranch_execz .LBB424_34
; %bb.23:
	s_movk_i32 s0, 0xe1
	v_cmp_gt_u32_e32 vcc, s0, v0
	s_and_saveexec_b64 s[0:1], vcc
	s_cbranch_execz .LBB424_25
; %bb.24:
	ds_read_b64 v[8:9], v7 offset:3200
	ds_read_b64 v[10:11], v7
	s_waitcnt lgkmcnt(0)
	v_add_f32_e32 v8, v8, v10
	v_add_f32_e32 v9, v9, v11
	ds_write_b64 v7, v[8:9]
.LBB424_25:
	s_or_b64 exec, exec, s[0:1]
	s_movk_i32 s0, 0xc8
	v_cmp_gt_u32_e32 vcc, s0, v0
	s_waitcnt lgkmcnt(0)
	s_barrier
	s_and_saveexec_b64 s[0:1], vcc
	s_cbranch_execz .LBB424_27
; %bb.26:
	ds_read2_b64 v[8:11], v7 offset1:200
	s_waitcnt lgkmcnt(0)
	v_add_f32_e32 v8, v10, v8
	v_add_f32_e32 v9, v11, v9
	ds_write_b64 v7, v[8:9]
.LBB424_27:
	s_or_b64 exec, exec, s[0:1]
	s_movk_i32 s0, 0x64
	v_cmp_gt_u32_e32 vcc, s0, v0
	s_waitcnt lgkmcnt(0)
	s_barrier
	s_and_saveexec_b64 s[0:1], vcc
	s_cbranch_execz .LBB424_29
; %bb.28:
	ds_read2_b64 v[8:11], v7 offset1:100
	s_waitcnt lgkmcnt(0)
	v_add_f32_e32 v8, v10, v8
	v_add_f32_e32 v9, v11, v9
	ds_write_b64 v7, v[8:9]
.LBB424_29:
	s_or_b64 exec, exec, s[0:1]
	v_cmp_gt_u32_e32 vcc, 50, v0
	s_waitcnt lgkmcnt(0)
	s_barrier
	s_and_saveexec_b64 s[0:1], vcc
	s_cbranch_execz .LBB424_31
; %bb.30:
	ds_read2_b64 v[8:11], v7 offset1:50
	s_waitcnt lgkmcnt(0)
	v_add_f32_e32 v8, v10, v8
	v_add_f32_e32 v9, v11, v9
	ds_write_b64 v7, v[8:9]
.LBB424_31:
	s_or_b64 exec, exec, s[0:1]
	v_cmp_gt_u32_e32 vcc, 25, v0
	s_waitcnt lgkmcnt(0)
	s_and_saveexec_b64 s[0:1], vcc
	s_cbranch_execz .LBB424_33
; %bb.32:
	ds_read2_b64 v[8:11], v7 offset1:25
	s_waitcnt lgkmcnt(0)
	v_add_f32_e32 v5, v10, v8
	v_add_f32_e32 v6, v11, v9
.LBB424_33:
	s_or_b64 exec, exec, s[0:1]
	v_mov_b32_e32 v9, v6
	v_mov_b32_e32 v8, v5
.LBB424_34:
	v_cmp_gt_u32_e32 vcc, 25, v0
	s_and_b64 exec, exec, vcc
	s_cbranch_execz .LBB424_39
; %bb.35:
	v_cmp_eq_f32_e32 vcc, 0, v1
	v_cmp_eq_f32_e64 s[0:1], 0, v2
	v_mul_f32_e64 v5, v9, -v4
	v_mul_f32_e32 v6, v3, v9
	s_and_b64 s[0:1], vcc, s[0:1]
	v_fmac_f32_e32 v5, v3, v8
	v_fmac_f32_e32 v6, v4, v8
	s_mul_i32 s2, s7, 0xc8
	s_mul_hi_u32 s3, s6, 0xc8
	s_mul_i32 s4, s6, 0xc8
	s_and_saveexec_b64 s[6:7], s[0:1]
	s_xor_b64 s[0:1], exec, s[6:7]
	s_cbranch_execz .LBB424_37
; %bb.36:
	s_add_i32 s5, s3, s2
	s_add_u32 s6, s12, s4
	s_addc_u32 s7, s13, s5
	global_store_dwordx2 v7, v[5:6], s[6:7]
                                        ; implicit-def: $vgpr7
                                        ; implicit-def: $vgpr1_vgpr2
                                        ; implicit-def: $vgpr5
.LBB424_37:
	s_andn2_saveexec_b64 s[0:1], s[0:1]
	s_cbranch_execz .LBB424_39
; %bb.38:
	s_add_i32 s3, s3, s2
	s_add_u32 s0, s12, s4
	s_addc_u32 s1, s13, s3
	global_load_dwordx2 v[3:4], v7, s[0:1]
	s_waitcnt vmcnt(0)
	v_fmac_f32_e32 v5, v1, v3
	v_fmac_f32_e32 v6, v2, v3
	v_fma_f32 v5, -v2, v4, v5
	v_fmac_f32_e32 v6, v1, v4
	global_store_dwordx2 v7, v[5:6], s[0:1]
.LBB424_39:
	s_endpgm
	.section	.rodata,"a",@progbits
	.p2align	6, 0x0
	.amdhsa_kernel _ZN9rocsparseL20bsrxmvn_17_32_kernelILj25E21rocsparse_complex_numIfEllfS2_S2_EEvT2_20rocsparse_direction_NS_24const_host_device_scalarIT0_EES3_PKS3_PKT1_SC_S9_PKT3_PKT4_S7_PT5_21rocsparse_index_base_b
		.amdhsa_group_segment_fixed_size 5000
		.amdhsa_private_segment_fixed_size 0
		.amdhsa_kernarg_size 104
		.amdhsa_user_sgpr_count 6
		.amdhsa_user_sgpr_private_segment_buffer 1
		.amdhsa_user_sgpr_dispatch_ptr 0
		.amdhsa_user_sgpr_queue_ptr 0
		.amdhsa_user_sgpr_kernarg_segment_ptr 1
		.amdhsa_user_sgpr_dispatch_id 0
		.amdhsa_user_sgpr_flat_scratch_init 0
		.amdhsa_user_sgpr_private_segment_size 0
		.amdhsa_uses_dynamic_stack 0
		.amdhsa_system_sgpr_private_segment_wavefront_offset 0
		.amdhsa_system_sgpr_workgroup_id_x 1
		.amdhsa_system_sgpr_workgroup_id_y 0
		.amdhsa_system_sgpr_workgroup_id_z 0
		.amdhsa_system_sgpr_workgroup_info 0
		.amdhsa_system_vgpr_workitem_id 0
		.amdhsa_next_free_vgpr 20
		.amdhsa_next_free_sgpr 22
		.amdhsa_reserve_vcc 1
		.amdhsa_reserve_flat_scratch 0
		.amdhsa_float_round_mode_32 0
		.amdhsa_float_round_mode_16_64 0
		.amdhsa_float_denorm_mode_32 3
		.amdhsa_float_denorm_mode_16_64 3
		.amdhsa_dx10_clamp 1
		.amdhsa_ieee_mode 1
		.amdhsa_fp16_overflow 0
		.amdhsa_exception_fp_ieee_invalid_op 0
		.amdhsa_exception_fp_denorm_src 0
		.amdhsa_exception_fp_ieee_div_zero 0
		.amdhsa_exception_fp_ieee_overflow 0
		.amdhsa_exception_fp_ieee_underflow 0
		.amdhsa_exception_fp_ieee_inexact 0
		.amdhsa_exception_int_div_zero 0
	.end_amdhsa_kernel
	.section	.text._ZN9rocsparseL20bsrxmvn_17_32_kernelILj25E21rocsparse_complex_numIfEllfS2_S2_EEvT2_20rocsparse_direction_NS_24const_host_device_scalarIT0_EES3_PKS3_PKT1_SC_S9_PKT3_PKT4_S7_PT5_21rocsparse_index_base_b,"axG",@progbits,_ZN9rocsparseL20bsrxmvn_17_32_kernelILj25E21rocsparse_complex_numIfEllfS2_S2_EEvT2_20rocsparse_direction_NS_24const_host_device_scalarIT0_EES3_PKS3_PKT1_SC_S9_PKT3_PKT4_S7_PT5_21rocsparse_index_base_b,comdat
.Lfunc_end424:
	.size	_ZN9rocsparseL20bsrxmvn_17_32_kernelILj25E21rocsparse_complex_numIfEllfS2_S2_EEvT2_20rocsparse_direction_NS_24const_host_device_scalarIT0_EES3_PKS3_PKT1_SC_S9_PKT3_PKT4_S7_PT5_21rocsparse_index_base_b, .Lfunc_end424-_ZN9rocsparseL20bsrxmvn_17_32_kernelILj25E21rocsparse_complex_numIfEllfS2_S2_EEvT2_20rocsparse_direction_NS_24const_host_device_scalarIT0_EES3_PKS3_PKT1_SC_S9_PKT3_PKT4_S7_PT5_21rocsparse_index_base_b
                                        ; -- End function
	.set _ZN9rocsparseL20bsrxmvn_17_32_kernelILj25E21rocsparse_complex_numIfEllfS2_S2_EEvT2_20rocsparse_direction_NS_24const_host_device_scalarIT0_EES3_PKS3_PKT1_SC_S9_PKT3_PKT4_S7_PT5_21rocsparse_index_base_b.num_vgpr, 20
	.set _ZN9rocsparseL20bsrxmvn_17_32_kernelILj25E21rocsparse_complex_numIfEllfS2_S2_EEvT2_20rocsparse_direction_NS_24const_host_device_scalarIT0_EES3_PKS3_PKT1_SC_S9_PKT3_PKT4_S7_PT5_21rocsparse_index_base_b.num_agpr, 0
	.set _ZN9rocsparseL20bsrxmvn_17_32_kernelILj25E21rocsparse_complex_numIfEllfS2_S2_EEvT2_20rocsparse_direction_NS_24const_host_device_scalarIT0_EES3_PKS3_PKT1_SC_S9_PKT3_PKT4_S7_PT5_21rocsparse_index_base_b.numbered_sgpr, 22
	.set _ZN9rocsparseL20bsrxmvn_17_32_kernelILj25E21rocsparse_complex_numIfEllfS2_S2_EEvT2_20rocsparse_direction_NS_24const_host_device_scalarIT0_EES3_PKS3_PKT1_SC_S9_PKT3_PKT4_S7_PT5_21rocsparse_index_base_b.num_named_barrier, 0
	.set _ZN9rocsparseL20bsrxmvn_17_32_kernelILj25E21rocsparse_complex_numIfEllfS2_S2_EEvT2_20rocsparse_direction_NS_24const_host_device_scalarIT0_EES3_PKS3_PKT1_SC_S9_PKT3_PKT4_S7_PT5_21rocsparse_index_base_b.private_seg_size, 0
	.set _ZN9rocsparseL20bsrxmvn_17_32_kernelILj25E21rocsparse_complex_numIfEllfS2_S2_EEvT2_20rocsparse_direction_NS_24const_host_device_scalarIT0_EES3_PKS3_PKT1_SC_S9_PKT3_PKT4_S7_PT5_21rocsparse_index_base_b.uses_vcc, 1
	.set _ZN9rocsparseL20bsrxmvn_17_32_kernelILj25E21rocsparse_complex_numIfEllfS2_S2_EEvT2_20rocsparse_direction_NS_24const_host_device_scalarIT0_EES3_PKS3_PKT1_SC_S9_PKT3_PKT4_S7_PT5_21rocsparse_index_base_b.uses_flat_scratch, 0
	.set _ZN9rocsparseL20bsrxmvn_17_32_kernelILj25E21rocsparse_complex_numIfEllfS2_S2_EEvT2_20rocsparse_direction_NS_24const_host_device_scalarIT0_EES3_PKS3_PKT1_SC_S9_PKT3_PKT4_S7_PT5_21rocsparse_index_base_b.has_dyn_sized_stack, 0
	.set _ZN9rocsparseL20bsrxmvn_17_32_kernelILj25E21rocsparse_complex_numIfEllfS2_S2_EEvT2_20rocsparse_direction_NS_24const_host_device_scalarIT0_EES3_PKS3_PKT1_SC_S9_PKT3_PKT4_S7_PT5_21rocsparse_index_base_b.has_recursion, 0
	.set _ZN9rocsparseL20bsrxmvn_17_32_kernelILj25E21rocsparse_complex_numIfEllfS2_S2_EEvT2_20rocsparse_direction_NS_24const_host_device_scalarIT0_EES3_PKS3_PKT1_SC_S9_PKT3_PKT4_S7_PT5_21rocsparse_index_base_b.has_indirect_call, 0
	.section	.AMDGPU.csdata,"",@progbits
; Kernel info:
; codeLenInByte = 1488
; TotalNumSgprs: 26
; NumVgprs: 20
; ScratchSize: 0
; MemoryBound: 0
; FloatMode: 240
; IeeeMode: 1
; LDSByteSize: 5000 bytes/workgroup (compile time only)
; SGPRBlocks: 3
; VGPRBlocks: 4
; NumSGPRsForWavesPerEU: 26
; NumVGPRsForWavesPerEU: 20
; Occupancy: 10
; WaveLimiterHint : 1
; COMPUTE_PGM_RSRC2:SCRATCH_EN: 0
; COMPUTE_PGM_RSRC2:USER_SGPR: 6
; COMPUTE_PGM_RSRC2:TRAP_HANDLER: 0
; COMPUTE_PGM_RSRC2:TGID_X_EN: 1
; COMPUTE_PGM_RSRC2:TGID_Y_EN: 0
; COMPUTE_PGM_RSRC2:TGID_Z_EN: 0
; COMPUTE_PGM_RSRC2:TIDIG_COMP_CNT: 0
	.section	.text._ZN9rocsparseL20bsrxmvn_17_32_kernelILj26E21rocsparse_complex_numIfEllfS2_S2_EEvT2_20rocsparse_direction_NS_24const_host_device_scalarIT0_EES3_PKS3_PKT1_SC_S9_PKT3_PKT4_S7_PT5_21rocsparse_index_base_b,"axG",@progbits,_ZN9rocsparseL20bsrxmvn_17_32_kernelILj26E21rocsparse_complex_numIfEllfS2_S2_EEvT2_20rocsparse_direction_NS_24const_host_device_scalarIT0_EES3_PKS3_PKT1_SC_S9_PKT3_PKT4_S7_PT5_21rocsparse_index_base_b,comdat
	.globl	_ZN9rocsparseL20bsrxmvn_17_32_kernelILj26E21rocsparse_complex_numIfEllfS2_S2_EEvT2_20rocsparse_direction_NS_24const_host_device_scalarIT0_EES3_PKS3_PKT1_SC_S9_PKT3_PKT4_S7_PT5_21rocsparse_index_base_b ; -- Begin function _ZN9rocsparseL20bsrxmvn_17_32_kernelILj26E21rocsparse_complex_numIfEllfS2_S2_EEvT2_20rocsparse_direction_NS_24const_host_device_scalarIT0_EES3_PKS3_PKT1_SC_S9_PKT3_PKT4_S7_PT5_21rocsparse_index_base_b
	.p2align	8
	.type	_ZN9rocsparseL20bsrxmvn_17_32_kernelILj26E21rocsparse_complex_numIfEllfS2_S2_EEvT2_20rocsparse_direction_NS_24const_host_device_scalarIT0_EES3_PKS3_PKT1_SC_S9_PKT3_PKT4_S7_PT5_21rocsparse_index_base_b,@function
_ZN9rocsparseL20bsrxmvn_17_32_kernelILj26E21rocsparse_complex_numIfEllfS2_S2_EEvT2_20rocsparse_direction_NS_24const_host_device_scalarIT0_EES3_PKS3_PKT1_SC_S9_PKT3_PKT4_S7_PT5_21rocsparse_index_base_b: ; @_ZN9rocsparseL20bsrxmvn_17_32_kernelILj26E21rocsparse_complex_numIfEllfS2_S2_EEvT2_20rocsparse_direction_NS_24const_host_device_scalarIT0_EES3_PKS3_PKT1_SC_S9_PKT3_PKT4_S7_PT5_21rocsparse_index_base_b
; %bb.0:
	s_load_dwordx2 s[0:1], s[4:5], 0x10
	s_load_dwordx2 s[14:15], s[4:5], 0x60
	s_add_u32 s7, s4, 16
	s_addc_u32 s8, s5, 0
	s_add_u32 s9, s4, 0x50
	s_load_dwordx2 s[2:3], s[4:5], 0x50
	s_addc_u32 s10, s5, 0
	s_waitcnt lgkmcnt(0)
	s_bitcmp1_b32 s15, 0
	s_cselect_b32 s1, s8, s1
	s_cselect_b32 s0, s7, s0
	v_mov_b32_e32 v1, s0
	v_mov_b32_e32 v2, s1
	flat_load_dwordx2 v[3:4], v[1:2]
	s_cselect_b32 s0, s10, s3
	s_cselect_b32 s1, s9, s2
	v_mov_b32_e32 v1, s1
	v_mov_b32_e32 v2, s0
	flat_load_dwordx2 v[1:2], v[1:2]
	s_waitcnt vmcnt(0) lgkmcnt(0)
	v_cmp_eq_f32_e32 vcc, 0, v3
	v_cmp_eq_f32_e64 s[0:1], 0, v4
	s_and_b64 s[8:9], vcc, s[0:1]
	s_mov_b64 s[0:1], -1
	s_and_saveexec_b64 s[2:3], s[8:9]
; %bb.1:
	v_cmp_neq_f32_e32 vcc, 1.0, v1
	v_cmp_neq_f32_e64 s[0:1], 0, v2
	s_or_b64 s[0:1], vcc, s[0:1]
	s_orn2_b64 s[0:1], s[0:1], exec
; %bb.2:
	s_or_b64 exec, exec, s[2:3]
	s_and_saveexec_b64 s[2:3], s[0:1]
	s_cbranch_execz .LBB425_39
; %bb.3:
	s_load_dwordx4 s[0:3], s[4:5], 0x20
	s_load_dwordx2 s[8:9], s[4:5], 0x30
	s_mov_b32 s7, 0
	s_waitcnt lgkmcnt(0)
	s_cmp_eq_u64 s[0:1], 0
	s_cbranch_scc1 .LBB425_5
; %bb.4:
	s_lshl_b64 s[6:7], s[6:7], 3
	s_add_u32 s0, s0, s6
	s_addc_u32 s1, s1, s7
	s_load_dwordx2 s[0:1], s[0:1], 0x0
	s_waitcnt lgkmcnt(0)
	s_sub_u32 s6, s0, s14
	s_subb_u32 s7, s1, 0
.LBB425_5:
	s_load_dword s10, s[4:5], 0x8
	s_load_dwordx2 s[12:13], s[4:5], 0x58
	v_mul_u32_u24_e32 v7, 0x9d9, v0
	v_mov_b32_e32 v5, 26
	v_mul_lo_u16_sdwa v5, v7, v5 dst_sel:DWORD dst_unused:UNUSED_PAD src0_sel:WORD_1 src1_sel:DWORD
	s_waitcnt lgkmcnt(0)
	s_cmp_eq_u32 s10, 1
	s_cselect_b64 s[0:1], -1, 0
	s_cmp_lg_u32 s10, 1
	s_cselect_b64 s[16:17], -1, 0
	s_lshl_b64 s[10:11], s[6:7], 3
	s_add_u32 s20, s2, s10
	s_addc_u32 s21, s3, s11
	s_add_u32 s2, s20, 8
	s_addc_u32 s3, s21, 0
	;; [unrolled: 2-line block ×3, first 2 shown]
	s_cmp_eq_u64 s[8:9], 0
	s_cselect_b32 s9, s3, s11
	s_cselect_b32 s8, s2, s10
	s_load_dwordx2 s[2:3], s[8:9], 0x0
	s_load_dwordx2 s[18:19], s[20:21], 0x0
	v_sub_u16_e32 v15, v0, v5
	s_waitcnt lgkmcnt(0)
	v_mov_b32_e32 v6, s3
	v_mov_b32_e32 v5, s2
	v_cmp_ge_i64_e32 vcc, s[18:19], v[5:6]
	v_mov_b32_e32 v6, 0
	v_mov_b32_e32 v5, 0
	s_cbranch_vccnz .LBB425_10
; %bb.6:
	s_load_dwordx4 s[8:11], s[4:5], 0x38
	s_load_dwordx2 s[20:21], s[4:5], 0x48
	s_mov_b32 s4, 0xffff
	s_movk_i32 s5, 0x2a4
	v_and_b32_sdwa v5, s4, v7 dst_sel:DWORD dst_unused:UNUSED_PAD src0_sel:DWORD src1_sel:WORD_1
	s_sub_u32 s2, s2, s14
	v_subrev_u32_e32 v6, 26, v5
	v_cmp_gt_u32_e32 vcc, s5, v0
	s_subb_u32 s3, s3, 0
	v_cndmask_b32_e32 v5, v6, v5, vcc
	s_sub_u32 s4, s18, s14
	v_cndmask_b32_e64 v5, v15, v5, s[0:1]
	v_mov_b32_e32 v6, 0
	s_subb_u32 s5, s19, 0
	v_lshlrev_b64 v[7:8], 3, v[5:6]
	s_mul_i32 s0, s5, 0xa90
	s_mul_hi_u32 s1, s4, 0xa90
	s_add_i32 s1, s1, s0
	s_mul_i32 s0, s4, 0xa90
	s_waitcnt lgkmcnt(0)
	v_mov_b32_e32 v5, s21
	v_add_co_u32_e32 v7, vcc, s20, v7
	s_add_u32 s0, s10, s0
	v_addc_co_u32_e32 v8, vcc, v5, v8, vcc
	s_addc_u32 s1, s11, s1
	v_lshlrev_b32_e32 v5, 2, v0
	v_mov_b32_e32 v10, s1
	v_add_co_u32_e32 v9, vcc, s0, v5
	v_addc_co_u32_e32 v10, vcc, 0, v10, vcc
	s_movk_i32 s0, 0x2a3
	v_cmp_lt_u32_e32 vcc, s0, v0
	v_cndmask_b32_e64 v16, 0, 1, vcc
	v_mov_b32_e32 v5, s19
	v_add_co_u32_e32 v11, vcc, s18, v16
	v_addc_co_u32_e32 v5, vcc, 0, v5, vcc
	v_subrev_co_u32_e32 v11, vcc, s14, v11
	v_subbrev_co_u32_e32 v12, vcc, 0, v5, vcc
	v_lshlrev_b64 v[11:12], 3, v[11:12]
	v_mov_b32_e32 v5, s9
	v_add_co_u32_e32 v11, vcc, s8, v11
	v_mov_b32_e32 v14, s3
	v_addc_co_u32_e32 v12, vcc, v5, v12, vcc
	s_movk_i32 s8, 0xd0
	v_mov_b32_e32 v13, s2
	v_mov_b32_e32 v5, v6
	s_branch .LBB425_8
.LBB425_7:                              ;   in Loop: Header=BB425_8 Depth=1
	s_or_b64 exec, exec, s[0:1]
	s_add_u32 s4, s4, 1
	s_addc_u32 s5, s5, 0
	v_cmp_lt_i64_e32 vcc, s[4:5], v[13:14]
	v_add_co_u32_e64 v11, s[0:1], 8, v11
	v_addc_co_u32_e64 v12, s[0:1], 0, v12, s[0:1]
	s_cbranch_vccz .LBB425_10
.LBB425_8:                              ; =>This Inner Loop Header: Depth=1
	v_mov_b32_e32 v18, s5
	v_add_co_u32_e32 v17, vcc, s4, v16
	v_addc_co_u32_e32 v18, vcc, 0, v18, vcc
	v_cmp_gt_i64_e32 vcc, s[2:3], v[17:18]
	s_and_saveexec_b64 s[0:1], vcc
	s_cbranch_execz .LBB425_7
; %bb.9:                                ;   in Loop: Header=BB425_8 Depth=1
	global_load_dwordx2 v[17:18], v[11:12], off
	s_waitcnt vmcnt(0)
	v_subrev_co_u32_e32 v17, vcc, s14, v17
	v_subbrev_co_u32_e32 v19, vcc, 0, v18, vcc
	v_mad_u64_u32 v[17:18], s[10:11], v17, s8, v[7:8]
	v_mad_u64_u32 v[18:19], s[10:11], v19, s8, v[18:19]
	global_load_dword v19, v[9:10], off
	s_nop 0
	global_load_dwordx2 v[17:18], v[17:18], off
	v_add_co_u32_e32 v9, vcc, 0xa90, v9
	v_addc_co_u32_e32 v10, vcc, 0, v10, vcc
	s_waitcnt vmcnt(0)
	v_fmac_f32_e32 v5, v19, v17
	v_fmac_f32_e32 v6, 0, v17
	;; [unrolled: 1-line block ×4, first 2 shown]
	s_branch .LBB425_7
.LBB425_10:
	v_lshlrev_b32_e32 v7, 3, v0
	s_and_b64 vcc, exec, s[16:17]
	ds_write_b64 v7, v[5:6]
	s_waitcnt lgkmcnt(0)
	s_barrier
	s_cbranch_vccz .LBB425_22
; %bb.11:
	v_cmp_gt_u16_e32 vcc, 10, v15
	s_and_saveexec_b64 s[0:1], vcc
	s_cbranch_execz .LBB425_13
; %bb.12:
	ds_read2_b64 v[8:11], v7 offset1:16
	s_waitcnt lgkmcnt(0)
	v_add_f32_e32 v8, v10, v8
	v_add_f32_e32 v9, v11, v9
	ds_write_b64 v7, v[8:9]
.LBB425_13:
	s_or_b64 exec, exec, s[0:1]
	v_cmp_gt_u16_e32 vcc, 8, v15
	s_waitcnt lgkmcnt(0)
	s_barrier
	s_and_saveexec_b64 s[0:1], vcc
	s_cbranch_execz .LBB425_15
; %bb.14:
	ds_read2_b64 v[8:11], v7 offset1:8
	s_waitcnt lgkmcnt(0)
	v_add_f32_e32 v8, v10, v8
	v_add_f32_e32 v9, v11, v9
	ds_write_b64 v7, v[8:9]
.LBB425_15:
	s_or_b64 exec, exec, s[0:1]
	v_cmp_gt_u16_e32 vcc, 4, v15
	s_waitcnt lgkmcnt(0)
	s_barrier
	;; [unrolled: 13-line block ×3, first 2 shown]
	s_and_saveexec_b64 s[0:1], vcc
	s_cbranch_execz .LBB425_19
; %bb.18:
	ds_read2_b64 v[8:11], v7 offset1:2
	s_waitcnt lgkmcnt(0)
	v_add_f32_e32 v8, v10, v8
	v_add_f32_e32 v9, v11, v9
	ds_write_b64 v7, v[8:9]
.LBB425_19:
	s_or_b64 exec, exec, s[0:1]
	v_cmp_gt_u32_e32 vcc, 26, v0
	v_mov_b32_e32 v9, v6
	v_mov_b32_e32 v8, v5
	s_waitcnt lgkmcnt(0)
	s_barrier
	s_and_saveexec_b64 s[0:1], vcc
	s_cbranch_execz .LBB425_21
; %bb.20:
	s_movk_i32 s2, 0xc8
	v_mad_u32_u24 v8, v0, s2, v7
	ds_read2_b64 v[8:11], v8 offset1:1
	s_waitcnt lgkmcnt(0)
	v_add_f32_e32 v8, v10, v8
	v_add_f32_e32 v9, v11, v9
.LBB425_21:
	s_or_b64 exec, exec, s[0:1]
	s_branch .LBB425_34
.LBB425_22:
                                        ; implicit-def: $vgpr9
                                        ; implicit-def: $vgpr8
	s_cbranch_execz .LBB425_34
; %bb.23:
	s_movk_i32 s0, 0x104
	v_cmp_gt_u32_e32 vcc, s0, v0
	s_and_saveexec_b64 s[0:1], vcc
	s_cbranch_execz .LBB425_25
; %bb.24:
	ds_read_b64 v[8:9], v7 offset:3328
	ds_read_b64 v[10:11], v7
	s_waitcnt lgkmcnt(0)
	v_add_f32_e32 v8, v8, v10
	v_add_f32_e32 v9, v9, v11
	ds_write_b64 v7, v[8:9]
.LBB425_25:
	s_or_b64 exec, exec, s[0:1]
	s_movk_i32 s0, 0xd0
	v_cmp_gt_u32_e32 vcc, s0, v0
	s_waitcnt lgkmcnt(0)
	s_barrier
	s_and_saveexec_b64 s[0:1], vcc
	s_cbranch_execz .LBB425_27
; %bb.26:
	ds_read2_b64 v[8:11], v7 offset1:208
	s_waitcnt lgkmcnt(0)
	v_add_f32_e32 v8, v10, v8
	v_add_f32_e32 v9, v11, v9
	ds_write_b64 v7, v[8:9]
.LBB425_27:
	s_or_b64 exec, exec, s[0:1]
	s_movk_i32 s0, 0x68
	v_cmp_gt_u32_e32 vcc, s0, v0
	s_waitcnt lgkmcnt(0)
	s_barrier
	s_and_saveexec_b64 s[0:1], vcc
	s_cbranch_execz .LBB425_29
; %bb.28:
	ds_read2_b64 v[8:11], v7 offset1:104
	s_waitcnt lgkmcnt(0)
	v_add_f32_e32 v8, v10, v8
	v_add_f32_e32 v9, v11, v9
	ds_write_b64 v7, v[8:9]
.LBB425_29:
	s_or_b64 exec, exec, s[0:1]
	v_cmp_gt_u32_e32 vcc, 52, v0
	s_waitcnt lgkmcnt(0)
	s_barrier
	s_and_saveexec_b64 s[0:1], vcc
	s_cbranch_execz .LBB425_31
; %bb.30:
	ds_read2_b64 v[8:11], v7 offset1:52
	s_waitcnt lgkmcnt(0)
	v_add_f32_e32 v8, v10, v8
	v_add_f32_e32 v9, v11, v9
	ds_write_b64 v7, v[8:9]
.LBB425_31:
	s_or_b64 exec, exec, s[0:1]
	v_cmp_gt_u32_e32 vcc, 26, v0
	s_waitcnt lgkmcnt(0)
	s_and_saveexec_b64 s[0:1], vcc
	s_cbranch_execz .LBB425_33
; %bb.32:
	ds_read2_b64 v[8:11], v7 offset1:26
	s_waitcnt lgkmcnt(0)
	v_add_f32_e32 v5, v10, v8
	v_add_f32_e32 v6, v11, v9
.LBB425_33:
	s_or_b64 exec, exec, s[0:1]
	v_mov_b32_e32 v9, v6
	v_mov_b32_e32 v8, v5
.LBB425_34:
	v_cmp_gt_u32_e32 vcc, 26, v0
	s_and_b64 exec, exec, vcc
	s_cbranch_execz .LBB425_39
; %bb.35:
	v_cmp_eq_f32_e32 vcc, 0, v1
	v_cmp_eq_f32_e64 s[0:1], 0, v2
	v_mul_f32_e64 v5, v9, -v4
	v_mul_f32_e32 v6, v3, v9
	s_and_b64 s[0:1], vcc, s[0:1]
	v_fmac_f32_e32 v5, v3, v8
	v_fmac_f32_e32 v6, v4, v8
	s_mul_i32 s2, s7, 0xd0
	s_mul_hi_u32 s3, s6, 0xd0
	s_mul_i32 s4, s6, 0xd0
	s_and_saveexec_b64 s[6:7], s[0:1]
	s_xor_b64 s[0:1], exec, s[6:7]
	s_cbranch_execz .LBB425_37
; %bb.36:
	s_add_i32 s5, s3, s2
	s_add_u32 s6, s12, s4
	s_addc_u32 s7, s13, s5
	global_store_dwordx2 v7, v[5:6], s[6:7]
                                        ; implicit-def: $vgpr7
                                        ; implicit-def: $vgpr1_vgpr2
                                        ; implicit-def: $vgpr5
.LBB425_37:
	s_andn2_saveexec_b64 s[0:1], s[0:1]
	s_cbranch_execz .LBB425_39
; %bb.38:
	s_add_i32 s3, s3, s2
	s_add_u32 s0, s12, s4
	s_addc_u32 s1, s13, s3
	global_load_dwordx2 v[3:4], v7, s[0:1]
	s_waitcnt vmcnt(0)
	v_fmac_f32_e32 v5, v1, v3
	v_fmac_f32_e32 v6, v2, v3
	v_fma_f32 v5, -v2, v4, v5
	v_fmac_f32_e32 v6, v1, v4
	global_store_dwordx2 v7, v[5:6], s[0:1]
.LBB425_39:
	s_endpgm
	.section	.rodata,"a",@progbits
	.p2align	6, 0x0
	.amdhsa_kernel _ZN9rocsparseL20bsrxmvn_17_32_kernelILj26E21rocsparse_complex_numIfEllfS2_S2_EEvT2_20rocsparse_direction_NS_24const_host_device_scalarIT0_EES3_PKS3_PKT1_SC_S9_PKT3_PKT4_S7_PT5_21rocsparse_index_base_b
		.amdhsa_group_segment_fixed_size 5408
		.amdhsa_private_segment_fixed_size 0
		.amdhsa_kernarg_size 104
		.amdhsa_user_sgpr_count 6
		.amdhsa_user_sgpr_private_segment_buffer 1
		.amdhsa_user_sgpr_dispatch_ptr 0
		.amdhsa_user_sgpr_queue_ptr 0
		.amdhsa_user_sgpr_kernarg_segment_ptr 1
		.amdhsa_user_sgpr_dispatch_id 0
		.amdhsa_user_sgpr_flat_scratch_init 0
		.amdhsa_user_sgpr_private_segment_size 0
		.amdhsa_uses_dynamic_stack 0
		.amdhsa_system_sgpr_private_segment_wavefront_offset 0
		.amdhsa_system_sgpr_workgroup_id_x 1
		.amdhsa_system_sgpr_workgroup_id_y 0
		.amdhsa_system_sgpr_workgroup_id_z 0
		.amdhsa_system_sgpr_workgroup_info 0
		.amdhsa_system_vgpr_workitem_id 0
		.amdhsa_next_free_vgpr 25
		.amdhsa_next_free_sgpr 61
		.amdhsa_reserve_vcc 1
		.amdhsa_reserve_flat_scratch 0
		.amdhsa_float_round_mode_32 0
		.amdhsa_float_round_mode_16_64 0
		.amdhsa_float_denorm_mode_32 3
		.amdhsa_float_denorm_mode_16_64 3
		.amdhsa_dx10_clamp 1
		.amdhsa_ieee_mode 1
		.amdhsa_fp16_overflow 0
		.amdhsa_exception_fp_ieee_invalid_op 0
		.amdhsa_exception_fp_denorm_src 0
		.amdhsa_exception_fp_ieee_div_zero 0
		.amdhsa_exception_fp_ieee_overflow 0
		.amdhsa_exception_fp_ieee_underflow 0
		.amdhsa_exception_fp_ieee_inexact 0
		.amdhsa_exception_int_div_zero 0
	.end_amdhsa_kernel
	.section	.text._ZN9rocsparseL20bsrxmvn_17_32_kernelILj26E21rocsparse_complex_numIfEllfS2_S2_EEvT2_20rocsparse_direction_NS_24const_host_device_scalarIT0_EES3_PKS3_PKT1_SC_S9_PKT3_PKT4_S7_PT5_21rocsparse_index_base_b,"axG",@progbits,_ZN9rocsparseL20bsrxmvn_17_32_kernelILj26E21rocsparse_complex_numIfEllfS2_S2_EEvT2_20rocsparse_direction_NS_24const_host_device_scalarIT0_EES3_PKS3_PKT1_SC_S9_PKT3_PKT4_S7_PT5_21rocsparse_index_base_b,comdat
.Lfunc_end425:
	.size	_ZN9rocsparseL20bsrxmvn_17_32_kernelILj26E21rocsparse_complex_numIfEllfS2_S2_EEvT2_20rocsparse_direction_NS_24const_host_device_scalarIT0_EES3_PKS3_PKT1_SC_S9_PKT3_PKT4_S7_PT5_21rocsparse_index_base_b, .Lfunc_end425-_ZN9rocsparseL20bsrxmvn_17_32_kernelILj26E21rocsparse_complex_numIfEllfS2_S2_EEvT2_20rocsparse_direction_NS_24const_host_device_scalarIT0_EES3_PKS3_PKT1_SC_S9_PKT3_PKT4_S7_PT5_21rocsparse_index_base_b
                                        ; -- End function
	.set _ZN9rocsparseL20bsrxmvn_17_32_kernelILj26E21rocsparse_complex_numIfEllfS2_S2_EEvT2_20rocsparse_direction_NS_24const_host_device_scalarIT0_EES3_PKS3_PKT1_SC_S9_PKT3_PKT4_S7_PT5_21rocsparse_index_base_b.num_vgpr, 20
	.set _ZN9rocsparseL20bsrxmvn_17_32_kernelILj26E21rocsparse_complex_numIfEllfS2_S2_EEvT2_20rocsparse_direction_NS_24const_host_device_scalarIT0_EES3_PKS3_PKT1_SC_S9_PKT3_PKT4_S7_PT5_21rocsparse_index_base_b.num_agpr, 0
	.set _ZN9rocsparseL20bsrxmvn_17_32_kernelILj26E21rocsparse_complex_numIfEllfS2_S2_EEvT2_20rocsparse_direction_NS_24const_host_device_scalarIT0_EES3_PKS3_PKT1_SC_S9_PKT3_PKT4_S7_PT5_21rocsparse_index_base_b.numbered_sgpr, 22
	.set _ZN9rocsparseL20bsrxmvn_17_32_kernelILj26E21rocsparse_complex_numIfEllfS2_S2_EEvT2_20rocsparse_direction_NS_24const_host_device_scalarIT0_EES3_PKS3_PKT1_SC_S9_PKT3_PKT4_S7_PT5_21rocsparse_index_base_b.num_named_barrier, 0
	.set _ZN9rocsparseL20bsrxmvn_17_32_kernelILj26E21rocsparse_complex_numIfEllfS2_S2_EEvT2_20rocsparse_direction_NS_24const_host_device_scalarIT0_EES3_PKS3_PKT1_SC_S9_PKT3_PKT4_S7_PT5_21rocsparse_index_base_b.private_seg_size, 0
	.set _ZN9rocsparseL20bsrxmvn_17_32_kernelILj26E21rocsparse_complex_numIfEllfS2_S2_EEvT2_20rocsparse_direction_NS_24const_host_device_scalarIT0_EES3_PKS3_PKT1_SC_S9_PKT3_PKT4_S7_PT5_21rocsparse_index_base_b.uses_vcc, 1
	.set _ZN9rocsparseL20bsrxmvn_17_32_kernelILj26E21rocsparse_complex_numIfEllfS2_S2_EEvT2_20rocsparse_direction_NS_24const_host_device_scalarIT0_EES3_PKS3_PKT1_SC_S9_PKT3_PKT4_S7_PT5_21rocsparse_index_base_b.uses_flat_scratch, 0
	.set _ZN9rocsparseL20bsrxmvn_17_32_kernelILj26E21rocsparse_complex_numIfEllfS2_S2_EEvT2_20rocsparse_direction_NS_24const_host_device_scalarIT0_EES3_PKS3_PKT1_SC_S9_PKT3_PKT4_S7_PT5_21rocsparse_index_base_b.has_dyn_sized_stack, 0
	.set _ZN9rocsparseL20bsrxmvn_17_32_kernelILj26E21rocsparse_complex_numIfEllfS2_S2_EEvT2_20rocsparse_direction_NS_24const_host_device_scalarIT0_EES3_PKS3_PKT1_SC_S9_PKT3_PKT4_S7_PT5_21rocsparse_index_base_b.has_recursion, 0
	.set _ZN9rocsparseL20bsrxmvn_17_32_kernelILj26E21rocsparse_complex_numIfEllfS2_S2_EEvT2_20rocsparse_direction_NS_24const_host_device_scalarIT0_EES3_PKS3_PKT1_SC_S9_PKT3_PKT4_S7_PT5_21rocsparse_index_base_b.has_indirect_call, 0
	.section	.AMDGPU.csdata,"",@progbits
; Kernel info:
; codeLenInByte = 1488
; TotalNumSgprs: 26
; NumVgprs: 20
; ScratchSize: 0
; MemoryBound: 0
; FloatMode: 240
; IeeeMode: 1
; LDSByteSize: 5408 bytes/workgroup (compile time only)
; SGPRBlocks: 8
; VGPRBlocks: 6
; NumSGPRsForWavesPerEU: 65
; NumVGPRsForWavesPerEU: 25
; Occupancy: 9
; WaveLimiterHint : 1
; COMPUTE_PGM_RSRC2:SCRATCH_EN: 0
; COMPUTE_PGM_RSRC2:USER_SGPR: 6
; COMPUTE_PGM_RSRC2:TRAP_HANDLER: 0
; COMPUTE_PGM_RSRC2:TGID_X_EN: 1
; COMPUTE_PGM_RSRC2:TGID_Y_EN: 0
; COMPUTE_PGM_RSRC2:TGID_Z_EN: 0
; COMPUTE_PGM_RSRC2:TIDIG_COMP_CNT: 0
	.section	.text._ZN9rocsparseL20bsrxmvn_17_32_kernelILj27E21rocsparse_complex_numIfEllfS2_S2_EEvT2_20rocsparse_direction_NS_24const_host_device_scalarIT0_EES3_PKS3_PKT1_SC_S9_PKT3_PKT4_S7_PT5_21rocsparse_index_base_b,"axG",@progbits,_ZN9rocsparseL20bsrxmvn_17_32_kernelILj27E21rocsparse_complex_numIfEllfS2_S2_EEvT2_20rocsparse_direction_NS_24const_host_device_scalarIT0_EES3_PKS3_PKT1_SC_S9_PKT3_PKT4_S7_PT5_21rocsparse_index_base_b,comdat
	.globl	_ZN9rocsparseL20bsrxmvn_17_32_kernelILj27E21rocsparse_complex_numIfEllfS2_S2_EEvT2_20rocsparse_direction_NS_24const_host_device_scalarIT0_EES3_PKS3_PKT1_SC_S9_PKT3_PKT4_S7_PT5_21rocsparse_index_base_b ; -- Begin function _ZN9rocsparseL20bsrxmvn_17_32_kernelILj27E21rocsparse_complex_numIfEllfS2_S2_EEvT2_20rocsparse_direction_NS_24const_host_device_scalarIT0_EES3_PKS3_PKT1_SC_S9_PKT3_PKT4_S7_PT5_21rocsparse_index_base_b
	.p2align	8
	.type	_ZN9rocsparseL20bsrxmvn_17_32_kernelILj27E21rocsparse_complex_numIfEllfS2_S2_EEvT2_20rocsparse_direction_NS_24const_host_device_scalarIT0_EES3_PKS3_PKT1_SC_S9_PKT3_PKT4_S7_PT5_21rocsparse_index_base_b,@function
_ZN9rocsparseL20bsrxmvn_17_32_kernelILj27E21rocsparse_complex_numIfEllfS2_S2_EEvT2_20rocsparse_direction_NS_24const_host_device_scalarIT0_EES3_PKS3_PKT1_SC_S9_PKT3_PKT4_S7_PT5_21rocsparse_index_base_b: ; @_ZN9rocsparseL20bsrxmvn_17_32_kernelILj27E21rocsparse_complex_numIfEllfS2_S2_EEvT2_20rocsparse_direction_NS_24const_host_device_scalarIT0_EES3_PKS3_PKT1_SC_S9_PKT3_PKT4_S7_PT5_21rocsparse_index_base_b
; %bb.0:
	s_load_dwordx2 s[0:1], s[4:5], 0x10
	s_load_dwordx2 s[14:15], s[4:5], 0x60
	s_add_u32 s7, s4, 16
	s_addc_u32 s8, s5, 0
	s_add_u32 s9, s4, 0x50
	s_load_dwordx2 s[2:3], s[4:5], 0x50
	s_addc_u32 s10, s5, 0
	s_waitcnt lgkmcnt(0)
	s_bitcmp1_b32 s15, 0
	s_cselect_b32 s1, s8, s1
	s_cselect_b32 s0, s7, s0
	v_mov_b32_e32 v1, s0
	v_mov_b32_e32 v2, s1
	flat_load_dwordx2 v[3:4], v[1:2]
	s_cselect_b32 s0, s10, s3
	s_cselect_b32 s1, s9, s2
	v_mov_b32_e32 v1, s1
	v_mov_b32_e32 v2, s0
	flat_load_dwordx2 v[1:2], v[1:2]
	s_waitcnt vmcnt(0) lgkmcnt(0)
	v_cmp_eq_f32_e32 vcc, 0, v3
	v_cmp_eq_f32_e64 s[0:1], 0, v4
	s_and_b64 s[8:9], vcc, s[0:1]
	s_mov_b64 s[0:1], -1
	s_and_saveexec_b64 s[2:3], s[8:9]
; %bb.1:
	v_cmp_neq_f32_e32 vcc, 1.0, v1
	v_cmp_neq_f32_e64 s[0:1], 0, v2
	s_or_b64 s[0:1], vcc, s[0:1]
	s_orn2_b64 s[0:1], s[0:1], exec
; %bb.2:
	s_or_b64 exec, exec, s[2:3]
	s_and_saveexec_b64 s[2:3], s[0:1]
	s_cbranch_execz .LBB426_39
; %bb.3:
	s_load_dwordx4 s[0:3], s[4:5], 0x20
	s_load_dwordx2 s[8:9], s[4:5], 0x30
	s_mov_b32 s7, 0
	s_waitcnt lgkmcnt(0)
	s_cmp_eq_u64 s[0:1], 0
	s_cbranch_scc1 .LBB426_5
; %bb.4:
	s_lshl_b64 s[6:7], s[6:7], 3
	s_add_u32 s0, s0, s6
	s_addc_u32 s1, s1, s7
	s_load_dwordx2 s[0:1], s[0:1], 0x0
	s_waitcnt lgkmcnt(0)
	s_sub_u32 s6, s0, s14
	s_subb_u32 s7, s1, 0
.LBB426_5:
	s_load_dword s10, s[4:5], 0x8
	s_load_dwordx2 s[12:13], s[4:5], 0x58
	v_mul_u32_u24_e32 v7, 0x97c, v0
	v_mov_b32_e32 v5, 27
	v_mul_lo_u16_sdwa v5, v7, v5 dst_sel:DWORD dst_unused:UNUSED_PAD src0_sel:WORD_1 src1_sel:DWORD
	s_waitcnt lgkmcnt(0)
	s_cmp_eq_u32 s10, 1
	s_cselect_b64 s[0:1], -1, 0
	s_cmp_lg_u32 s10, 1
	s_cselect_b64 s[16:17], -1, 0
	s_lshl_b64 s[10:11], s[6:7], 3
	s_add_u32 s20, s2, s10
	s_addc_u32 s21, s3, s11
	s_add_u32 s2, s20, 8
	s_addc_u32 s3, s21, 0
	;; [unrolled: 2-line block ×3, first 2 shown]
	s_cmp_eq_u64 s[8:9], 0
	s_cselect_b32 s9, s3, s11
	s_cselect_b32 s8, s2, s10
	s_load_dwordx2 s[2:3], s[8:9], 0x0
	s_load_dwordx2 s[18:19], s[20:21], 0x0
	v_sub_u16_e32 v15, v0, v5
	s_waitcnt lgkmcnt(0)
	v_mov_b32_e32 v6, s3
	v_mov_b32_e32 v5, s2
	v_cmp_ge_i64_e32 vcc, s[18:19], v[5:6]
	v_mov_b32_e32 v6, 0
	v_mov_b32_e32 v5, 0
	s_cbranch_vccnz .LBB426_10
; %bb.6:
	s_load_dwordx4 s[8:11], s[4:5], 0x38
	s_load_dwordx2 s[20:21], s[4:5], 0x48
	s_mov_b32 s4, 0xffff
	s_movk_i32 s5, 0x2d9
	v_and_b32_sdwa v5, s4, v7 dst_sel:DWORD dst_unused:UNUSED_PAD src0_sel:DWORD src1_sel:WORD_1
	s_sub_u32 s2, s2, s14
	v_subrev_u32_e32 v6, 27, v5
	v_cmp_gt_u32_e32 vcc, s5, v0
	s_subb_u32 s3, s3, 0
	v_cndmask_b32_e32 v5, v6, v5, vcc
	s_sub_u32 s4, s18, s14
	v_cndmask_b32_e64 v5, v15, v5, s[0:1]
	v_mov_b32_e32 v6, 0
	s_subb_u32 s5, s19, 0
	v_lshlrev_b64 v[7:8], 3, v[5:6]
	s_mul_i32 s0, s5, 0xb64
	s_mul_hi_u32 s1, s4, 0xb64
	s_add_i32 s1, s1, s0
	s_mul_i32 s0, s4, 0xb64
	s_waitcnt lgkmcnt(0)
	v_mov_b32_e32 v5, s21
	v_add_co_u32_e32 v7, vcc, s20, v7
	s_add_u32 s0, s10, s0
	v_addc_co_u32_e32 v8, vcc, v5, v8, vcc
	s_addc_u32 s1, s11, s1
	v_lshlrev_b32_e32 v5, 2, v0
	v_mov_b32_e32 v10, s1
	v_add_co_u32_e32 v9, vcc, s0, v5
	v_addc_co_u32_e32 v10, vcc, 0, v10, vcc
	s_movk_i32 s0, 0x2d8
	v_cmp_lt_u32_e32 vcc, s0, v0
	v_cndmask_b32_e64 v16, 0, 1, vcc
	v_mov_b32_e32 v5, s19
	v_add_co_u32_e32 v11, vcc, s18, v16
	v_addc_co_u32_e32 v5, vcc, 0, v5, vcc
	v_subrev_co_u32_e32 v11, vcc, s14, v11
	v_subbrev_co_u32_e32 v12, vcc, 0, v5, vcc
	v_lshlrev_b64 v[11:12], 3, v[11:12]
	v_mov_b32_e32 v5, s9
	v_add_co_u32_e32 v11, vcc, s8, v11
	v_mov_b32_e32 v14, s3
	v_addc_co_u32_e32 v12, vcc, v5, v12, vcc
	s_movk_i32 s8, 0xd8
	v_mov_b32_e32 v13, s2
	v_mov_b32_e32 v5, v6
	s_branch .LBB426_8
.LBB426_7:                              ;   in Loop: Header=BB426_8 Depth=1
	s_or_b64 exec, exec, s[0:1]
	s_add_u32 s4, s4, 1
	s_addc_u32 s5, s5, 0
	v_cmp_lt_i64_e32 vcc, s[4:5], v[13:14]
	v_add_co_u32_e64 v11, s[0:1], 8, v11
	v_addc_co_u32_e64 v12, s[0:1], 0, v12, s[0:1]
	s_cbranch_vccz .LBB426_10
.LBB426_8:                              ; =>This Inner Loop Header: Depth=1
	v_mov_b32_e32 v18, s5
	v_add_co_u32_e32 v17, vcc, s4, v16
	v_addc_co_u32_e32 v18, vcc, 0, v18, vcc
	v_cmp_gt_i64_e32 vcc, s[2:3], v[17:18]
	s_and_saveexec_b64 s[0:1], vcc
	s_cbranch_execz .LBB426_7
; %bb.9:                                ;   in Loop: Header=BB426_8 Depth=1
	global_load_dwordx2 v[17:18], v[11:12], off
	s_waitcnt vmcnt(0)
	v_subrev_co_u32_e32 v17, vcc, s14, v17
	v_subbrev_co_u32_e32 v19, vcc, 0, v18, vcc
	v_mad_u64_u32 v[17:18], s[10:11], v17, s8, v[7:8]
	v_mad_u64_u32 v[18:19], s[10:11], v19, s8, v[18:19]
	global_load_dword v19, v[9:10], off
	s_nop 0
	global_load_dwordx2 v[17:18], v[17:18], off
	v_add_co_u32_e32 v9, vcc, 0xb64, v9
	v_addc_co_u32_e32 v10, vcc, 0, v10, vcc
	s_waitcnt vmcnt(0)
	v_fmac_f32_e32 v5, v19, v17
	v_fmac_f32_e32 v6, 0, v17
	;; [unrolled: 1-line block ×4, first 2 shown]
	s_branch .LBB426_7
.LBB426_10:
	v_lshlrev_b32_e32 v7, 3, v0
	s_and_b64 vcc, exec, s[16:17]
	ds_write_b64 v7, v[5:6]
	s_waitcnt lgkmcnt(0)
	s_barrier
	s_cbranch_vccz .LBB426_22
; %bb.11:
	v_cmp_gt_u16_e32 vcc, 11, v15
	s_and_saveexec_b64 s[0:1], vcc
	s_cbranch_execz .LBB426_13
; %bb.12:
	ds_read2_b64 v[8:11], v7 offset1:16
	s_waitcnt lgkmcnt(0)
	v_add_f32_e32 v8, v10, v8
	v_add_f32_e32 v9, v11, v9
	ds_write_b64 v7, v[8:9]
.LBB426_13:
	s_or_b64 exec, exec, s[0:1]
	v_cmp_gt_u16_e32 vcc, 8, v15
	s_waitcnt lgkmcnt(0)
	s_barrier
	s_and_saveexec_b64 s[0:1], vcc
	s_cbranch_execz .LBB426_15
; %bb.14:
	ds_read2_b64 v[8:11], v7 offset1:8
	s_waitcnt lgkmcnt(0)
	v_add_f32_e32 v8, v10, v8
	v_add_f32_e32 v9, v11, v9
	ds_write_b64 v7, v[8:9]
.LBB426_15:
	s_or_b64 exec, exec, s[0:1]
	v_cmp_gt_u16_e32 vcc, 4, v15
	s_waitcnt lgkmcnt(0)
	s_barrier
	;; [unrolled: 13-line block ×3, first 2 shown]
	s_and_saveexec_b64 s[0:1], vcc
	s_cbranch_execz .LBB426_19
; %bb.18:
	ds_read2_b64 v[8:11], v7 offset1:2
	s_waitcnt lgkmcnt(0)
	v_add_f32_e32 v8, v10, v8
	v_add_f32_e32 v9, v11, v9
	ds_write_b64 v7, v[8:9]
.LBB426_19:
	s_or_b64 exec, exec, s[0:1]
	v_cmp_gt_u32_e32 vcc, 27, v0
	v_mov_b32_e32 v9, v6
	v_mov_b32_e32 v8, v5
	s_waitcnt lgkmcnt(0)
	s_barrier
	s_and_saveexec_b64 s[0:1], vcc
	s_cbranch_execz .LBB426_21
; %bb.20:
	s_movk_i32 s2, 0xd0
	v_mad_u32_u24 v8, v0, s2, v7
	ds_read2_b64 v[8:11], v8 offset1:1
	s_waitcnt lgkmcnt(0)
	v_add_f32_e32 v8, v10, v8
	v_add_f32_e32 v9, v11, v9
.LBB426_21:
	s_or_b64 exec, exec, s[0:1]
	s_branch .LBB426_34
.LBB426_22:
                                        ; implicit-def: $vgpr9
                                        ; implicit-def: $vgpr8
	s_cbranch_execz .LBB426_34
; %bb.23:
	s_movk_i32 s0, 0x129
	v_cmp_gt_u32_e32 vcc, s0, v0
	s_and_saveexec_b64 s[0:1], vcc
	s_cbranch_execz .LBB426_25
; %bb.24:
	ds_read_b64 v[8:9], v7 offset:3456
	ds_read_b64 v[10:11], v7
	s_waitcnt lgkmcnt(0)
	v_add_f32_e32 v8, v8, v10
	v_add_f32_e32 v9, v9, v11
	ds_write_b64 v7, v[8:9]
.LBB426_25:
	s_or_b64 exec, exec, s[0:1]
	s_movk_i32 s0, 0xd8
	v_cmp_gt_u32_e32 vcc, s0, v0
	s_waitcnt lgkmcnt(0)
	s_barrier
	s_and_saveexec_b64 s[0:1], vcc
	s_cbranch_execz .LBB426_27
; %bb.26:
	ds_read2_b64 v[8:11], v7 offset1:216
	s_waitcnt lgkmcnt(0)
	v_add_f32_e32 v8, v10, v8
	v_add_f32_e32 v9, v11, v9
	ds_write_b64 v7, v[8:9]
.LBB426_27:
	s_or_b64 exec, exec, s[0:1]
	s_movk_i32 s0, 0x6c
	v_cmp_gt_u32_e32 vcc, s0, v0
	s_waitcnt lgkmcnt(0)
	s_barrier
	s_and_saveexec_b64 s[0:1], vcc
	s_cbranch_execz .LBB426_29
; %bb.28:
	ds_read2_b64 v[8:11], v7 offset1:108
	s_waitcnt lgkmcnt(0)
	v_add_f32_e32 v8, v10, v8
	v_add_f32_e32 v9, v11, v9
	ds_write_b64 v7, v[8:9]
.LBB426_29:
	s_or_b64 exec, exec, s[0:1]
	v_cmp_gt_u32_e32 vcc, 54, v0
	s_waitcnt lgkmcnt(0)
	s_barrier
	s_and_saveexec_b64 s[0:1], vcc
	s_cbranch_execz .LBB426_31
; %bb.30:
	ds_read2_b64 v[8:11], v7 offset1:54
	s_waitcnt lgkmcnt(0)
	v_add_f32_e32 v8, v10, v8
	v_add_f32_e32 v9, v11, v9
	ds_write_b64 v7, v[8:9]
.LBB426_31:
	s_or_b64 exec, exec, s[0:1]
	v_cmp_gt_u32_e32 vcc, 27, v0
	s_waitcnt lgkmcnt(0)
	s_and_saveexec_b64 s[0:1], vcc
	s_cbranch_execz .LBB426_33
; %bb.32:
	ds_read2_b64 v[8:11], v7 offset1:27
	s_waitcnt lgkmcnt(0)
	v_add_f32_e32 v5, v10, v8
	v_add_f32_e32 v6, v11, v9
.LBB426_33:
	s_or_b64 exec, exec, s[0:1]
	v_mov_b32_e32 v9, v6
	v_mov_b32_e32 v8, v5
.LBB426_34:
	v_cmp_gt_u32_e32 vcc, 27, v0
	s_and_b64 exec, exec, vcc
	s_cbranch_execz .LBB426_39
; %bb.35:
	v_cmp_eq_f32_e32 vcc, 0, v1
	v_cmp_eq_f32_e64 s[0:1], 0, v2
	v_mul_f32_e64 v5, v9, -v4
	v_mul_f32_e32 v6, v3, v9
	s_and_b64 s[0:1], vcc, s[0:1]
	v_fmac_f32_e32 v5, v3, v8
	v_fmac_f32_e32 v6, v4, v8
	s_mul_i32 s2, s7, 0xd8
	s_mul_hi_u32 s3, s6, 0xd8
	s_mul_i32 s4, s6, 0xd8
	s_and_saveexec_b64 s[6:7], s[0:1]
	s_xor_b64 s[0:1], exec, s[6:7]
	s_cbranch_execz .LBB426_37
; %bb.36:
	s_add_i32 s5, s3, s2
	s_add_u32 s6, s12, s4
	s_addc_u32 s7, s13, s5
	global_store_dwordx2 v7, v[5:6], s[6:7]
                                        ; implicit-def: $vgpr7
                                        ; implicit-def: $vgpr1_vgpr2
                                        ; implicit-def: $vgpr5
.LBB426_37:
	s_andn2_saveexec_b64 s[0:1], s[0:1]
	s_cbranch_execz .LBB426_39
; %bb.38:
	s_add_i32 s3, s3, s2
	s_add_u32 s0, s12, s4
	s_addc_u32 s1, s13, s3
	global_load_dwordx2 v[3:4], v7, s[0:1]
	s_waitcnt vmcnt(0)
	v_fmac_f32_e32 v5, v1, v3
	v_fmac_f32_e32 v6, v2, v3
	v_fma_f32 v5, -v2, v4, v5
	v_fmac_f32_e32 v6, v1, v4
	global_store_dwordx2 v7, v[5:6], s[0:1]
.LBB426_39:
	s_endpgm
	.section	.rodata,"a",@progbits
	.p2align	6, 0x0
	.amdhsa_kernel _ZN9rocsparseL20bsrxmvn_17_32_kernelILj27E21rocsparse_complex_numIfEllfS2_S2_EEvT2_20rocsparse_direction_NS_24const_host_device_scalarIT0_EES3_PKS3_PKT1_SC_S9_PKT3_PKT4_S7_PT5_21rocsparse_index_base_b
		.amdhsa_group_segment_fixed_size 5832
		.amdhsa_private_segment_fixed_size 0
		.amdhsa_kernarg_size 104
		.amdhsa_user_sgpr_count 6
		.amdhsa_user_sgpr_private_segment_buffer 1
		.amdhsa_user_sgpr_dispatch_ptr 0
		.amdhsa_user_sgpr_queue_ptr 0
		.amdhsa_user_sgpr_kernarg_segment_ptr 1
		.amdhsa_user_sgpr_dispatch_id 0
		.amdhsa_user_sgpr_flat_scratch_init 0
		.amdhsa_user_sgpr_private_segment_size 0
		.amdhsa_uses_dynamic_stack 0
		.amdhsa_system_sgpr_private_segment_wavefront_offset 0
		.amdhsa_system_sgpr_workgroup_id_x 1
		.amdhsa_system_sgpr_workgroup_id_y 0
		.amdhsa_system_sgpr_workgroup_id_z 0
		.amdhsa_system_sgpr_workgroup_info 0
		.amdhsa_system_vgpr_workitem_id 0
		.amdhsa_next_free_vgpr 25
		.amdhsa_next_free_sgpr 61
		.amdhsa_reserve_vcc 1
		.amdhsa_reserve_flat_scratch 0
		.amdhsa_float_round_mode_32 0
		.amdhsa_float_round_mode_16_64 0
		.amdhsa_float_denorm_mode_32 3
		.amdhsa_float_denorm_mode_16_64 3
		.amdhsa_dx10_clamp 1
		.amdhsa_ieee_mode 1
		.amdhsa_fp16_overflow 0
		.amdhsa_exception_fp_ieee_invalid_op 0
		.amdhsa_exception_fp_denorm_src 0
		.amdhsa_exception_fp_ieee_div_zero 0
		.amdhsa_exception_fp_ieee_overflow 0
		.amdhsa_exception_fp_ieee_underflow 0
		.amdhsa_exception_fp_ieee_inexact 0
		.amdhsa_exception_int_div_zero 0
	.end_amdhsa_kernel
	.section	.text._ZN9rocsparseL20bsrxmvn_17_32_kernelILj27E21rocsparse_complex_numIfEllfS2_S2_EEvT2_20rocsparse_direction_NS_24const_host_device_scalarIT0_EES3_PKS3_PKT1_SC_S9_PKT3_PKT4_S7_PT5_21rocsparse_index_base_b,"axG",@progbits,_ZN9rocsparseL20bsrxmvn_17_32_kernelILj27E21rocsparse_complex_numIfEllfS2_S2_EEvT2_20rocsparse_direction_NS_24const_host_device_scalarIT0_EES3_PKS3_PKT1_SC_S9_PKT3_PKT4_S7_PT5_21rocsparse_index_base_b,comdat
.Lfunc_end426:
	.size	_ZN9rocsparseL20bsrxmvn_17_32_kernelILj27E21rocsparse_complex_numIfEllfS2_S2_EEvT2_20rocsparse_direction_NS_24const_host_device_scalarIT0_EES3_PKS3_PKT1_SC_S9_PKT3_PKT4_S7_PT5_21rocsparse_index_base_b, .Lfunc_end426-_ZN9rocsparseL20bsrxmvn_17_32_kernelILj27E21rocsparse_complex_numIfEllfS2_S2_EEvT2_20rocsparse_direction_NS_24const_host_device_scalarIT0_EES3_PKS3_PKT1_SC_S9_PKT3_PKT4_S7_PT5_21rocsparse_index_base_b
                                        ; -- End function
	.set _ZN9rocsparseL20bsrxmvn_17_32_kernelILj27E21rocsparse_complex_numIfEllfS2_S2_EEvT2_20rocsparse_direction_NS_24const_host_device_scalarIT0_EES3_PKS3_PKT1_SC_S9_PKT3_PKT4_S7_PT5_21rocsparse_index_base_b.num_vgpr, 20
	.set _ZN9rocsparseL20bsrxmvn_17_32_kernelILj27E21rocsparse_complex_numIfEllfS2_S2_EEvT2_20rocsparse_direction_NS_24const_host_device_scalarIT0_EES3_PKS3_PKT1_SC_S9_PKT3_PKT4_S7_PT5_21rocsparse_index_base_b.num_agpr, 0
	.set _ZN9rocsparseL20bsrxmvn_17_32_kernelILj27E21rocsparse_complex_numIfEllfS2_S2_EEvT2_20rocsparse_direction_NS_24const_host_device_scalarIT0_EES3_PKS3_PKT1_SC_S9_PKT3_PKT4_S7_PT5_21rocsparse_index_base_b.numbered_sgpr, 22
	.set _ZN9rocsparseL20bsrxmvn_17_32_kernelILj27E21rocsparse_complex_numIfEllfS2_S2_EEvT2_20rocsparse_direction_NS_24const_host_device_scalarIT0_EES3_PKS3_PKT1_SC_S9_PKT3_PKT4_S7_PT5_21rocsparse_index_base_b.num_named_barrier, 0
	.set _ZN9rocsparseL20bsrxmvn_17_32_kernelILj27E21rocsparse_complex_numIfEllfS2_S2_EEvT2_20rocsparse_direction_NS_24const_host_device_scalarIT0_EES3_PKS3_PKT1_SC_S9_PKT3_PKT4_S7_PT5_21rocsparse_index_base_b.private_seg_size, 0
	.set _ZN9rocsparseL20bsrxmvn_17_32_kernelILj27E21rocsparse_complex_numIfEllfS2_S2_EEvT2_20rocsparse_direction_NS_24const_host_device_scalarIT0_EES3_PKS3_PKT1_SC_S9_PKT3_PKT4_S7_PT5_21rocsparse_index_base_b.uses_vcc, 1
	.set _ZN9rocsparseL20bsrxmvn_17_32_kernelILj27E21rocsparse_complex_numIfEllfS2_S2_EEvT2_20rocsparse_direction_NS_24const_host_device_scalarIT0_EES3_PKS3_PKT1_SC_S9_PKT3_PKT4_S7_PT5_21rocsparse_index_base_b.uses_flat_scratch, 0
	.set _ZN9rocsparseL20bsrxmvn_17_32_kernelILj27E21rocsparse_complex_numIfEllfS2_S2_EEvT2_20rocsparse_direction_NS_24const_host_device_scalarIT0_EES3_PKS3_PKT1_SC_S9_PKT3_PKT4_S7_PT5_21rocsparse_index_base_b.has_dyn_sized_stack, 0
	.set _ZN9rocsparseL20bsrxmvn_17_32_kernelILj27E21rocsparse_complex_numIfEllfS2_S2_EEvT2_20rocsparse_direction_NS_24const_host_device_scalarIT0_EES3_PKS3_PKT1_SC_S9_PKT3_PKT4_S7_PT5_21rocsparse_index_base_b.has_recursion, 0
	.set _ZN9rocsparseL20bsrxmvn_17_32_kernelILj27E21rocsparse_complex_numIfEllfS2_S2_EEvT2_20rocsparse_direction_NS_24const_host_device_scalarIT0_EES3_PKS3_PKT1_SC_S9_PKT3_PKT4_S7_PT5_21rocsparse_index_base_b.has_indirect_call, 0
	.section	.AMDGPU.csdata,"",@progbits
; Kernel info:
; codeLenInByte = 1488
; TotalNumSgprs: 26
; NumVgprs: 20
; ScratchSize: 0
; MemoryBound: 0
; FloatMode: 240
; IeeeMode: 1
; LDSByteSize: 5832 bytes/workgroup (compile time only)
; SGPRBlocks: 8
; VGPRBlocks: 6
; NumSGPRsForWavesPerEU: 65
; NumVGPRsForWavesPerEU: 25
; Occupancy: 9
; WaveLimiterHint : 1
; COMPUTE_PGM_RSRC2:SCRATCH_EN: 0
; COMPUTE_PGM_RSRC2:USER_SGPR: 6
; COMPUTE_PGM_RSRC2:TRAP_HANDLER: 0
; COMPUTE_PGM_RSRC2:TGID_X_EN: 1
; COMPUTE_PGM_RSRC2:TGID_Y_EN: 0
; COMPUTE_PGM_RSRC2:TGID_Z_EN: 0
; COMPUTE_PGM_RSRC2:TIDIG_COMP_CNT: 0
	.section	.text._ZN9rocsparseL20bsrxmvn_17_32_kernelILj28E21rocsparse_complex_numIfEllfS2_S2_EEvT2_20rocsparse_direction_NS_24const_host_device_scalarIT0_EES3_PKS3_PKT1_SC_S9_PKT3_PKT4_S7_PT5_21rocsparse_index_base_b,"axG",@progbits,_ZN9rocsparseL20bsrxmvn_17_32_kernelILj28E21rocsparse_complex_numIfEllfS2_S2_EEvT2_20rocsparse_direction_NS_24const_host_device_scalarIT0_EES3_PKS3_PKT1_SC_S9_PKT3_PKT4_S7_PT5_21rocsparse_index_base_b,comdat
	.globl	_ZN9rocsparseL20bsrxmvn_17_32_kernelILj28E21rocsparse_complex_numIfEllfS2_S2_EEvT2_20rocsparse_direction_NS_24const_host_device_scalarIT0_EES3_PKS3_PKT1_SC_S9_PKT3_PKT4_S7_PT5_21rocsparse_index_base_b ; -- Begin function _ZN9rocsparseL20bsrxmvn_17_32_kernelILj28E21rocsparse_complex_numIfEllfS2_S2_EEvT2_20rocsparse_direction_NS_24const_host_device_scalarIT0_EES3_PKS3_PKT1_SC_S9_PKT3_PKT4_S7_PT5_21rocsparse_index_base_b
	.p2align	8
	.type	_ZN9rocsparseL20bsrxmvn_17_32_kernelILj28E21rocsparse_complex_numIfEllfS2_S2_EEvT2_20rocsparse_direction_NS_24const_host_device_scalarIT0_EES3_PKS3_PKT1_SC_S9_PKT3_PKT4_S7_PT5_21rocsparse_index_base_b,@function
_ZN9rocsparseL20bsrxmvn_17_32_kernelILj28E21rocsparse_complex_numIfEllfS2_S2_EEvT2_20rocsparse_direction_NS_24const_host_device_scalarIT0_EES3_PKS3_PKT1_SC_S9_PKT3_PKT4_S7_PT5_21rocsparse_index_base_b: ; @_ZN9rocsparseL20bsrxmvn_17_32_kernelILj28E21rocsparse_complex_numIfEllfS2_S2_EEvT2_20rocsparse_direction_NS_24const_host_device_scalarIT0_EES3_PKS3_PKT1_SC_S9_PKT3_PKT4_S7_PT5_21rocsparse_index_base_b
; %bb.0:
	s_load_dwordx2 s[0:1], s[4:5], 0x10
	s_load_dwordx2 s[14:15], s[4:5], 0x60
	s_add_u32 s7, s4, 16
	s_addc_u32 s8, s5, 0
	s_add_u32 s9, s4, 0x50
	s_load_dwordx2 s[2:3], s[4:5], 0x50
	s_addc_u32 s10, s5, 0
	s_waitcnt lgkmcnt(0)
	s_bitcmp1_b32 s15, 0
	s_cselect_b32 s1, s8, s1
	s_cselect_b32 s0, s7, s0
	v_mov_b32_e32 v1, s0
	v_mov_b32_e32 v2, s1
	flat_load_dwordx2 v[3:4], v[1:2]
	s_cselect_b32 s0, s10, s3
	s_cselect_b32 s1, s9, s2
	v_mov_b32_e32 v1, s1
	v_mov_b32_e32 v2, s0
	flat_load_dwordx2 v[1:2], v[1:2]
	s_waitcnt vmcnt(0) lgkmcnt(0)
	v_cmp_eq_f32_e32 vcc, 0, v3
	v_cmp_eq_f32_e64 s[0:1], 0, v4
	s_and_b64 s[8:9], vcc, s[0:1]
	s_mov_b64 s[0:1], -1
	s_and_saveexec_b64 s[2:3], s[8:9]
; %bb.1:
	v_cmp_neq_f32_e32 vcc, 1.0, v1
	v_cmp_neq_f32_e64 s[0:1], 0, v2
	s_or_b64 s[0:1], vcc, s[0:1]
	s_orn2_b64 s[0:1], s[0:1], exec
; %bb.2:
	s_or_b64 exec, exec, s[2:3]
	s_and_saveexec_b64 s[2:3], s[0:1]
	s_cbranch_execz .LBB427_39
; %bb.3:
	s_load_dwordx4 s[0:3], s[4:5], 0x20
	s_load_dwordx2 s[8:9], s[4:5], 0x30
	s_mov_b32 s7, 0
	s_waitcnt lgkmcnt(0)
	s_cmp_eq_u64 s[0:1], 0
	s_cbranch_scc1 .LBB427_5
; %bb.4:
	s_lshl_b64 s[6:7], s[6:7], 3
	s_add_u32 s0, s0, s6
	s_addc_u32 s1, s1, s7
	s_load_dwordx2 s[0:1], s[0:1], 0x0
	s_waitcnt lgkmcnt(0)
	s_sub_u32 s6, s0, s14
	s_subb_u32 s7, s1, 0
.LBB427_5:
	s_load_dword s10, s[4:5], 0x8
	s_load_dwordx2 s[12:13], s[4:5], 0x58
	v_mul_u32_u24_e32 v7, 0x925, v0
	v_mov_b32_e32 v5, 28
	v_mul_lo_u16_sdwa v5, v7, v5 dst_sel:DWORD dst_unused:UNUSED_PAD src0_sel:WORD_1 src1_sel:DWORD
	s_waitcnt lgkmcnt(0)
	s_cmp_eq_u32 s10, 1
	s_cselect_b64 s[0:1], -1, 0
	s_cmp_lg_u32 s10, 1
	s_cselect_b64 s[16:17], -1, 0
	s_lshl_b64 s[10:11], s[6:7], 3
	s_add_u32 s20, s2, s10
	s_addc_u32 s21, s3, s11
	s_add_u32 s2, s20, 8
	s_addc_u32 s3, s21, 0
	;; [unrolled: 2-line block ×3, first 2 shown]
	s_cmp_eq_u64 s[8:9], 0
	s_cselect_b32 s9, s3, s11
	s_cselect_b32 s8, s2, s10
	s_load_dwordx2 s[2:3], s[8:9], 0x0
	s_load_dwordx2 s[18:19], s[20:21], 0x0
	v_sub_u16_e32 v15, v0, v5
	s_waitcnt lgkmcnt(0)
	v_mov_b32_e32 v6, s3
	v_mov_b32_e32 v5, s2
	v_cmp_ge_i64_e32 vcc, s[18:19], v[5:6]
	v_mov_b32_e32 v6, 0
	v_mov_b32_e32 v5, 0
	s_cbranch_vccnz .LBB427_10
; %bb.6:
	s_load_dwordx4 s[8:11], s[4:5], 0x38
	s_load_dwordx2 s[20:21], s[4:5], 0x48
	s_mov_b32 s4, 0xffff
	s_movk_i32 s5, 0x310
	v_and_b32_sdwa v5, s4, v7 dst_sel:DWORD dst_unused:UNUSED_PAD src0_sel:DWORD src1_sel:WORD_1
	s_sub_u32 s2, s2, s14
	v_subrev_u32_e32 v6, 28, v5
	v_cmp_gt_u32_e32 vcc, s5, v0
	s_subb_u32 s3, s3, 0
	v_cndmask_b32_e32 v5, v6, v5, vcc
	s_sub_u32 s4, s18, s14
	v_cndmask_b32_e64 v5, v15, v5, s[0:1]
	v_mov_b32_e32 v6, 0
	s_subb_u32 s5, s19, 0
	v_lshlrev_b64 v[7:8], 3, v[5:6]
	s_mul_i32 s0, s5, 0xc40
	s_mul_hi_u32 s1, s4, 0xc40
	s_add_i32 s1, s1, s0
	s_mul_i32 s0, s4, 0xc40
	s_waitcnt lgkmcnt(0)
	v_mov_b32_e32 v5, s21
	v_add_co_u32_e32 v7, vcc, s20, v7
	s_add_u32 s0, s10, s0
	v_addc_co_u32_e32 v8, vcc, v5, v8, vcc
	s_addc_u32 s1, s11, s1
	v_lshlrev_b32_e32 v5, 2, v0
	v_mov_b32_e32 v10, s1
	v_add_co_u32_e32 v9, vcc, s0, v5
	v_addc_co_u32_e32 v10, vcc, 0, v10, vcc
	s_movk_i32 s0, 0x30f
	v_cmp_lt_u32_e32 vcc, s0, v0
	v_cndmask_b32_e64 v16, 0, 1, vcc
	v_mov_b32_e32 v5, s19
	v_add_co_u32_e32 v11, vcc, s18, v16
	v_addc_co_u32_e32 v5, vcc, 0, v5, vcc
	v_subrev_co_u32_e32 v11, vcc, s14, v11
	v_subbrev_co_u32_e32 v12, vcc, 0, v5, vcc
	v_lshlrev_b64 v[11:12], 3, v[11:12]
	v_mov_b32_e32 v5, s9
	v_add_co_u32_e32 v11, vcc, s8, v11
	v_mov_b32_e32 v14, s3
	v_addc_co_u32_e32 v12, vcc, v5, v12, vcc
	s_movk_i32 s8, 0xe0
	v_mov_b32_e32 v13, s2
	v_mov_b32_e32 v5, v6
	s_branch .LBB427_8
.LBB427_7:                              ;   in Loop: Header=BB427_8 Depth=1
	s_or_b64 exec, exec, s[0:1]
	s_add_u32 s4, s4, 1
	s_addc_u32 s5, s5, 0
	v_cmp_lt_i64_e32 vcc, s[4:5], v[13:14]
	v_add_co_u32_e64 v11, s[0:1], 8, v11
	v_addc_co_u32_e64 v12, s[0:1], 0, v12, s[0:1]
	s_cbranch_vccz .LBB427_10
.LBB427_8:                              ; =>This Inner Loop Header: Depth=1
	v_mov_b32_e32 v18, s5
	v_add_co_u32_e32 v17, vcc, s4, v16
	v_addc_co_u32_e32 v18, vcc, 0, v18, vcc
	v_cmp_gt_i64_e32 vcc, s[2:3], v[17:18]
	s_and_saveexec_b64 s[0:1], vcc
	s_cbranch_execz .LBB427_7
; %bb.9:                                ;   in Loop: Header=BB427_8 Depth=1
	global_load_dwordx2 v[17:18], v[11:12], off
	s_waitcnt vmcnt(0)
	v_subrev_co_u32_e32 v17, vcc, s14, v17
	v_subbrev_co_u32_e32 v19, vcc, 0, v18, vcc
	v_mad_u64_u32 v[17:18], s[10:11], v17, s8, v[7:8]
	v_mad_u64_u32 v[18:19], s[10:11], v19, s8, v[18:19]
	global_load_dword v19, v[9:10], off
	s_nop 0
	global_load_dwordx2 v[17:18], v[17:18], off
	v_add_co_u32_e32 v9, vcc, 0xc40, v9
	v_addc_co_u32_e32 v10, vcc, 0, v10, vcc
	s_waitcnt vmcnt(0)
	v_fmac_f32_e32 v5, v19, v17
	v_fmac_f32_e32 v6, 0, v17
	;; [unrolled: 1-line block ×4, first 2 shown]
	s_branch .LBB427_7
.LBB427_10:
	v_lshlrev_b32_e32 v7, 3, v0
	s_and_b64 vcc, exec, s[16:17]
	ds_write_b64 v7, v[5:6]
	s_waitcnt lgkmcnt(0)
	s_barrier
	s_cbranch_vccz .LBB427_22
; %bb.11:
	v_cmp_gt_u16_e32 vcc, 12, v15
	s_and_saveexec_b64 s[0:1], vcc
	s_cbranch_execz .LBB427_13
; %bb.12:
	ds_read2_b64 v[8:11], v7 offset1:16
	s_waitcnt lgkmcnt(0)
	v_add_f32_e32 v8, v10, v8
	v_add_f32_e32 v9, v11, v9
	ds_write_b64 v7, v[8:9]
.LBB427_13:
	s_or_b64 exec, exec, s[0:1]
	v_cmp_gt_u16_e32 vcc, 8, v15
	s_waitcnt lgkmcnt(0)
	s_barrier
	s_and_saveexec_b64 s[0:1], vcc
	s_cbranch_execz .LBB427_15
; %bb.14:
	ds_read2_b64 v[8:11], v7 offset1:8
	s_waitcnt lgkmcnt(0)
	v_add_f32_e32 v8, v10, v8
	v_add_f32_e32 v9, v11, v9
	ds_write_b64 v7, v[8:9]
.LBB427_15:
	s_or_b64 exec, exec, s[0:1]
	v_cmp_gt_u16_e32 vcc, 4, v15
	s_waitcnt lgkmcnt(0)
	s_barrier
	;; [unrolled: 13-line block ×3, first 2 shown]
	s_and_saveexec_b64 s[0:1], vcc
	s_cbranch_execz .LBB427_19
; %bb.18:
	ds_read2_b64 v[8:11], v7 offset1:2
	s_waitcnt lgkmcnt(0)
	v_add_f32_e32 v8, v10, v8
	v_add_f32_e32 v9, v11, v9
	ds_write_b64 v7, v[8:9]
.LBB427_19:
	s_or_b64 exec, exec, s[0:1]
	v_cmp_gt_u32_e32 vcc, 28, v0
	v_mov_b32_e32 v9, v6
	v_mov_b32_e32 v8, v5
	s_waitcnt lgkmcnt(0)
	s_barrier
	s_and_saveexec_b64 s[0:1], vcc
	s_cbranch_execz .LBB427_21
; %bb.20:
	s_movk_i32 s2, 0xd8
	v_mad_u32_u24 v8, v0, s2, v7
	ds_read2_b64 v[8:11], v8 offset1:1
	s_waitcnt lgkmcnt(0)
	v_add_f32_e32 v8, v10, v8
	v_add_f32_e32 v9, v11, v9
.LBB427_21:
	s_or_b64 exec, exec, s[0:1]
	s_branch .LBB427_34
.LBB427_22:
                                        ; implicit-def: $vgpr9
                                        ; implicit-def: $vgpr8
	s_cbranch_execz .LBB427_34
; %bb.23:
	s_movk_i32 s0, 0x150
	v_cmp_gt_u32_e32 vcc, s0, v0
	s_and_saveexec_b64 s[0:1], vcc
	s_cbranch_execz .LBB427_25
; %bb.24:
	ds_read2st64_b64 v[8:11], v7 offset1:7
	s_waitcnt lgkmcnt(0)
	v_add_f32_e32 v8, v10, v8
	v_add_f32_e32 v9, v11, v9
	ds_write_b64 v7, v[8:9]
.LBB427_25:
	s_or_b64 exec, exec, s[0:1]
	s_movk_i32 s0, 0xe0
	v_cmp_gt_u32_e32 vcc, s0, v0
	s_waitcnt lgkmcnt(0)
	s_barrier
	s_and_saveexec_b64 s[0:1], vcc
	s_cbranch_execz .LBB427_27
; %bb.26:
	ds_read2_b64 v[8:11], v7 offset1:224
	s_waitcnt lgkmcnt(0)
	v_add_f32_e32 v8, v10, v8
	v_add_f32_e32 v9, v11, v9
	ds_write_b64 v7, v[8:9]
.LBB427_27:
	s_or_b64 exec, exec, s[0:1]
	s_movk_i32 s0, 0x70
	v_cmp_gt_u32_e32 vcc, s0, v0
	s_waitcnt lgkmcnt(0)
	s_barrier
	s_and_saveexec_b64 s[0:1], vcc
	s_cbranch_execz .LBB427_29
; %bb.28:
	ds_read2_b64 v[8:11], v7 offset1:112
	s_waitcnt lgkmcnt(0)
	v_add_f32_e32 v8, v10, v8
	v_add_f32_e32 v9, v11, v9
	ds_write_b64 v7, v[8:9]
.LBB427_29:
	s_or_b64 exec, exec, s[0:1]
	v_cmp_gt_u32_e32 vcc, 56, v0
	s_waitcnt lgkmcnt(0)
	s_barrier
	s_and_saveexec_b64 s[0:1], vcc
	s_cbranch_execz .LBB427_31
; %bb.30:
	ds_read2_b64 v[8:11], v7 offset1:56
	s_waitcnt lgkmcnt(0)
	v_add_f32_e32 v8, v10, v8
	v_add_f32_e32 v9, v11, v9
	ds_write_b64 v7, v[8:9]
.LBB427_31:
	s_or_b64 exec, exec, s[0:1]
	v_cmp_gt_u32_e32 vcc, 28, v0
	s_waitcnt lgkmcnt(0)
	s_and_saveexec_b64 s[0:1], vcc
	s_cbranch_execz .LBB427_33
; %bb.32:
	ds_read2_b64 v[8:11], v7 offset1:28
	s_waitcnt lgkmcnt(0)
	v_add_f32_e32 v5, v10, v8
	v_add_f32_e32 v6, v11, v9
.LBB427_33:
	s_or_b64 exec, exec, s[0:1]
	v_mov_b32_e32 v9, v6
	v_mov_b32_e32 v8, v5
.LBB427_34:
	v_cmp_gt_u32_e32 vcc, 28, v0
	s_and_b64 exec, exec, vcc
	s_cbranch_execz .LBB427_39
; %bb.35:
	v_cmp_eq_f32_e32 vcc, 0, v1
	v_cmp_eq_f32_e64 s[0:1], 0, v2
	v_mul_f32_e64 v5, v9, -v4
	v_mul_f32_e32 v6, v3, v9
	s_and_b64 s[0:1], vcc, s[0:1]
	v_fmac_f32_e32 v5, v3, v8
	v_fmac_f32_e32 v6, v4, v8
	s_mul_i32 s2, s7, 0xe0
	s_mul_hi_u32 s3, s6, 0xe0
	s_mul_i32 s4, s6, 0xe0
	s_and_saveexec_b64 s[6:7], s[0:1]
	s_xor_b64 s[0:1], exec, s[6:7]
	s_cbranch_execz .LBB427_37
; %bb.36:
	s_add_i32 s5, s3, s2
	s_add_u32 s6, s12, s4
	s_addc_u32 s7, s13, s5
	global_store_dwordx2 v7, v[5:6], s[6:7]
                                        ; implicit-def: $vgpr7
                                        ; implicit-def: $vgpr1_vgpr2
                                        ; implicit-def: $vgpr5
.LBB427_37:
	s_andn2_saveexec_b64 s[0:1], s[0:1]
	s_cbranch_execz .LBB427_39
; %bb.38:
	s_add_i32 s3, s3, s2
	s_add_u32 s0, s12, s4
	s_addc_u32 s1, s13, s3
	global_load_dwordx2 v[3:4], v7, s[0:1]
	s_waitcnt vmcnt(0)
	v_fmac_f32_e32 v5, v1, v3
	v_fmac_f32_e32 v6, v2, v3
	v_fma_f32 v5, -v2, v4, v5
	v_fmac_f32_e32 v6, v1, v4
	global_store_dwordx2 v7, v[5:6], s[0:1]
.LBB427_39:
	s_endpgm
	.section	.rodata,"a",@progbits
	.p2align	6, 0x0
	.amdhsa_kernel _ZN9rocsparseL20bsrxmvn_17_32_kernelILj28E21rocsparse_complex_numIfEllfS2_S2_EEvT2_20rocsparse_direction_NS_24const_host_device_scalarIT0_EES3_PKS3_PKT1_SC_S9_PKT3_PKT4_S7_PT5_21rocsparse_index_base_b
		.amdhsa_group_segment_fixed_size 6272
		.amdhsa_private_segment_fixed_size 0
		.amdhsa_kernarg_size 104
		.amdhsa_user_sgpr_count 6
		.amdhsa_user_sgpr_private_segment_buffer 1
		.amdhsa_user_sgpr_dispatch_ptr 0
		.amdhsa_user_sgpr_queue_ptr 0
		.amdhsa_user_sgpr_kernarg_segment_ptr 1
		.amdhsa_user_sgpr_dispatch_id 0
		.amdhsa_user_sgpr_flat_scratch_init 0
		.amdhsa_user_sgpr_private_segment_size 0
		.amdhsa_uses_dynamic_stack 0
		.amdhsa_system_sgpr_private_segment_wavefront_offset 0
		.amdhsa_system_sgpr_workgroup_id_x 1
		.amdhsa_system_sgpr_workgroup_id_y 0
		.amdhsa_system_sgpr_workgroup_id_z 0
		.amdhsa_system_sgpr_workgroup_info 0
		.amdhsa_system_vgpr_workitem_id 0
		.amdhsa_next_free_vgpr 20
		.amdhsa_next_free_sgpr 22
		.amdhsa_reserve_vcc 1
		.amdhsa_reserve_flat_scratch 0
		.amdhsa_float_round_mode_32 0
		.amdhsa_float_round_mode_16_64 0
		.amdhsa_float_denorm_mode_32 3
		.amdhsa_float_denorm_mode_16_64 3
		.amdhsa_dx10_clamp 1
		.amdhsa_ieee_mode 1
		.amdhsa_fp16_overflow 0
		.amdhsa_exception_fp_ieee_invalid_op 0
		.amdhsa_exception_fp_denorm_src 0
		.amdhsa_exception_fp_ieee_div_zero 0
		.amdhsa_exception_fp_ieee_overflow 0
		.amdhsa_exception_fp_ieee_underflow 0
		.amdhsa_exception_fp_ieee_inexact 0
		.amdhsa_exception_int_div_zero 0
	.end_amdhsa_kernel
	.section	.text._ZN9rocsparseL20bsrxmvn_17_32_kernelILj28E21rocsparse_complex_numIfEllfS2_S2_EEvT2_20rocsparse_direction_NS_24const_host_device_scalarIT0_EES3_PKS3_PKT1_SC_S9_PKT3_PKT4_S7_PT5_21rocsparse_index_base_b,"axG",@progbits,_ZN9rocsparseL20bsrxmvn_17_32_kernelILj28E21rocsparse_complex_numIfEllfS2_S2_EEvT2_20rocsparse_direction_NS_24const_host_device_scalarIT0_EES3_PKS3_PKT1_SC_S9_PKT3_PKT4_S7_PT5_21rocsparse_index_base_b,comdat
.Lfunc_end427:
	.size	_ZN9rocsparseL20bsrxmvn_17_32_kernelILj28E21rocsparse_complex_numIfEllfS2_S2_EEvT2_20rocsparse_direction_NS_24const_host_device_scalarIT0_EES3_PKS3_PKT1_SC_S9_PKT3_PKT4_S7_PT5_21rocsparse_index_base_b, .Lfunc_end427-_ZN9rocsparseL20bsrxmvn_17_32_kernelILj28E21rocsparse_complex_numIfEllfS2_S2_EEvT2_20rocsparse_direction_NS_24const_host_device_scalarIT0_EES3_PKS3_PKT1_SC_S9_PKT3_PKT4_S7_PT5_21rocsparse_index_base_b
                                        ; -- End function
	.set _ZN9rocsparseL20bsrxmvn_17_32_kernelILj28E21rocsparse_complex_numIfEllfS2_S2_EEvT2_20rocsparse_direction_NS_24const_host_device_scalarIT0_EES3_PKS3_PKT1_SC_S9_PKT3_PKT4_S7_PT5_21rocsparse_index_base_b.num_vgpr, 20
	.set _ZN9rocsparseL20bsrxmvn_17_32_kernelILj28E21rocsparse_complex_numIfEllfS2_S2_EEvT2_20rocsparse_direction_NS_24const_host_device_scalarIT0_EES3_PKS3_PKT1_SC_S9_PKT3_PKT4_S7_PT5_21rocsparse_index_base_b.num_agpr, 0
	.set _ZN9rocsparseL20bsrxmvn_17_32_kernelILj28E21rocsparse_complex_numIfEllfS2_S2_EEvT2_20rocsparse_direction_NS_24const_host_device_scalarIT0_EES3_PKS3_PKT1_SC_S9_PKT3_PKT4_S7_PT5_21rocsparse_index_base_b.numbered_sgpr, 22
	.set _ZN9rocsparseL20bsrxmvn_17_32_kernelILj28E21rocsparse_complex_numIfEllfS2_S2_EEvT2_20rocsparse_direction_NS_24const_host_device_scalarIT0_EES3_PKS3_PKT1_SC_S9_PKT3_PKT4_S7_PT5_21rocsparse_index_base_b.num_named_barrier, 0
	.set _ZN9rocsparseL20bsrxmvn_17_32_kernelILj28E21rocsparse_complex_numIfEllfS2_S2_EEvT2_20rocsparse_direction_NS_24const_host_device_scalarIT0_EES3_PKS3_PKT1_SC_S9_PKT3_PKT4_S7_PT5_21rocsparse_index_base_b.private_seg_size, 0
	.set _ZN9rocsparseL20bsrxmvn_17_32_kernelILj28E21rocsparse_complex_numIfEllfS2_S2_EEvT2_20rocsparse_direction_NS_24const_host_device_scalarIT0_EES3_PKS3_PKT1_SC_S9_PKT3_PKT4_S7_PT5_21rocsparse_index_base_b.uses_vcc, 1
	.set _ZN9rocsparseL20bsrxmvn_17_32_kernelILj28E21rocsparse_complex_numIfEllfS2_S2_EEvT2_20rocsparse_direction_NS_24const_host_device_scalarIT0_EES3_PKS3_PKT1_SC_S9_PKT3_PKT4_S7_PT5_21rocsparse_index_base_b.uses_flat_scratch, 0
	.set _ZN9rocsparseL20bsrxmvn_17_32_kernelILj28E21rocsparse_complex_numIfEllfS2_S2_EEvT2_20rocsparse_direction_NS_24const_host_device_scalarIT0_EES3_PKS3_PKT1_SC_S9_PKT3_PKT4_S7_PT5_21rocsparse_index_base_b.has_dyn_sized_stack, 0
	.set _ZN9rocsparseL20bsrxmvn_17_32_kernelILj28E21rocsparse_complex_numIfEllfS2_S2_EEvT2_20rocsparse_direction_NS_24const_host_device_scalarIT0_EES3_PKS3_PKT1_SC_S9_PKT3_PKT4_S7_PT5_21rocsparse_index_base_b.has_recursion, 0
	.set _ZN9rocsparseL20bsrxmvn_17_32_kernelILj28E21rocsparse_complex_numIfEllfS2_S2_EEvT2_20rocsparse_direction_NS_24const_host_device_scalarIT0_EES3_PKS3_PKT1_SC_S9_PKT3_PKT4_S7_PT5_21rocsparse_index_base_b.has_indirect_call, 0
	.section	.AMDGPU.csdata,"",@progbits
; Kernel info:
; codeLenInByte = 1480
; TotalNumSgprs: 26
; NumVgprs: 20
; ScratchSize: 0
; MemoryBound: 0
; FloatMode: 240
; IeeeMode: 1
; LDSByteSize: 6272 bytes/workgroup (compile time only)
; SGPRBlocks: 3
; VGPRBlocks: 4
; NumSGPRsForWavesPerEU: 26
; NumVGPRsForWavesPerEU: 20
; Occupancy: 10
; WaveLimiterHint : 1
; COMPUTE_PGM_RSRC2:SCRATCH_EN: 0
; COMPUTE_PGM_RSRC2:USER_SGPR: 6
; COMPUTE_PGM_RSRC2:TRAP_HANDLER: 0
; COMPUTE_PGM_RSRC2:TGID_X_EN: 1
; COMPUTE_PGM_RSRC2:TGID_Y_EN: 0
; COMPUTE_PGM_RSRC2:TGID_Z_EN: 0
; COMPUTE_PGM_RSRC2:TIDIG_COMP_CNT: 0
	.section	.text._ZN9rocsparseL20bsrxmvn_17_32_kernelILj29E21rocsparse_complex_numIfEllfS2_S2_EEvT2_20rocsparse_direction_NS_24const_host_device_scalarIT0_EES3_PKS3_PKT1_SC_S9_PKT3_PKT4_S7_PT5_21rocsparse_index_base_b,"axG",@progbits,_ZN9rocsparseL20bsrxmvn_17_32_kernelILj29E21rocsparse_complex_numIfEllfS2_S2_EEvT2_20rocsparse_direction_NS_24const_host_device_scalarIT0_EES3_PKS3_PKT1_SC_S9_PKT3_PKT4_S7_PT5_21rocsparse_index_base_b,comdat
	.globl	_ZN9rocsparseL20bsrxmvn_17_32_kernelILj29E21rocsparse_complex_numIfEllfS2_S2_EEvT2_20rocsparse_direction_NS_24const_host_device_scalarIT0_EES3_PKS3_PKT1_SC_S9_PKT3_PKT4_S7_PT5_21rocsparse_index_base_b ; -- Begin function _ZN9rocsparseL20bsrxmvn_17_32_kernelILj29E21rocsparse_complex_numIfEllfS2_S2_EEvT2_20rocsparse_direction_NS_24const_host_device_scalarIT0_EES3_PKS3_PKT1_SC_S9_PKT3_PKT4_S7_PT5_21rocsparse_index_base_b
	.p2align	8
	.type	_ZN9rocsparseL20bsrxmvn_17_32_kernelILj29E21rocsparse_complex_numIfEllfS2_S2_EEvT2_20rocsparse_direction_NS_24const_host_device_scalarIT0_EES3_PKS3_PKT1_SC_S9_PKT3_PKT4_S7_PT5_21rocsparse_index_base_b,@function
_ZN9rocsparseL20bsrxmvn_17_32_kernelILj29E21rocsparse_complex_numIfEllfS2_S2_EEvT2_20rocsparse_direction_NS_24const_host_device_scalarIT0_EES3_PKS3_PKT1_SC_S9_PKT3_PKT4_S7_PT5_21rocsparse_index_base_b: ; @_ZN9rocsparseL20bsrxmvn_17_32_kernelILj29E21rocsparse_complex_numIfEllfS2_S2_EEvT2_20rocsparse_direction_NS_24const_host_device_scalarIT0_EES3_PKS3_PKT1_SC_S9_PKT3_PKT4_S7_PT5_21rocsparse_index_base_b
; %bb.0:
	s_load_dwordx2 s[0:1], s[4:5], 0x10
	s_load_dwordx2 s[14:15], s[4:5], 0x60
	s_add_u32 s7, s4, 16
	s_addc_u32 s8, s5, 0
	s_add_u32 s9, s4, 0x50
	s_load_dwordx2 s[2:3], s[4:5], 0x50
	s_addc_u32 s10, s5, 0
	s_waitcnt lgkmcnt(0)
	s_bitcmp1_b32 s15, 0
	s_cselect_b32 s1, s8, s1
	s_cselect_b32 s0, s7, s0
	v_mov_b32_e32 v1, s0
	v_mov_b32_e32 v2, s1
	flat_load_dwordx2 v[3:4], v[1:2]
	s_cselect_b32 s0, s10, s3
	s_cselect_b32 s1, s9, s2
	v_mov_b32_e32 v1, s1
	v_mov_b32_e32 v2, s0
	flat_load_dwordx2 v[1:2], v[1:2]
	s_waitcnt vmcnt(0) lgkmcnt(0)
	v_cmp_eq_f32_e32 vcc, 0, v3
	v_cmp_eq_f32_e64 s[0:1], 0, v4
	s_and_b64 s[8:9], vcc, s[0:1]
	s_mov_b64 s[0:1], -1
	s_and_saveexec_b64 s[2:3], s[8:9]
; %bb.1:
	v_cmp_neq_f32_e32 vcc, 1.0, v1
	v_cmp_neq_f32_e64 s[0:1], 0, v2
	s_or_b64 s[0:1], vcc, s[0:1]
	s_orn2_b64 s[0:1], s[0:1], exec
; %bb.2:
	s_or_b64 exec, exec, s[2:3]
	s_and_saveexec_b64 s[2:3], s[0:1]
	s_cbranch_execz .LBB428_39
; %bb.3:
	s_load_dwordx4 s[0:3], s[4:5], 0x20
	s_load_dwordx2 s[8:9], s[4:5], 0x30
	s_mov_b32 s7, 0
	s_waitcnt lgkmcnt(0)
	s_cmp_eq_u64 s[0:1], 0
	s_cbranch_scc1 .LBB428_5
; %bb.4:
	s_lshl_b64 s[6:7], s[6:7], 3
	s_add_u32 s0, s0, s6
	s_addc_u32 s1, s1, s7
	s_load_dwordx2 s[0:1], s[0:1], 0x0
	s_waitcnt lgkmcnt(0)
	s_sub_u32 s6, s0, s14
	s_subb_u32 s7, s1, 0
.LBB428_5:
	s_load_dword s10, s[4:5], 0x8
	s_load_dwordx2 s[12:13], s[4:5], 0x58
	v_mul_u32_u24_e32 v7, 0x8d4, v0
	v_mov_b32_e32 v5, 29
	v_mul_lo_u16_sdwa v5, v7, v5 dst_sel:DWORD dst_unused:UNUSED_PAD src0_sel:WORD_1 src1_sel:DWORD
	s_waitcnt lgkmcnt(0)
	s_cmp_eq_u32 s10, 1
	s_cselect_b64 s[0:1], -1, 0
	s_cmp_lg_u32 s10, 1
	s_cselect_b64 s[16:17], -1, 0
	s_lshl_b64 s[10:11], s[6:7], 3
	s_add_u32 s20, s2, s10
	s_addc_u32 s21, s3, s11
	s_add_u32 s2, s20, 8
	s_addc_u32 s3, s21, 0
	;; [unrolled: 2-line block ×3, first 2 shown]
	s_cmp_eq_u64 s[8:9], 0
	s_cselect_b32 s9, s3, s11
	s_cselect_b32 s8, s2, s10
	s_load_dwordx2 s[2:3], s[8:9], 0x0
	s_load_dwordx2 s[18:19], s[20:21], 0x0
	v_sub_u16_e32 v15, v0, v5
	s_waitcnt lgkmcnt(0)
	v_mov_b32_e32 v6, s3
	v_mov_b32_e32 v5, s2
	v_cmp_ge_i64_e32 vcc, s[18:19], v[5:6]
	v_mov_b32_e32 v6, 0
	v_mov_b32_e32 v5, 0
	s_cbranch_vccnz .LBB428_10
; %bb.6:
	s_load_dwordx4 s[8:11], s[4:5], 0x38
	s_load_dwordx2 s[20:21], s[4:5], 0x48
	s_mov_b32 s4, 0xffff
	s_movk_i32 s5, 0x349
	v_and_b32_sdwa v5, s4, v7 dst_sel:DWORD dst_unused:UNUSED_PAD src0_sel:DWORD src1_sel:WORD_1
	s_sub_u32 s2, s2, s14
	v_subrev_u32_e32 v6, 29, v5
	v_cmp_gt_u32_e32 vcc, s5, v0
	s_subb_u32 s3, s3, 0
	v_cndmask_b32_e32 v5, v6, v5, vcc
	s_sub_u32 s4, s18, s14
	v_cndmask_b32_e64 v5, v15, v5, s[0:1]
	v_mov_b32_e32 v6, 0
	s_subb_u32 s5, s19, 0
	v_lshlrev_b64 v[7:8], 3, v[5:6]
	s_mul_i32 s0, s5, 0xd24
	s_mul_hi_u32 s1, s4, 0xd24
	s_add_i32 s1, s1, s0
	s_mul_i32 s0, s4, 0xd24
	s_waitcnt lgkmcnt(0)
	v_mov_b32_e32 v5, s21
	v_add_co_u32_e32 v7, vcc, s20, v7
	s_add_u32 s0, s10, s0
	v_addc_co_u32_e32 v8, vcc, v5, v8, vcc
	s_addc_u32 s1, s11, s1
	v_lshlrev_b32_e32 v5, 2, v0
	v_mov_b32_e32 v10, s1
	v_add_co_u32_e32 v9, vcc, s0, v5
	v_addc_co_u32_e32 v10, vcc, 0, v10, vcc
	s_movk_i32 s0, 0x348
	v_cmp_lt_u32_e32 vcc, s0, v0
	v_cndmask_b32_e64 v16, 0, 1, vcc
	v_mov_b32_e32 v5, s19
	v_add_co_u32_e32 v11, vcc, s18, v16
	v_addc_co_u32_e32 v5, vcc, 0, v5, vcc
	v_subrev_co_u32_e32 v11, vcc, s14, v11
	v_subbrev_co_u32_e32 v12, vcc, 0, v5, vcc
	v_lshlrev_b64 v[11:12], 3, v[11:12]
	v_mov_b32_e32 v5, s9
	v_add_co_u32_e32 v11, vcc, s8, v11
	v_mov_b32_e32 v14, s3
	v_addc_co_u32_e32 v12, vcc, v5, v12, vcc
	s_movk_i32 s8, 0xe8
	v_mov_b32_e32 v13, s2
	v_mov_b32_e32 v5, v6
	s_branch .LBB428_8
.LBB428_7:                              ;   in Loop: Header=BB428_8 Depth=1
	s_or_b64 exec, exec, s[0:1]
	s_add_u32 s4, s4, 1
	s_addc_u32 s5, s5, 0
	v_cmp_lt_i64_e32 vcc, s[4:5], v[13:14]
	v_add_co_u32_e64 v11, s[0:1], 8, v11
	v_addc_co_u32_e64 v12, s[0:1], 0, v12, s[0:1]
	s_cbranch_vccz .LBB428_10
.LBB428_8:                              ; =>This Inner Loop Header: Depth=1
	v_mov_b32_e32 v18, s5
	v_add_co_u32_e32 v17, vcc, s4, v16
	v_addc_co_u32_e32 v18, vcc, 0, v18, vcc
	v_cmp_gt_i64_e32 vcc, s[2:3], v[17:18]
	s_and_saveexec_b64 s[0:1], vcc
	s_cbranch_execz .LBB428_7
; %bb.9:                                ;   in Loop: Header=BB428_8 Depth=1
	global_load_dwordx2 v[17:18], v[11:12], off
	s_waitcnt vmcnt(0)
	v_subrev_co_u32_e32 v17, vcc, s14, v17
	v_subbrev_co_u32_e32 v19, vcc, 0, v18, vcc
	v_mad_u64_u32 v[17:18], s[10:11], v17, s8, v[7:8]
	v_mad_u64_u32 v[18:19], s[10:11], v19, s8, v[18:19]
	global_load_dword v19, v[9:10], off
	s_nop 0
	global_load_dwordx2 v[17:18], v[17:18], off
	v_add_co_u32_e32 v9, vcc, 0xd24, v9
	v_addc_co_u32_e32 v10, vcc, 0, v10, vcc
	s_waitcnt vmcnt(0)
	v_fmac_f32_e32 v5, v19, v17
	v_fmac_f32_e32 v6, 0, v17
	v_fmac_f32_e32 v5, 0x80000000, v18
	v_fmac_f32_e32 v6, v19, v18
	s_branch .LBB428_7
.LBB428_10:
	v_lshlrev_b32_e32 v7, 3, v0
	s_and_b64 vcc, exec, s[16:17]
	ds_write_b64 v7, v[5:6]
	s_waitcnt lgkmcnt(0)
	s_barrier
	s_cbranch_vccz .LBB428_22
; %bb.11:
	v_cmp_gt_u16_e32 vcc, 13, v15
	s_and_saveexec_b64 s[0:1], vcc
	s_cbranch_execz .LBB428_13
; %bb.12:
	ds_read2_b64 v[8:11], v7 offset1:16
	s_waitcnt lgkmcnt(0)
	v_add_f32_e32 v8, v10, v8
	v_add_f32_e32 v9, v11, v9
	ds_write_b64 v7, v[8:9]
.LBB428_13:
	s_or_b64 exec, exec, s[0:1]
	v_cmp_gt_u16_e32 vcc, 8, v15
	s_waitcnt lgkmcnt(0)
	s_barrier
	s_and_saveexec_b64 s[0:1], vcc
	s_cbranch_execz .LBB428_15
; %bb.14:
	ds_read2_b64 v[8:11], v7 offset1:8
	s_waitcnt lgkmcnt(0)
	v_add_f32_e32 v8, v10, v8
	v_add_f32_e32 v9, v11, v9
	ds_write_b64 v7, v[8:9]
.LBB428_15:
	s_or_b64 exec, exec, s[0:1]
	v_cmp_gt_u16_e32 vcc, 4, v15
	s_waitcnt lgkmcnt(0)
	s_barrier
	;; [unrolled: 13-line block ×3, first 2 shown]
	s_and_saveexec_b64 s[0:1], vcc
	s_cbranch_execz .LBB428_19
; %bb.18:
	ds_read2_b64 v[8:11], v7 offset1:2
	s_waitcnt lgkmcnt(0)
	v_add_f32_e32 v8, v10, v8
	v_add_f32_e32 v9, v11, v9
	ds_write_b64 v7, v[8:9]
.LBB428_19:
	s_or_b64 exec, exec, s[0:1]
	v_cmp_gt_u32_e32 vcc, 29, v0
	v_mov_b32_e32 v9, v6
	v_mov_b32_e32 v8, v5
	s_waitcnt lgkmcnt(0)
	s_barrier
	s_and_saveexec_b64 s[0:1], vcc
	s_cbranch_execz .LBB428_21
; %bb.20:
	s_movk_i32 s2, 0xe0
	v_mad_u32_u24 v8, v0, s2, v7
	ds_read2_b64 v[8:11], v8 offset1:1
	s_waitcnt lgkmcnt(0)
	v_add_f32_e32 v8, v10, v8
	v_add_f32_e32 v9, v11, v9
.LBB428_21:
	s_or_b64 exec, exec, s[0:1]
	s_branch .LBB428_34
.LBB428_22:
                                        ; implicit-def: $vgpr9
                                        ; implicit-def: $vgpr8
	s_cbranch_execz .LBB428_34
; %bb.23:
	s_movk_i32 s0, 0x179
	v_cmp_gt_u32_e32 vcc, s0, v0
	s_and_saveexec_b64 s[0:1], vcc
	s_cbranch_execz .LBB428_25
; %bb.24:
	ds_read_b64 v[8:9], v7 offset:3712
	ds_read_b64 v[10:11], v7
	s_waitcnt lgkmcnt(0)
	v_add_f32_e32 v8, v8, v10
	v_add_f32_e32 v9, v9, v11
	ds_write_b64 v7, v[8:9]
.LBB428_25:
	s_or_b64 exec, exec, s[0:1]
	s_movk_i32 s0, 0xe8
	v_cmp_gt_u32_e32 vcc, s0, v0
	s_waitcnt lgkmcnt(0)
	s_barrier
	s_and_saveexec_b64 s[0:1], vcc
	s_cbranch_execz .LBB428_27
; %bb.26:
	ds_read2_b64 v[8:11], v7 offset1:232
	s_waitcnt lgkmcnt(0)
	v_add_f32_e32 v8, v10, v8
	v_add_f32_e32 v9, v11, v9
	ds_write_b64 v7, v[8:9]
.LBB428_27:
	s_or_b64 exec, exec, s[0:1]
	s_movk_i32 s0, 0x74
	v_cmp_gt_u32_e32 vcc, s0, v0
	s_waitcnt lgkmcnt(0)
	s_barrier
	s_and_saveexec_b64 s[0:1], vcc
	s_cbranch_execz .LBB428_29
; %bb.28:
	ds_read2_b64 v[8:11], v7 offset1:116
	s_waitcnt lgkmcnt(0)
	v_add_f32_e32 v8, v10, v8
	v_add_f32_e32 v9, v11, v9
	ds_write_b64 v7, v[8:9]
.LBB428_29:
	s_or_b64 exec, exec, s[0:1]
	v_cmp_gt_u32_e32 vcc, 58, v0
	s_waitcnt lgkmcnt(0)
	s_barrier
	s_and_saveexec_b64 s[0:1], vcc
	s_cbranch_execz .LBB428_31
; %bb.30:
	ds_read2_b64 v[8:11], v7 offset1:58
	s_waitcnt lgkmcnt(0)
	v_add_f32_e32 v8, v10, v8
	v_add_f32_e32 v9, v11, v9
	ds_write_b64 v7, v[8:9]
.LBB428_31:
	s_or_b64 exec, exec, s[0:1]
	v_cmp_gt_u32_e32 vcc, 29, v0
	s_waitcnt lgkmcnt(0)
	s_and_saveexec_b64 s[0:1], vcc
	s_cbranch_execz .LBB428_33
; %bb.32:
	ds_read2_b64 v[8:11], v7 offset1:29
	s_waitcnt lgkmcnt(0)
	v_add_f32_e32 v5, v10, v8
	v_add_f32_e32 v6, v11, v9
.LBB428_33:
	s_or_b64 exec, exec, s[0:1]
	v_mov_b32_e32 v9, v6
	v_mov_b32_e32 v8, v5
.LBB428_34:
	v_cmp_gt_u32_e32 vcc, 29, v0
	s_and_b64 exec, exec, vcc
	s_cbranch_execz .LBB428_39
; %bb.35:
	v_cmp_eq_f32_e32 vcc, 0, v1
	v_cmp_eq_f32_e64 s[0:1], 0, v2
	v_mul_f32_e64 v5, v9, -v4
	v_mul_f32_e32 v6, v3, v9
	s_and_b64 s[0:1], vcc, s[0:1]
	v_fmac_f32_e32 v5, v3, v8
	v_fmac_f32_e32 v6, v4, v8
	s_mul_i32 s2, s7, 0xe8
	s_mul_hi_u32 s3, s6, 0xe8
	s_mul_i32 s4, s6, 0xe8
	s_and_saveexec_b64 s[6:7], s[0:1]
	s_xor_b64 s[0:1], exec, s[6:7]
	s_cbranch_execz .LBB428_37
; %bb.36:
	s_add_i32 s5, s3, s2
	s_add_u32 s6, s12, s4
	s_addc_u32 s7, s13, s5
	global_store_dwordx2 v7, v[5:6], s[6:7]
                                        ; implicit-def: $vgpr7
                                        ; implicit-def: $vgpr1_vgpr2
                                        ; implicit-def: $vgpr5
.LBB428_37:
	s_andn2_saveexec_b64 s[0:1], s[0:1]
	s_cbranch_execz .LBB428_39
; %bb.38:
	s_add_i32 s3, s3, s2
	s_add_u32 s0, s12, s4
	s_addc_u32 s1, s13, s3
	global_load_dwordx2 v[3:4], v7, s[0:1]
	s_waitcnt vmcnt(0)
	v_fmac_f32_e32 v5, v1, v3
	v_fmac_f32_e32 v6, v2, v3
	v_fma_f32 v5, -v2, v4, v5
	v_fmac_f32_e32 v6, v1, v4
	global_store_dwordx2 v7, v[5:6], s[0:1]
.LBB428_39:
	s_endpgm
	.section	.rodata,"a",@progbits
	.p2align	6, 0x0
	.amdhsa_kernel _ZN9rocsparseL20bsrxmvn_17_32_kernelILj29E21rocsparse_complex_numIfEllfS2_S2_EEvT2_20rocsparse_direction_NS_24const_host_device_scalarIT0_EES3_PKS3_PKT1_SC_S9_PKT3_PKT4_S7_PT5_21rocsparse_index_base_b
		.amdhsa_group_segment_fixed_size 6728
		.amdhsa_private_segment_fixed_size 0
		.amdhsa_kernarg_size 104
		.amdhsa_user_sgpr_count 6
		.amdhsa_user_sgpr_private_segment_buffer 1
		.amdhsa_user_sgpr_dispatch_ptr 0
		.amdhsa_user_sgpr_queue_ptr 0
		.amdhsa_user_sgpr_kernarg_segment_ptr 1
		.amdhsa_user_sgpr_dispatch_id 0
		.amdhsa_user_sgpr_flat_scratch_init 0
		.amdhsa_user_sgpr_private_segment_size 0
		.amdhsa_uses_dynamic_stack 0
		.amdhsa_system_sgpr_private_segment_wavefront_offset 0
		.amdhsa_system_sgpr_workgroup_id_x 1
		.amdhsa_system_sgpr_workgroup_id_y 0
		.amdhsa_system_sgpr_workgroup_id_z 0
		.amdhsa_system_sgpr_workgroup_info 0
		.amdhsa_system_vgpr_workitem_id 0
		.amdhsa_next_free_vgpr 33
		.amdhsa_next_free_sgpr 77
		.amdhsa_reserve_vcc 1
		.amdhsa_reserve_flat_scratch 0
		.amdhsa_float_round_mode_32 0
		.amdhsa_float_round_mode_16_64 0
		.amdhsa_float_denorm_mode_32 3
		.amdhsa_float_denorm_mode_16_64 3
		.amdhsa_dx10_clamp 1
		.amdhsa_ieee_mode 1
		.amdhsa_fp16_overflow 0
		.amdhsa_exception_fp_ieee_invalid_op 0
		.amdhsa_exception_fp_denorm_src 0
		.amdhsa_exception_fp_ieee_div_zero 0
		.amdhsa_exception_fp_ieee_overflow 0
		.amdhsa_exception_fp_ieee_underflow 0
		.amdhsa_exception_fp_ieee_inexact 0
		.amdhsa_exception_int_div_zero 0
	.end_amdhsa_kernel
	.section	.text._ZN9rocsparseL20bsrxmvn_17_32_kernelILj29E21rocsparse_complex_numIfEllfS2_S2_EEvT2_20rocsparse_direction_NS_24const_host_device_scalarIT0_EES3_PKS3_PKT1_SC_S9_PKT3_PKT4_S7_PT5_21rocsparse_index_base_b,"axG",@progbits,_ZN9rocsparseL20bsrxmvn_17_32_kernelILj29E21rocsparse_complex_numIfEllfS2_S2_EEvT2_20rocsparse_direction_NS_24const_host_device_scalarIT0_EES3_PKS3_PKT1_SC_S9_PKT3_PKT4_S7_PT5_21rocsparse_index_base_b,comdat
.Lfunc_end428:
	.size	_ZN9rocsparseL20bsrxmvn_17_32_kernelILj29E21rocsparse_complex_numIfEllfS2_S2_EEvT2_20rocsparse_direction_NS_24const_host_device_scalarIT0_EES3_PKS3_PKT1_SC_S9_PKT3_PKT4_S7_PT5_21rocsparse_index_base_b, .Lfunc_end428-_ZN9rocsparseL20bsrxmvn_17_32_kernelILj29E21rocsparse_complex_numIfEllfS2_S2_EEvT2_20rocsparse_direction_NS_24const_host_device_scalarIT0_EES3_PKS3_PKT1_SC_S9_PKT3_PKT4_S7_PT5_21rocsparse_index_base_b
                                        ; -- End function
	.set _ZN9rocsparseL20bsrxmvn_17_32_kernelILj29E21rocsparse_complex_numIfEllfS2_S2_EEvT2_20rocsparse_direction_NS_24const_host_device_scalarIT0_EES3_PKS3_PKT1_SC_S9_PKT3_PKT4_S7_PT5_21rocsparse_index_base_b.num_vgpr, 20
	.set _ZN9rocsparseL20bsrxmvn_17_32_kernelILj29E21rocsparse_complex_numIfEllfS2_S2_EEvT2_20rocsparse_direction_NS_24const_host_device_scalarIT0_EES3_PKS3_PKT1_SC_S9_PKT3_PKT4_S7_PT5_21rocsparse_index_base_b.num_agpr, 0
	.set _ZN9rocsparseL20bsrxmvn_17_32_kernelILj29E21rocsparse_complex_numIfEllfS2_S2_EEvT2_20rocsparse_direction_NS_24const_host_device_scalarIT0_EES3_PKS3_PKT1_SC_S9_PKT3_PKT4_S7_PT5_21rocsparse_index_base_b.numbered_sgpr, 22
	.set _ZN9rocsparseL20bsrxmvn_17_32_kernelILj29E21rocsparse_complex_numIfEllfS2_S2_EEvT2_20rocsparse_direction_NS_24const_host_device_scalarIT0_EES3_PKS3_PKT1_SC_S9_PKT3_PKT4_S7_PT5_21rocsparse_index_base_b.num_named_barrier, 0
	.set _ZN9rocsparseL20bsrxmvn_17_32_kernelILj29E21rocsparse_complex_numIfEllfS2_S2_EEvT2_20rocsparse_direction_NS_24const_host_device_scalarIT0_EES3_PKS3_PKT1_SC_S9_PKT3_PKT4_S7_PT5_21rocsparse_index_base_b.private_seg_size, 0
	.set _ZN9rocsparseL20bsrxmvn_17_32_kernelILj29E21rocsparse_complex_numIfEllfS2_S2_EEvT2_20rocsparse_direction_NS_24const_host_device_scalarIT0_EES3_PKS3_PKT1_SC_S9_PKT3_PKT4_S7_PT5_21rocsparse_index_base_b.uses_vcc, 1
	.set _ZN9rocsparseL20bsrxmvn_17_32_kernelILj29E21rocsparse_complex_numIfEllfS2_S2_EEvT2_20rocsparse_direction_NS_24const_host_device_scalarIT0_EES3_PKS3_PKT1_SC_S9_PKT3_PKT4_S7_PT5_21rocsparse_index_base_b.uses_flat_scratch, 0
	.set _ZN9rocsparseL20bsrxmvn_17_32_kernelILj29E21rocsparse_complex_numIfEllfS2_S2_EEvT2_20rocsparse_direction_NS_24const_host_device_scalarIT0_EES3_PKS3_PKT1_SC_S9_PKT3_PKT4_S7_PT5_21rocsparse_index_base_b.has_dyn_sized_stack, 0
	.set _ZN9rocsparseL20bsrxmvn_17_32_kernelILj29E21rocsparse_complex_numIfEllfS2_S2_EEvT2_20rocsparse_direction_NS_24const_host_device_scalarIT0_EES3_PKS3_PKT1_SC_S9_PKT3_PKT4_S7_PT5_21rocsparse_index_base_b.has_recursion, 0
	.set _ZN9rocsparseL20bsrxmvn_17_32_kernelILj29E21rocsparse_complex_numIfEllfS2_S2_EEvT2_20rocsparse_direction_NS_24const_host_device_scalarIT0_EES3_PKS3_PKT1_SC_S9_PKT3_PKT4_S7_PT5_21rocsparse_index_base_b.has_indirect_call, 0
	.section	.AMDGPU.csdata,"",@progbits
; Kernel info:
; codeLenInByte = 1488
; TotalNumSgprs: 26
; NumVgprs: 20
; ScratchSize: 0
; MemoryBound: 0
; FloatMode: 240
; IeeeMode: 1
; LDSByteSize: 6728 bytes/workgroup (compile time only)
; SGPRBlocks: 10
; VGPRBlocks: 8
; NumSGPRsForWavesPerEU: 81
; NumVGPRsForWavesPerEU: 33
; Occupancy: 7
; WaveLimiterHint : 1
; COMPUTE_PGM_RSRC2:SCRATCH_EN: 0
; COMPUTE_PGM_RSRC2:USER_SGPR: 6
; COMPUTE_PGM_RSRC2:TRAP_HANDLER: 0
; COMPUTE_PGM_RSRC2:TGID_X_EN: 1
; COMPUTE_PGM_RSRC2:TGID_Y_EN: 0
; COMPUTE_PGM_RSRC2:TGID_Z_EN: 0
; COMPUTE_PGM_RSRC2:TIDIG_COMP_CNT: 0
	.section	.text._ZN9rocsparseL20bsrxmvn_17_32_kernelILj30E21rocsparse_complex_numIfEllfS2_S2_EEvT2_20rocsparse_direction_NS_24const_host_device_scalarIT0_EES3_PKS3_PKT1_SC_S9_PKT3_PKT4_S7_PT5_21rocsparse_index_base_b,"axG",@progbits,_ZN9rocsparseL20bsrxmvn_17_32_kernelILj30E21rocsparse_complex_numIfEllfS2_S2_EEvT2_20rocsparse_direction_NS_24const_host_device_scalarIT0_EES3_PKS3_PKT1_SC_S9_PKT3_PKT4_S7_PT5_21rocsparse_index_base_b,comdat
	.globl	_ZN9rocsparseL20bsrxmvn_17_32_kernelILj30E21rocsparse_complex_numIfEllfS2_S2_EEvT2_20rocsparse_direction_NS_24const_host_device_scalarIT0_EES3_PKS3_PKT1_SC_S9_PKT3_PKT4_S7_PT5_21rocsparse_index_base_b ; -- Begin function _ZN9rocsparseL20bsrxmvn_17_32_kernelILj30E21rocsparse_complex_numIfEllfS2_S2_EEvT2_20rocsparse_direction_NS_24const_host_device_scalarIT0_EES3_PKS3_PKT1_SC_S9_PKT3_PKT4_S7_PT5_21rocsparse_index_base_b
	.p2align	8
	.type	_ZN9rocsparseL20bsrxmvn_17_32_kernelILj30E21rocsparse_complex_numIfEllfS2_S2_EEvT2_20rocsparse_direction_NS_24const_host_device_scalarIT0_EES3_PKS3_PKT1_SC_S9_PKT3_PKT4_S7_PT5_21rocsparse_index_base_b,@function
_ZN9rocsparseL20bsrxmvn_17_32_kernelILj30E21rocsparse_complex_numIfEllfS2_S2_EEvT2_20rocsparse_direction_NS_24const_host_device_scalarIT0_EES3_PKS3_PKT1_SC_S9_PKT3_PKT4_S7_PT5_21rocsparse_index_base_b: ; @_ZN9rocsparseL20bsrxmvn_17_32_kernelILj30E21rocsparse_complex_numIfEllfS2_S2_EEvT2_20rocsparse_direction_NS_24const_host_device_scalarIT0_EES3_PKS3_PKT1_SC_S9_PKT3_PKT4_S7_PT5_21rocsparse_index_base_b
; %bb.0:
	s_load_dwordx2 s[0:1], s[4:5], 0x10
	s_load_dwordx2 s[14:15], s[4:5], 0x60
	s_add_u32 s7, s4, 16
	s_addc_u32 s8, s5, 0
	s_add_u32 s9, s4, 0x50
	s_load_dwordx2 s[2:3], s[4:5], 0x50
	s_addc_u32 s10, s5, 0
	s_waitcnt lgkmcnt(0)
	s_bitcmp1_b32 s15, 0
	s_cselect_b32 s1, s8, s1
	s_cselect_b32 s0, s7, s0
	v_mov_b32_e32 v1, s0
	v_mov_b32_e32 v2, s1
	flat_load_dwordx2 v[3:4], v[1:2]
	s_cselect_b32 s0, s10, s3
	s_cselect_b32 s1, s9, s2
	v_mov_b32_e32 v1, s1
	v_mov_b32_e32 v2, s0
	flat_load_dwordx2 v[1:2], v[1:2]
	s_waitcnt vmcnt(0) lgkmcnt(0)
	v_cmp_eq_f32_e32 vcc, 0, v3
	v_cmp_eq_f32_e64 s[0:1], 0, v4
	s_and_b64 s[8:9], vcc, s[0:1]
	s_mov_b64 s[0:1], -1
	s_and_saveexec_b64 s[2:3], s[8:9]
; %bb.1:
	v_cmp_neq_f32_e32 vcc, 1.0, v1
	v_cmp_neq_f32_e64 s[0:1], 0, v2
	s_or_b64 s[0:1], vcc, s[0:1]
	s_orn2_b64 s[0:1], s[0:1], exec
; %bb.2:
	s_or_b64 exec, exec, s[2:3]
	s_and_saveexec_b64 s[2:3], s[0:1]
	s_cbranch_execz .LBB429_39
; %bb.3:
	s_load_dwordx4 s[0:3], s[4:5], 0x20
	s_load_dwordx2 s[8:9], s[4:5], 0x30
	s_mov_b32 s7, 0
	s_waitcnt lgkmcnt(0)
	s_cmp_eq_u64 s[0:1], 0
	s_cbranch_scc1 .LBB429_5
; %bb.4:
	s_lshl_b64 s[6:7], s[6:7], 3
	s_add_u32 s0, s0, s6
	s_addc_u32 s1, s1, s7
	s_load_dwordx2 s[0:1], s[0:1], 0x0
	s_waitcnt lgkmcnt(0)
	s_sub_u32 s6, s0, s14
	s_subb_u32 s7, s1, 0
.LBB429_5:
	s_load_dword s10, s[4:5], 0x8
	s_load_dwordx2 s[12:13], s[4:5], 0x58
	v_mul_u32_u24_e32 v7, 0x889, v0
	v_mov_b32_e32 v5, 30
	v_mul_lo_u16_sdwa v5, v7, v5 dst_sel:DWORD dst_unused:UNUSED_PAD src0_sel:WORD_1 src1_sel:DWORD
	s_waitcnt lgkmcnt(0)
	s_cmp_eq_u32 s10, 1
	s_cselect_b64 s[0:1], -1, 0
	s_cmp_lg_u32 s10, 1
	s_cselect_b64 s[16:17], -1, 0
	s_lshl_b64 s[10:11], s[6:7], 3
	s_add_u32 s20, s2, s10
	s_addc_u32 s21, s3, s11
	s_add_u32 s2, s20, 8
	s_addc_u32 s3, s21, 0
	;; [unrolled: 2-line block ×3, first 2 shown]
	s_cmp_eq_u64 s[8:9], 0
	s_cselect_b32 s9, s3, s11
	s_cselect_b32 s8, s2, s10
	s_load_dwordx2 s[2:3], s[8:9], 0x0
	s_load_dwordx2 s[18:19], s[20:21], 0x0
	v_sub_u16_e32 v15, v0, v5
	s_waitcnt lgkmcnt(0)
	v_mov_b32_e32 v6, s3
	v_mov_b32_e32 v5, s2
	v_cmp_ge_i64_e32 vcc, s[18:19], v[5:6]
	v_mov_b32_e32 v6, 0
	v_mov_b32_e32 v5, 0
	s_cbranch_vccnz .LBB429_10
; %bb.6:
	s_load_dwordx4 s[8:11], s[4:5], 0x38
	s_load_dwordx2 s[20:21], s[4:5], 0x48
	s_mov_b32 s4, 0xffff
	s_movk_i32 s5, 0x384
	v_and_b32_sdwa v5, s4, v7 dst_sel:DWORD dst_unused:UNUSED_PAD src0_sel:DWORD src1_sel:WORD_1
	s_sub_u32 s2, s2, s14
	v_subrev_u32_e32 v6, 30, v5
	v_cmp_gt_u32_e32 vcc, s5, v0
	s_subb_u32 s3, s3, 0
	v_cndmask_b32_e32 v5, v6, v5, vcc
	s_sub_u32 s4, s18, s14
	v_cndmask_b32_e64 v5, v15, v5, s[0:1]
	v_mov_b32_e32 v6, 0
	s_subb_u32 s5, s19, 0
	v_lshlrev_b64 v[7:8], 3, v[5:6]
	s_mul_i32 s0, s5, 0xe10
	s_mul_hi_u32 s1, s4, 0xe10
	s_add_i32 s1, s1, s0
	s_mul_i32 s0, s4, 0xe10
	s_waitcnt lgkmcnt(0)
	v_mov_b32_e32 v5, s21
	v_add_co_u32_e32 v7, vcc, s20, v7
	s_add_u32 s0, s10, s0
	v_addc_co_u32_e32 v8, vcc, v5, v8, vcc
	s_addc_u32 s1, s11, s1
	v_lshlrev_b32_e32 v5, 2, v0
	v_mov_b32_e32 v10, s1
	v_add_co_u32_e32 v9, vcc, s0, v5
	v_addc_co_u32_e32 v10, vcc, 0, v10, vcc
	s_movk_i32 s0, 0x383
	v_cmp_lt_u32_e32 vcc, s0, v0
	v_cndmask_b32_e64 v16, 0, 1, vcc
	v_mov_b32_e32 v5, s19
	v_add_co_u32_e32 v11, vcc, s18, v16
	v_addc_co_u32_e32 v5, vcc, 0, v5, vcc
	v_subrev_co_u32_e32 v11, vcc, s14, v11
	v_subbrev_co_u32_e32 v12, vcc, 0, v5, vcc
	v_lshlrev_b64 v[11:12], 3, v[11:12]
	v_mov_b32_e32 v5, s9
	v_add_co_u32_e32 v11, vcc, s8, v11
	v_mov_b32_e32 v14, s3
	v_addc_co_u32_e32 v12, vcc, v5, v12, vcc
	s_movk_i32 s8, 0xf0
	v_mov_b32_e32 v13, s2
	v_mov_b32_e32 v5, v6
	s_branch .LBB429_8
.LBB429_7:                              ;   in Loop: Header=BB429_8 Depth=1
	s_or_b64 exec, exec, s[0:1]
	s_add_u32 s4, s4, 1
	s_addc_u32 s5, s5, 0
	v_cmp_lt_i64_e32 vcc, s[4:5], v[13:14]
	v_add_co_u32_e64 v11, s[0:1], 8, v11
	v_addc_co_u32_e64 v12, s[0:1], 0, v12, s[0:1]
	s_cbranch_vccz .LBB429_10
.LBB429_8:                              ; =>This Inner Loop Header: Depth=1
	v_mov_b32_e32 v18, s5
	v_add_co_u32_e32 v17, vcc, s4, v16
	v_addc_co_u32_e32 v18, vcc, 0, v18, vcc
	v_cmp_gt_i64_e32 vcc, s[2:3], v[17:18]
	s_and_saveexec_b64 s[0:1], vcc
	s_cbranch_execz .LBB429_7
; %bb.9:                                ;   in Loop: Header=BB429_8 Depth=1
	global_load_dwordx2 v[17:18], v[11:12], off
	s_waitcnt vmcnt(0)
	v_subrev_co_u32_e32 v17, vcc, s14, v17
	v_subbrev_co_u32_e32 v19, vcc, 0, v18, vcc
	v_mad_u64_u32 v[17:18], s[10:11], v17, s8, v[7:8]
	v_mad_u64_u32 v[18:19], s[10:11], v19, s8, v[18:19]
	global_load_dword v19, v[9:10], off
	s_nop 0
	global_load_dwordx2 v[17:18], v[17:18], off
	v_add_co_u32_e32 v9, vcc, 0xe10, v9
	v_addc_co_u32_e32 v10, vcc, 0, v10, vcc
	s_waitcnt vmcnt(0)
	v_fmac_f32_e32 v5, v19, v17
	v_fmac_f32_e32 v6, 0, v17
	;; [unrolled: 1-line block ×4, first 2 shown]
	s_branch .LBB429_7
.LBB429_10:
	v_lshlrev_b32_e32 v7, 3, v0
	s_and_b64 vcc, exec, s[16:17]
	ds_write_b64 v7, v[5:6]
	s_waitcnt lgkmcnt(0)
	s_barrier
	s_cbranch_vccz .LBB429_22
; %bb.11:
	v_cmp_gt_u16_e32 vcc, 14, v15
	s_and_saveexec_b64 s[0:1], vcc
	s_cbranch_execz .LBB429_13
; %bb.12:
	ds_read2_b64 v[8:11], v7 offset1:16
	s_waitcnt lgkmcnt(0)
	v_add_f32_e32 v8, v10, v8
	v_add_f32_e32 v9, v11, v9
	ds_write_b64 v7, v[8:9]
.LBB429_13:
	s_or_b64 exec, exec, s[0:1]
	v_cmp_gt_u16_e32 vcc, 8, v15
	s_waitcnt lgkmcnt(0)
	s_barrier
	s_and_saveexec_b64 s[0:1], vcc
	s_cbranch_execz .LBB429_15
; %bb.14:
	ds_read2_b64 v[8:11], v7 offset1:8
	s_waitcnt lgkmcnt(0)
	v_add_f32_e32 v8, v10, v8
	v_add_f32_e32 v9, v11, v9
	ds_write_b64 v7, v[8:9]
.LBB429_15:
	s_or_b64 exec, exec, s[0:1]
	v_cmp_gt_u16_e32 vcc, 4, v15
	s_waitcnt lgkmcnt(0)
	s_barrier
	;; [unrolled: 13-line block ×3, first 2 shown]
	s_and_saveexec_b64 s[0:1], vcc
	s_cbranch_execz .LBB429_19
; %bb.18:
	ds_read2_b64 v[8:11], v7 offset1:2
	s_waitcnt lgkmcnt(0)
	v_add_f32_e32 v8, v10, v8
	v_add_f32_e32 v9, v11, v9
	ds_write_b64 v7, v[8:9]
.LBB429_19:
	s_or_b64 exec, exec, s[0:1]
	v_cmp_gt_u32_e32 vcc, 30, v0
	v_mov_b32_e32 v9, v6
	v_mov_b32_e32 v8, v5
	s_waitcnt lgkmcnt(0)
	s_barrier
	s_and_saveexec_b64 s[0:1], vcc
	s_cbranch_execz .LBB429_21
; %bb.20:
	s_movk_i32 s2, 0xe8
	v_mad_u32_u24 v8, v0, s2, v7
	ds_read2_b64 v[8:11], v8 offset1:1
	s_waitcnt lgkmcnt(0)
	v_add_f32_e32 v8, v10, v8
	v_add_f32_e32 v9, v11, v9
.LBB429_21:
	s_or_b64 exec, exec, s[0:1]
	s_branch .LBB429_34
.LBB429_22:
                                        ; implicit-def: $vgpr9
                                        ; implicit-def: $vgpr8
	s_cbranch_execz .LBB429_34
; %bb.23:
	s_movk_i32 s0, 0x1a4
	v_cmp_gt_u32_e32 vcc, s0, v0
	s_and_saveexec_b64 s[0:1], vcc
	s_cbranch_execz .LBB429_25
; %bb.24:
	ds_read_b64 v[8:9], v7 offset:3840
	ds_read_b64 v[10:11], v7
	s_waitcnt lgkmcnt(0)
	v_add_f32_e32 v8, v8, v10
	v_add_f32_e32 v9, v9, v11
	ds_write_b64 v7, v[8:9]
.LBB429_25:
	s_or_b64 exec, exec, s[0:1]
	s_movk_i32 s0, 0xf0
	v_cmp_gt_u32_e32 vcc, s0, v0
	s_waitcnt lgkmcnt(0)
	s_barrier
	s_and_saveexec_b64 s[0:1], vcc
	s_cbranch_execz .LBB429_27
; %bb.26:
	ds_read2_b64 v[8:11], v7 offset1:240
	s_waitcnt lgkmcnt(0)
	v_add_f32_e32 v8, v10, v8
	v_add_f32_e32 v9, v11, v9
	ds_write_b64 v7, v[8:9]
.LBB429_27:
	s_or_b64 exec, exec, s[0:1]
	s_movk_i32 s0, 0x78
	v_cmp_gt_u32_e32 vcc, s0, v0
	s_waitcnt lgkmcnt(0)
	s_barrier
	s_and_saveexec_b64 s[0:1], vcc
	s_cbranch_execz .LBB429_29
; %bb.28:
	ds_read2_b64 v[8:11], v7 offset1:120
	s_waitcnt lgkmcnt(0)
	v_add_f32_e32 v8, v10, v8
	v_add_f32_e32 v9, v11, v9
	ds_write_b64 v7, v[8:9]
.LBB429_29:
	s_or_b64 exec, exec, s[0:1]
	v_cmp_gt_u32_e32 vcc, 60, v0
	s_waitcnt lgkmcnt(0)
	s_barrier
	s_and_saveexec_b64 s[0:1], vcc
	s_cbranch_execz .LBB429_31
; %bb.30:
	ds_read2_b64 v[8:11], v7 offset1:60
	s_waitcnt lgkmcnt(0)
	v_add_f32_e32 v8, v10, v8
	v_add_f32_e32 v9, v11, v9
	ds_write_b64 v7, v[8:9]
.LBB429_31:
	s_or_b64 exec, exec, s[0:1]
	v_cmp_gt_u32_e32 vcc, 30, v0
	s_waitcnt lgkmcnt(0)
	s_and_saveexec_b64 s[0:1], vcc
	s_cbranch_execz .LBB429_33
; %bb.32:
	ds_read2_b64 v[8:11], v7 offset1:30
	s_waitcnt lgkmcnt(0)
	v_add_f32_e32 v5, v10, v8
	v_add_f32_e32 v6, v11, v9
.LBB429_33:
	s_or_b64 exec, exec, s[0:1]
	v_mov_b32_e32 v9, v6
	v_mov_b32_e32 v8, v5
.LBB429_34:
	v_cmp_gt_u32_e32 vcc, 30, v0
	s_and_b64 exec, exec, vcc
	s_cbranch_execz .LBB429_39
; %bb.35:
	v_cmp_eq_f32_e32 vcc, 0, v1
	v_cmp_eq_f32_e64 s[0:1], 0, v2
	v_mul_f32_e64 v5, v9, -v4
	v_mul_f32_e32 v6, v3, v9
	s_and_b64 s[0:1], vcc, s[0:1]
	v_fmac_f32_e32 v5, v3, v8
	v_fmac_f32_e32 v6, v4, v8
	s_mul_i32 s2, s7, 0xf0
	s_mul_hi_u32 s3, s6, 0xf0
	s_mul_i32 s4, s6, 0xf0
	s_and_saveexec_b64 s[6:7], s[0:1]
	s_xor_b64 s[0:1], exec, s[6:7]
	s_cbranch_execz .LBB429_37
; %bb.36:
	s_add_i32 s5, s3, s2
	s_add_u32 s6, s12, s4
	s_addc_u32 s7, s13, s5
	global_store_dwordx2 v7, v[5:6], s[6:7]
                                        ; implicit-def: $vgpr7
                                        ; implicit-def: $vgpr1_vgpr2
                                        ; implicit-def: $vgpr5
.LBB429_37:
	s_andn2_saveexec_b64 s[0:1], s[0:1]
	s_cbranch_execz .LBB429_39
; %bb.38:
	s_add_i32 s3, s3, s2
	s_add_u32 s0, s12, s4
	s_addc_u32 s1, s13, s3
	global_load_dwordx2 v[3:4], v7, s[0:1]
	s_waitcnt vmcnt(0)
	v_fmac_f32_e32 v5, v1, v3
	v_fmac_f32_e32 v6, v2, v3
	v_fma_f32 v5, -v2, v4, v5
	v_fmac_f32_e32 v6, v1, v4
	global_store_dwordx2 v7, v[5:6], s[0:1]
.LBB429_39:
	s_endpgm
	.section	.rodata,"a",@progbits
	.p2align	6, 0x0
	.amdhsa_kernel _ZN9rocsparseL20bsrxmvn_17_32_kernelILj30E21rocsparse_complex_numIfEllfS2_S2_EEvT2_20rocsparse_direction_NS_24const_host_device_scalarIT0_EES3_PKS3_PKT1_SC_S9_PKT3_PKT4_S7_PT5_21rocsparse_index_base_b
		.amdhsa_group_segment_fixed_size 7200
		.amdhsa_private_segment_fixed_size 0
		.amdhsa_kernarg_size 104
		.amdhsa_user_sgpr_count 6
		.amdhsa_user_sgpr_private_segment_buffer 1
		.amdhsa_user_sgpr_dispatch_ptr 0
		.amdhsa_user_sgpr_queue_ptr 0
		.amdhsa_user_sgpr_kernarg_segment_ptr 1
		.amdhsa_user_sgpr_dispatch_id 0
		.amdhsa_user_sgpr_flat_scratch_init 0
		.amdhsa_user_sgpr_private_segment_size 0
		.amdhsa_uses_dynamic_stack 0
		.amdhsa_system_sgpr_private_segment_wavefront_offset 0
		.amdhsa_system_sgpr_workgroup_id_x 1
		.amdhsa_system_sgpr_workgroup_id_y 0
		.amdhsa_system_sgpr_workgroup_id_z 0
		.amdhsa_system_sgpr_workgroup_info 0
		.amdhsa_system_vgpr_workitem_id 0
		.amdhsa_next_free_vgpr 29
		.amdhsa_next_free_sgpr 61
		.amdhsa_reserve_vcc 1
		.amdhsa_reserve_flat_scratch 0
		.amdhsa_float_round_mode_32 0
		.amdhsa_float_round_mode_16_64 0
		.amdhsa_float_denorm_mode_32 3
		.amdhsa_float_denorm_mode_16_64 3
		.amdhsa_dx10_clamp 1
		.amdhsa_ieee_mode 1
		.amdhsa_fp16_overflow 0
		.amdhsa_exception_fp_ieee_invalid_op 0
		.amdhsa_exception_fp_denorm_src 0
		.amdhsa_exception_fp_ieee_div_zero 0
		.amdhsa_exception_fp_ieee_overflow 0
		.amdhsa_exception_fp_ieee_underflow 0
		.amdhsa_exception_fp_ieee_inexact 0
		.amdhsa_exception_int_div_zero 0
	.end_amdhsa_kernel
	.section	.text._ZN9rocsparseL20bsrxmvn_17_32_kernelILj30E21rocsparse_complex_numIfEllfS2_S2_EEvT2_20rocsparse_direction_NS_24const_host_device_scalarIT0_EES3_PKS3_PKT1_SC_S9_PKT3_PKT4_S7_PT5_21rocsparse_index_base_b,"axG",@progbits,_ZN9rocsparseL20bsrxmvn_17_32_kernelILj30E21rocsparse_complex_numIfEllfS2_S2_EEvT2_20rocsparse_direction_NS_24const_host_device_scalarIT0_EES3_PKS3_PKT1_SC_S9_PKT3_PKT4_S7_PT5_21rocsparse_index_base_b,comdat
.Lfunc_end429:
	.size	_ZN9rocsparseL20bsrxmvn_17_32_kernelILj30E21rocsparse_complex_numIfEllfS2_S2_EEvT2_20rocsparse_direction_NS_24const_host_device_scalarIT0_EES3_PKS3_PKT1_SC_S9_PKT3_PKT4_S7_PT5_21rocsparse_index_base_b, .Lfunc_end429-_ZN9rocsparseL20bsrxmvn_17_32_kernelILj30E21rocsparse_complex_numIfEllfS2_S2_EEvT2_20rocsparse_direction_NS_24const_host_device_scalarIT0_EES3_PKS3_PKT1_SC_S9_PKT3_PKT4_S7_PT5_21rocsparse_index_base_b
                                        ; -- End function
	.set _ZN9rocsparseL20bsrxmvn_17_32_kernelILj30E21rocsparse_complex_numIfEllfS2_S2_EEvT2_20rocsparse_direction_NS_24const_host_device_scalarIT0_EES3_PKS3_PKT1_SC_S9_PKT3_PKT4_S7_PT5_21rocsparse_index_base_b.num_vgpr, 20
	.set _ZN9rocsparseL20bsrxmvn_17_32_kernelILj30E21rocsparse_complex_numIfEllfS2_S2_EEvT2_20rocsparse_direction_NS_24const_host_device_scalarIT0_EES3_PKS3_PKT1_SC_S9_PKT3_PKT4_S7_PT5_21rocsparse_index_base_b.num_agpr, 0
	.set _ZN9rocsparseL20bsrxmvn_17_32_kernelILj30E21rocsparse_complex_numIfEllfS2_S2_EEvT2_20rocsparse_direction_NS_24const_host_device_scalarIT0_EES3_PKS3_PKT1_SC_S9_PKT3_PKT4_S7_PT5_21rocsparse_index_base_b.numbered_sgpr, 22
	.set _ZN9rocsparseL20bsrxmvn_17_32_kernelILj30E21rocsparse_complex_numIfEllfS2_S2_EEvT2_20rocsparse_direction_NS_24const_host_device_scalarIT0_EES3_PKS3_PKT1_SC_S9_PKT3_PKT4_S7_PT5_21rocsparse_index_base_b.num_named_barrier, 0
	.set _ZN9rocsparseL20bsrxmvn_17_32_kernelILj30E21rocsparse_complex_numIfEllfS2_S2_EEvT2_20rocsparse_direction_NS_24const_host_device_scalarIT0_EES3_PKS3_PKT1_SC_S9_PKT3_PKT4_S7_PT5_21rocsparse_index_base_b.private_seg_size, 0
	.set _ZN9rocsparseL20bsrxmvn_17_32_kernelILj30E21rocsparse_complex_numIfEllfS2_S2_EEvT2_20rocsparse_direction_NS_24const_host_device_scalarIT0_EES3_PKS3_PKT1_SC_S9_PKT3_PKT4_S7_PT5_21rocsparse_index_base_b.uses_vcc, 1
	.set _ZN9rocsparseL20bsrxmvn_17_32_kernelILj30E21rocsparse_complex_numIfEllfS2_S2_EEvT2_20rocsparse_direction_NS_24const_host_device_scalarIT0_EES3_PKS3_PKT1_SC_S9_PKT3_PKT4_S7_PT5_21rocsparse_index_base_b.uses_flat_scratch, 0
	.set _ZN9rocsparseL20bsrxmvn_17_32_kernelILj30E21rocsparse_complex_numIfEllfS2_S2_EEvT2_20rocsparse_direction_NS_24const_host_device_scalarIT0_EES3_PKS3_PKT1_SC_S9_PKT3_PKT4_S7_PT5_21rocsparse_index_base_b.has_dyn_sized_stack, 0
	.set _ZN9rocsparseL20bsrxmvn_17_32_kernelILj30E21rocsparse_complex_numIfEllfS2_S2_EEvT2_20rocsparse_direction_NS_24const_host_device_scalarIT0_EES3_PKS3_PKT1_SC_S9_PKT3_PKT4_S7_PT5_21rocsparse_index_base_b.has_recursion, 0
	.set _ZN9rocsparseL20bsrxmvn_17_32_kernelILj30E21rocsparse_complex_numIfEllfS2_S2_EEvT2_20rocsparse_direction_NS_24const_host_device_scalarIT0_EES3_PKS3_PKT1_SC_S9_PKT3_PKT4_S7_PT5_21rocsparse_index_base_b.has_indirect_call, 0
	.section	.AMDGPU.csdata,"",@progbits
; Kernel info:
; codeLenInByte = 1488
; TotalNumSgprs: 26
; NumVgprs: 20
; ScratchSize: 0
; MemoryBound: 0
; FloatMode: 240
; IeeeMode: 1
; LDSByteSize: 7200 bytes/workgroup (compile time only)
; SGPRBlocks: 8
; VGPRBlocks: 7
; NumSGPRsForWavesPerEU: 65
; NumVGPRsForWavesPerEU: 29
; Occupancy: 8
; WaveLimiterHint : 1
; COMPUTE_PGM_RSRC2:SCRATCH_EN: 0
; COMPUTE_PGM_RSRC2:USER_SGPR: 6
; COMPUTE_PGM_RSRC2:TRAP_HANDLER: 0
; COMPUTE_PGM_RSRC2:TGID_X_EN: 1
; COMPUTE_PGM_RSRC2:TGID_Y_EN: 0
; COMPUTE_PGM_RSRC2:TGID_Z_EN: 0
; COMPUTE_PGM_RSRC2:TIDIG_COMP_CNT: 0
	.section	.text._ZN9rocsparseL20bsrxmvn_17_32_kernelILj31E21rocsparse_complex_numIfEllfS2_S2_EEvT2_20rocsparse_direction_NS_24const_host_device_scalarIT0_EES3_PKS3_PKT1_SC_S9_PKT3_PKT4_S7_PT5_21rocsparse_index_base_b,"axG",@progbits,_ZN9rocsparseL20bsrxmvn_17_32_kernelILj31E21rocsparse_complex_numIfEllfS2_S2_EEvT2_20rocsparse_direction_NS_24const_host_device_scalarIT0_EES3_PKS3_PKT1_SC_S9_PKT3_PKT4_S7_PT5_21rocsparse_index_base_b,comdat
	.globl	_ZN9rocsparseL20bsrxmvn_17_32_kernelILj31E21rocsparse_complex_numIfEllfS2_S2_EEvT2_20rocsparse_direction_NS_24const_host_device_scalarIT0_EES3_PKS3_PKT1_SC_S9_PKT3_PKT4_S7_PT5_21rocsparse_index_base_b ; -- Begin function _ZN9rocsparseL20bsrxmvn_17_32_kernelILj31E21rocsparse_complex_numIfEllfS2_S2_EEvT2_20rocsparse_direction_NS_24const_host_device_scalarIT0_EES3_PKS3_PKT1_SC_S9_PKT3_PKT4_S7_PT5_21rocsparse_index_base_b
	.p2align	8
	.type	_ZN9rocsparseL20bsrxmvn_17_32_kernelILj31E21rocsparse_complex_numIfEllfS2_S2_EEvT2_20rocsparse_direction_NS_24const_host_device_scalarIT0_EES3_PKS3_PKT1_SC_S9_PKT3_PKT4_S7_PT5_21rocsparse_index_base_b,@function
_ZN9rocsparseL20bsrxmvn_17_32_kernelILj31E21rocsparse_complex_numIfEllfS2_S2_EEvT2_20rocsparse_direction_NS_24const_host_device_scalarIT0_EES3_PKS3_PKT1_SC_S9_PKT3_PKT4_S7_PT5_21rocsparse_index_base_b: ; @_ZN9rocsparseL20bsrxmvn_17_32_kernelILj31E21rocsparse_complex_numIfEllfS2_S2_EEvT2_20rocsparse_direction_NS_24const_host_device_scalarIT0_EES3_PKS3_PKT1_SC_S9_PKT3_PKT4_S7_PT5_21rocsparse_index_base_b
; %bb.0:
	s_load_dwordx2 s[0:1], s[4:5], 0x10
	s_load_dwordx2 s[14:15], s[4:5], 0x60
	s_add_u32 s7, s4, 16
	s_addc_u32 s8, s5, 0
	s_add_u32 s9, s4, 0x50
	s_load_dwordx2 s[2:3], s[4:5], 0x50
	s_addc_u32 s10, s5, 0
	s_waitcnt lgkmcnt(0)
	s_bitcmp1_b32 s15, 0
	s_cselect_b32 s1, s8, s1
	s_cselect_b32 s0, s7, s0
	v_mov_b32_e32 v1, s0
	v_mov_b32_e32 v2, s1
	flat_load_dwordx2 v[3:4], v[1:2]
	s_cselect_b32 s0, s10, s3
	s_cselect_b32 s1, s9, s2
	v_mov_b32_e32 v1, s1
	v_mov_b32_e32 v2, s0
	flat_load_dwordx2 v[1:2], v[1:2]
	s_waitcnt vmcnt(0) lgkmcnt(0)
	v_cmp_eq_f32_e32 vcc, 0, v3
	v_cmp_eq_f32_e64 s[0:1], 0, v4
	s_and_b64 s[8:9], vcc, s[0:1]
	s_mov_b64 s[0:1], -1
	s_and_saveexec_b64 s[2:3], s[8:9]
; %bb.1:
	v_cmp_neq_f32_e32 vcc, 1.0, v1
	v_cmp_neq_f32_e64 s[0:1], 0, v2
	s_or_b64 s[0:1], vcc, s[0:1]
	s_orn2_b64 s[0:1], s[0:1], exec
; %bb.2:
	s_or_b64 exec, exec, s[2:3]
	s_and_saveexec_b64 s[2:3], s[0:1]
	s_cbranch_execz .LBB430_39
; %bb.3:
	s_load_dwordx4 s[0:3], s[4:5], 0x20
	s_load_dwordx2 s[8:9], s[4:5], 0x30
	s_mov_b32 s7, 0
	s_waitcnt lgkmcnt(0)
	s_cmp_eq_u64 s[0:1], 0
	s_cbranch_scc1 .LBB430_5
; %bb.4:
	s_lshl_b64 s[6:7], s[6:7], 3
	s_add_u32 s0, s0, s6
	s_addc_u32 s1, s1, s7
	s_load_dwordx2 s[0:1], s[0:1], 0x0
	s_waitcnt lgkmcnt(0)
	s_sub_u32 s6, s0, s14
	s_subb_u32 s7, s1, 0
.LBB430_5:
	s_load_dword s10, s[4:5], 0x8
	s_load_dwordx2 s[12:13], s[4:5], 0x58
	v_mul_u32_u24_e32 v7, 0x843, v0
	v_mov_b32_e32 v5, 31
	v_mul_lo_u16_sdwa v5, v7, v5 dst_sel:DWORD dst_unused:UNUSED_PAD src0_sel:WORD_1 src1_sel:DWORD
	s_waitcnt lgkmcnt(0)
	s_cmp_eq_u32 s10, 1
	s_cselect_b64 s[0:1], -1, 0
	s_cmp_lg_u32 s10, 1
	s_cselect_b64 s[16:17], -1, 0
	s_lshl_b64 s[10:11], s[6:7], 3
	s_add_u32 s20, s2, s10
	s_addc_u32 s21, s3, s11
	s_add_u32 s2, s20, 8
	s_addc_u32 s3, s21, 0
	;; [unrolled: 2-line block ×3, first 2 shown]
	s_cmp_eq_u64 s[8:9], 0
	s_cselect_b32 s9, s3, s11
	s_cselect_b32 s8, s2, s10
	s_load_dwordx2 s[2:3], s[8:9], 0x0
	s_load_dwordx2 s[18:19], s[20:21], 0x0
	v_sub_u16_e32 v15, v0, v5
	s_waitcnt lgkmcnt(0)
	v_mov_b32_e32 v6, s3
	v_mov_b32_e32 v5, s2
	v_cmp_ge_i64_e32 vcc, s[18:19], v[5:6]
	v_mov_b32_e32 v6, 0
	v_mov_b32_e32 v5, 0
	s_cbranch_vccnz .LBB430_10
; %bb.6:
	s_load_dwordx4 s[8:11], s[4:5], 0x38
	s_load_dwordx2 s[20:21], s[4:5], 0x48
	s_mov_b32 s4, 0xffff
	s_movk_i32 s5, 0x3c1
	v_and_b32_sdwa v5, s4, v7 dst_sel:DWORD dst_unused:UNUSED_PAD src0_sel:DWORD src1_sel:WORD_1
	s_sub_u32 s2, s2, s14
	v_subrev_u32_e32 v6, 31, v5
	v_cmp_gt_u32_e32 vcc, s5, v0
	s_subb_u32 s3, s3, 0
	v_cndmask_b32_e32 v5, v6, v5, vcc
	s_sub_u32 s4, s18, s14
	v_cndmask_b32_e64 v5, v15, v5, s[0:1]
	v_mov_b32_e32 v6, 0
	s_subb_u32 s5, s19, 0
	v_lshlrev_b64 v[7:8], 3, v[5:6]
	s_mul_i32 s0, s5, 0xf04
	s_mul_hi_u32 s1, s4, 0xf04
	s_add_i32 s1, s1, s0
	s_mul_i32 s0, s4, 0xf04
	s_waitcnt lgkmcnt(0)
	v_mov_b32_e32 v5, s21
	v_add_co_u32_e32 v7, vcc, s20, v7
	s_add_u32 s0, s10, s0
	v_addc_co_u32_e32 v8, vcc, v5, v8, vcc
	s_addc_u32 s1, s11, s1
	v_lshlrev_b32_e32 v5, 2, v0
	v_mov_b32_e32 v10, s1
	v_add_co_u32_e32 v9, vcc, s0, v5
	v_addc_co_u32_e32 v10, vcc, 0, v10, vcc
	s_movk_i32 s0, 0x3c0
	v_cmp_lt_u32_e32 vcc, s0, v0
	v_cndmask_b32_e64 v16, 0, 1, vcc
	v_mov_b32_e32 v5, s19
	v_add_co_u32_e32 v11, vcc, s18, v16
	v_addc_co_u32_e32 v5, vcc, 0, v5, vcc
	v_subrev_co_u32_e32 v11, vcc, s14, v11
	v_subbrev_co_u32_e32 v12, vcc, 0, v5, vcc
	v_lshlrev_b64 v[11:12], 3, v[11:12]
	v_mov_b32_e32 v5, s9
	v_add_co_u32_e32 v11, vcc, s8, v11
	v_mov_b32_e32 v14, s3
	v_addc_co_u32_e32 v12, vcc, v5, v12, vcc
	s_movk_i32 s8, 0xf8
	v_mov_b32_e32 v13, s2
	v_mov_b32_e32 v5, v6
	s_branch .LBB430_8
.LBB430_7:                              ;   in Loop: Header=BB430_8 Depth=1
	s_or_b64 exec, exec, s[0:1]
	s_add_u32 s4, s4, 1
	s_addc_u32 s5, s5, 0
	v_cmp_lt_i64_e32 vcc, s[4:5], v[13:14]
	v_add_co_u32_e64 v11, s[0:1], 8, v11
	v_addc_co_u32_e64 v12, s[0:1], 0, v12, s[0:1]
	s_cbranch_vccz .LBB430_10
.LBB430_8:                              ; =>This Inner Loop Header: Depth=1
	v_mov_b32_e32 v18, s5
	v_add_co_u32_e32 v17, vcc, s4, v16
	v_addc_co_u32_e32 v18, vcc, 0, v18, vcc
	v_cmp_gt_i64_e32 vcc, s[2:3], v[17:18]
	s_and_saveexec_b64 s[0:1], vcc
	s_cbranch_execz .LBB430_7
; %bb.9:                                ;   in Loop: Header=BB430_8 Depth=1
	global_load_dwordx2 v[17:18], v[11:12], off
	s_waitcnt vmcnt(0)
	v_subrev_co_u32_e32 v17, vcc, s14, v17
	v_subbrev_co_u32_e32 v19, vcc, 0, v18, vcc
	v_mad_u64_u32 v[17:18], s[10:11], v17, s8, v[7:8]
	v_mad_u64_u32 v[18:19], s[10:11], v19, s8, v[18:19]
	global_load_dword v19, v[9:10], off
	s_nop 0
	global_load_dwordx2 v[17:18], v[17:18], off
	v_add_co_u32_e32 v9, vcc, 0xf04, v9
	v_addc_co_u32_e32 v10, vcc, 0, v10, vcc
	s_waitcnt vmcnt(0)
	v_fmac_f32_e32 v5, v19, v17
	v_fmac_f32_e32 v6, 0, v17
	;; [unrolled: 1-line block ×4, first 2 shown]
	s_branch .LBB430_7
.LBB430_10:
	v_lshlrev_b32_e32 v7, 3, v0
	s_and_b64 vcc, exec, s[16:17]
	ds_write_b64 v7, v[5:6]
	s_waitcnt lgkmcnt(0)
	s_barrier
	s_cbranch_vccz .LBB430_22
; %bb.11:
	v_cmp_gt_u16_e32 vcc, 15, v15
	s_and_saveexec_b64 s[0:1], vcc
	s_cbranch_execz .LBB430_13
; %bb.12:
	ds_read2_b64 v[8:11], v7 offset1:16
	s_waitcnt lgkmcnt(0)
	v_add_f32_e32 v8, v10, v8
	v_add_f32_e32 v9, v11, v9
	ds_write_b64 v7, v[8:9]
.LBB430_13:
	s_or_b64 exec, exec, s[0:1]
	v_cmp_gt_u16_e32 vcc, 8, v15
	s_waitcnt lgkmcnt(0)
	s_barrier
	s_and_saveexec_b64 s[0:1], vcc
	s_cbranch_execz .LBB430_15
; %bb.14:
	ds_read2_b64 v[8:11], v7 offset1:8
	s_waitcnt lgkmcnt(0)
	v_add_f32_e32 v8, v10, v8
	v_add_f32_e32 v9, v11, v9
	ds_write_b64 v7, v[8:9]
.LBB430_15:
	s_or_b64 exec, exec, s[0:1]
	v_cmp_gt_u16_e32 vcc, 4, v15
	s_waitcnt lgkmcnt(0)
	s_barrier
	;; [unrolled: 13-line block ×3, first 2 shown]
	s_and_saveexec_b64 s[0:1], vcc
	s_cbranch_execz .LBB430_19
; %bb.18:
	ds_read2_b64 v[8:11], v7 offset1:2
	s_waitcnt lgkmcnt(0)
	v_add_f32_e32 v8, v10, v8
	v_add_f32_e32 v9, v11, v9
	ds_write_b64 v7, v[8:9]
.LBB430_19:
	s_or_b64 exec, exec, s[0:1]
	v_cmp_gt_u32_e32 vcc, 31, v0
	v_mov_b32_e32 v9, v6
	v_mov_b32_e32 v8, v5
	s_waitcnt lgkmcnt(0)
	s_barrier
	s_and_saveexec_b64 s[0:1], vcc
	s_cbranch_execz .LBB430_21
; %bb.20:
	s_movk_i32 s2, 0xf0
	v_mad_u32_u24 v8, v0, s2, v7
	ds_read2_b64 v[8:11], v8 offset1:1
	s_waitcnt lgkmcnt(0)
	v_add_f32_e32 v8, v10, v8
	v_add_f32_e32 v9, v11, v9
.LBB430_21:
	s_or_b64 exec, exec, s[0:1]
	s_branch .LBB430_34
.LBB430_22:
                                        ; implicit-def: $vgpr9
                                        ; implicit-def: $vgpr8
	s_cbranch_execz .LBB430_34
; %bb.23:
	s_movk_i32 s0, 0x1d1
	v_cmp_gt_u32_e32 vcc, s0, v0
	s_and_saveexec_b64 s[0:1], vcc
	s_cbranch_execz .LBB430_25
; %bb.24:
	ds_read_b64 v[8:9], v7 offset:3968
	ds_read_b64 v[10:11], v7
	s_waitcnt lgkmcnt(0)
	v_add_f32_e32 v8, v8, v10
	v_add_f32_e32 v9, v9, v11
	ds_write_b64 v7, v[8:9]
.LBB430_25:
	s_or_b64 exec, exec, s[0:1]
	s_movk_i32 s0, 0xf8
	v_cmp_gt_u32_e32 vcc, s0, v0
	s_waitcnt lgkmcnt(0)
	s_barrier
	s_and_saveexec_b64 s[0:1], vcc
	s_cbranch_execz .LBB430_27
; %bb.26:
	ds_read2_b64 v[8:11], v7 offset1:248
	s_waitcnt lgkmcnt(0)
	v_add_f32_e32 v8, v10, v8
	v_add_f32_e32 v9, v11, v9
	ds_write_b64 v7, v[8:9]
.LBB430_27:
	s_or_b64 exec, exec, s[0:1]
	s_movk_i32 s0, 0x7c
	v_cmp_gt_u32_e32 vcc, s0, v0
	s_waitcnt lgkmcnt(0)
	s_barrier
	s_and_saveexec_b64 s[0:1], vcc
	s_cbranch_execz .LBB430_29
; %bb.28:
	ds_read2_b64 v[8:11], v7 offset1:124
	s_waitcnt lgkmcnt(0)
	v_add_f32_e32 v8, v10, v8
	v_add_f32_e32 v9, v11, v9
	ds_write_b64 v7, v[8:9]
.LBB430_29:
	s_or_b64 exec, exec, s[0:1]
	v_cmp_gt_u32_e32 vcc, 62, v0
	s_waitcnt lgkmcnt(0)
	s_barrier
	s_and_saveexec_b64 s[0:1], vcc
	s_cbranch_execz .LBB430_31
; %bb.30:
	ds_read2_b64 v[8:11], v7 offset1:62
	s_waitcnt lgkmcnt(0)
	v_add_f32_e32 v8, v10, v8
	v_add_f32_e32 v9, v11, v9
	ds_write_b64 v7, v[8:9]
.LBB430_31:
	s_or_b64 exec, exec, s[0:1]
	v_cmp_gt_u32_e32 vcc, 31, v0
	s_waitcnt lgkmcnt(0)
	s_and_saveexec_b64 s[0:1], vcc
	s_cbranch_execz .LBB430_33
; %bb.32:
	ds_read2_b64 v[8:11], v7 offset1:31
	s_waitcnt lgkmcnt(0)
	v_add_f32_e32 v5, v10, v8
	v_add_f32_e32 v6, v11, v9
.LBB430_33:
	s_or_b64 exec, exec, s[0:1]
	v_mov_b32_e32 v9, v6
	v_mov_b32_e32 v8, v5
.LBB430_34:
	v_cmp_gt_u32_e32 vcc, 31, v0
	s_and_b64 exec, exec, vcc
	s_cbranch_execz .LBB430_39
; %bb.35:
	v_cmp_eq_f32_e32 vcc, 0, v1
	v_cmp_eq_f32_e64 s[0:1], 0, v2
	v_mul_f32_e64 v5, v9, -v4
	v_mul_f32_e32 v6, v3, v9
	s_and_b64 s[0:1], vcc, s[0:1]
	v_fmac_f32_e32 v5, v3, v8
	v_fmac_f32_e32 v6, v4, v8
	s_mul_i32 s2, s7, 0xf8
	s_mul_hi_u32 s3, s6, 0xf8
	s_mul_i32 s4, s6, 0xf8
	s_and_saveexec_b64 s[6:7], s[0:1]
	s_xor_b64 s[0:1], exec, s[6:7]
	s_cbranch_execz .LBB430_37
; %bb.36:
	s_add_i32 s5, s3, s2
	s_add_u32 s6, s12, s4
	s_addc_u32 s7, s13, s5
	global_store_dwordx2 v7, v[5:6], s[6:7]
                                        ; implicit-def: $vgpr7
                                        ; implicit-def: $vgpr1_vgpr2
                                        ; implicit-def: $vgpr5
.LBB430_37:
	s_andn2_saveexec_b64 s[0:1], s[0:1]
	s_cbranch_execz .LBB430_39
; %bb.38:
	s_add_i32 s3, s3, s2
	s_add_u32 s0, s12, s4
	s_addc_u32 s1, s13, s3
	global_load_dwordx2 v[3:4], v7, s[0:1]
	s_waitcnt vmcnt(0)
	v_fmac_f32_e32 v5, v1, v3
	v_fmac_f32_e32 v6, v2, v3
	v_fma_f32 v5, -v2, v4, v5
	v_fmac_f32_e32 v6, v1, v4
	global_store_dwordx2 v7, v[5:6], s[0:1]
.LBB430_39:
	s_endpgm
	.section	.rodata,"a",@progbits
	.p2align	6, 0x0
	.amdhsa_kernel _ZN9rocsparseL20bsrxmvn_17_32_kernelILj31E21rocsparse_complex_numIfEllfS2_S2_EEvT2_20rocsparse_direction_NS_24const_host_device_scalarIT0_EES3_PKS3_PKT1_SC_S9_PKT3_PKT4_S7_PT5_21rocsparse_index_base_b
		.amdhsa_group_segment_fixed_size 7688
		.amdhsa_private_segment_fixed_size 0
		.amdhsa_kernarg_size 104
		.amdhsa_user_sgpr_count 6
		.amdhsa_user_sgpr_private_segment_buffer 1
		.amdhsa_user_sgpr_dispatch_ptr 0
		.amdhsa_user_sgpr_queue_ptr 0
		.amdhsa_user_sgpr_kernarg_segment_ptr 1
		.amdhsa_user_sgpr_dispatch_id 0
		.amdhsa_user_sgpr_flat_scratch_init 0
		.amdhsa_user_sgpr_private_segment_size 0
		.amdhsa_uses_dynamic_stack 0
		.amdhsa_system_sgpr_private_segment_wavefront_offset 0
		.amdhsa_system_sgpr_workgroup_id_x 1
		.amdhsa_system_sgpr_workgroup_id_y 0
		.amdhsa_system_sgpr_workgroup_id_z 0
		.amdhsa_system_sgpr_workgroup_info 0
		.amdhsa_system_vgpr_workitem_id 0
		.amdhsa_next_free_vgpr 29
		.amdhsa_next_free_sgpr 61
		.amdhsa_reserve_vcc 1
		.amdhsa_reserve_flat_scratch 0
		.amdhsa_float_round_mode_32 0
		.amdhsa_float_round_mode_16_64 0
		.amdhsa_float_denorm_mode_32 3
		.amdhsa_float_denorm_mode_16_64 3
		.amdhsa_dx10_clamp 1
		.amdhsa_ieee_mode 1
		.amdhsa_fp16_overflow 0
		.amdhsa_exception_fp_ieee_invalid_op 0
		.amdhsa_exception_fp_denorm_src 0
		.amdhsa_exception_fp_ieee_div_zero 0
		.amdhsa_exception_fp_ieee_overflow 0
		.amdhsa_exception_fp_ieee_underflow 0
		.amdhsa_exception_fp_ieee_inexact 0
		.amdhsa_exception_int_div_zero 0
	.end_amdhsa_kernel
	.section	.text._ZN9rocsparseL20bsrxmvn_17_32_kernelILj31E21rocsparse_complex_numIfEllfS2_S2_EEvT2_20rocsparse_direction_NS_24const_host_device_scalarIT0_EES3_PKS3_PKT1_SC_S9_PKT3_PKT4_S7_PT5_21rocsparse_index_base_b,"axG",@progbits,_ZN9rocsparseL20bsrxmvn_17_32_kernelILj31E21rocsparse_complex_numIfEllfS2_S2_EEvT2_20rocsparse_direction_NS_24const_host_device_scalarIT0_EES3_PKS3_PKT1_SC_S9_PKT3_PKT4_S7_PT5_21rocsparse_index_base_b,comdat
.Lfunc_end430:
	.size	_ZN9rocsparseL20bsrxmvn_17_32_kernelILj31E21rocsparse_complex_numIfEllfS2_S2_EEvT2_20rocsparse_direction_NS_24const_host_device_scalarIT0_EES3_PKS3_PKT1_SC_S9_PKT3_PKT4_S7_PT5_21rocsparse_index_base_b, .Lfunc_end430-_ZN9rocsparseL20bsrxmvn_17_32_kernelILj31E21rocsparse_complex_numIfEllfS2_S2_EEvT2_20rocsparse_direction_NS_24const_host_device_scalarIT0_EES3_PKS3_PKT1_SC_S9_PKT3_PKT4_S7_PT5_21rocsparse_index_base_b
                                        ; -- End function
	.set _ZN9rocsparseL20bsrxmvn_17_32_kernelILj31E21rocsparse_complex_numIfEllfS2_S2_EEvT2_20rocsparse_direction_NS_24const_host_device_scalarIT0_EES3_PKS3_PKT1_SC_S9_PKT3_PKT4_S7_PT5_21rocsparse_index_base_b.num_vgpr, 20
	.set _ZN9rocsparseL20bsrxmvn_17_32_kernelILj31E21rocsparse_complex_numIfEllfS2_S2_EEvT2_20rocsparse_direction_NS_24const_host_device_scalarIT0_EES3_PKS3_PKT1_SC_S9_PKT3_PKT4_S7_PT5_21rocsparse_index_base_b.num_agpr, 0
	.set _ZN9rocsparseL20bsrxmvn_17_32_kernelILj31E21rocsparse_complex_numIfEllfS2_S2_EEvT2_20rocsparse_direction_NS_24const_host_device_scalarIT0_EES3_PKS3_PKT1_SC_S9_PKT3_PKT4_S7_PT5_21rocsparse_index_base_b.numbered_sgpr, 22
	.set _ZN9rocsparseL20bsrxmvn_17_32_kernelILj31E21rocsparse_complex_numIfEllfS2_S2_EEvT2_20rocsparse_direction_NS_24const_host_device_scalarIT0_EES3_PKS3_PKT1_SC_S9_PKT3_PKT4_S7_PT5_21rocsparse_index_base_b.num_named_barrier, 0
	.set _ZN9rocsparseL20bsrxmvn_17_32_kernelILj31E21rocsparse_complex_numIfEllfS2_S2_EEvT2_20rocsparse_direction_NS_24const_host_device_scalarIT0_EES3_PKS3_PKT1_SC_S9_PKT3_PKT4_S7_PT5_21rocsparse_index_base_b.private_seg_size, 0
	.set _ZN9rocsparseL20bsrxmvn_17_32_kernelILj31E21rocsparse_complex_numIfEllfS2_S2_EEvT2_20rocsparse_direction_NS_24const_host_device_scalarIT0_EES3_PKS3_PKT1_SC_S9_PKT3_PKT4_S7_PT5_21rocsparse_index_base_b.uses_vcc, 1
	.set _ZN9rocsparseL20bsrxmvn_17_32_kernelILj31E21rocsparse_complex_numIfEllfS2_S2_EEvT2_20rocsparse_direction_NS_24const_host_device_scalarIT0_EES3_PKS3_PKT1_SC_S9_PKT3_PKT4_S7_PT5_21rocsparse_index_base_b.uses_flat_scratch, 0
	.set _ZN9rocsparseL20bsrxmvn_17_32_kernelILj31E21rocsparse_complex_numIfEllfS2_S2_EEvT2_20rocsparse_direction_NS_24const_host_device_scalarIT0_EES3_PKS3_PKT1_SC_S9_PKT3_PKT4_S7_PT5_21rocsparse_index_base_b.has_dyn_sized_stack, 0
	.set _ZN9rocsparseL20bsrxmvn_17_32_kernelILj31E21rocsparse_complex_numIfEllfS2_S2_EEvT2_20rocsparse_direction_NS_24const_host_device_scalarIT0_EES3_PKS3_PKT1_SC_S9_PKT3_PKT4_S7_PT5_21rocsparse_index_base_b.has_recursion, 0
	.set _ZN9rocsparseL20bsrxmvn_17_32_kernelILj31E21rocsparse_complex_numIfEllfS2_S2_EEvT2_20rocsparse_direction_NS_24const_host_device_scalarIT0_EES3_PKS3_PKT1_SC_S9_PKT3_PKT4_S7_PT5_21rocsparse_index_base_b.has_indirect_call, 0
	.section	.AMDGPU.csdata,"",@progbits
; Kernel info:
; codeLenInByte = 1488
; TotalNumSgprs: 26
; NumVgprs: 20
; ScratchSize: 0
; MemoryBound: 0
; FloatMode: 240
; IeeeMode: 1
; LDSByteSize: 7688 bytes/workgroup (compile time only)
; SGPRBlocks: 8
; VGPRBlocks: 7
; NumSGPRsForWavesPerEU: 65
; NumVGPRsForWavesPerEU: 29
; Occupancy: 8
; WaveLimiterHint : 1
; COMPUTE_PGM_RSRC2:SCRATCH_EN: 0
; COMPUTE_PGM_RSRC2:USER_SGPR: 6
; COMPUTE_PGM_RSRC2:TRAP_HANDLER: 0
; COMPUTE_PGM_RSRC2:TGID_X_EN: 1
; COMPUTE_PGM_RSRC2:TGID_Y_EN: 0
; COMPUTE_PGM_RSRC2:TGID_Z_EN: 0
; COMPUTE_PGM_RSRC2:TIDIG_COMP_CNT: 0
	.section	.text._ZN9rocsparseL20bsrxmvn_17_32_kernelILj32E21rocsparse_complex_numIfEllfS2_S2_EEvT2_20rocsparse_direction_NS_24const_host_device_scalarIT0_EES3_PKS3_PKT1_SC_S9_PKT3_PKT4_S7_PT5_21rocsparse_index_base_b,"axG",@progbits,_ZN9rocsparseL20bsrxmvn_17_32_kernelILj32E21rocsparse_complex_numIfEllfS2_S2_EEvT2_20rocsparse_direction_NS_24const_host_device_scalarIT0_EES3_PKS3_PKT1_SC_S9_PKT3_PKT4_S7_PT5_21rocsparse_index_base_b,comdat
	.globl	_ZN9rocsparseL20bsrxmvn_17_32_kernelILj32E21rocsparse_complex_numIfEllfS2_S2_EEvT2_20rocsparse_direction_NS_24const_host_device_scalarIT0_EES3_PKS3_PKT1_SC_S9_PKT3_PKT4_S7_PT5_21rocsparse_index_base_b ; -- Begin function _ZN9rocsparseL20bsrxmvn_17_32_kernelILj32E21rocsparse_complex_numIfEllfS2_S2_EEvT2_20rocsparse_direction_NS_24const_host_device_scalarIT0_EES3_PKS3_PKT1_SC_S9_PKT3_PKT4_S7_PT5_21rocsparse_index_base_b
	.p2align	8
	.type	_ZN9rocsparseL20bsrxmvn_17_32_kernelILj32E21rocsparse_complex_numIfEllfS2_S2_EEvT2_20rocsparse_direction_NS_24const_host_device_scalarIT0_EES3_PKS3_PKT1_SC_S9_PKT3_PKT4_S7_PT5_21rocsparse_index_base_b,@function
_ZN9rocsparseL20bsrxmvn_17_32_kernelILj32E21rocsparse_complex_numIfEllfS2_S2_EEvT2_20rocsparse_direction_NS_24const_host_device_scalarIT0_EES3_PKS3_PKT1_SC_S9_PKT3_PKT4_S7_PT5_21rocsparse_index_base_b: ; @_ZN9rocsparseL20bsrxmvn_17_32_kernelILj32E21rocsparse_complex_numIfEllfS2_S2_EEvT2_20rocsparse_direction_NS_24const_host_device_scalarIT0_EES3_PKS3_PKT1_SC_S9_PKT3_PKT4_S7_PT5_21rocsparse_index_base_b
; %bb.0:
	s_load_dwordx2 s[0:1], s[4:5], 0x10
	s_load_dwordx2 s[8:9], s[4:5], 0x60
	s_add_u32 s7, s4, 16
	s_addc_u32 s10, s5, 0
	s_add_u32 s11, s4, 0x50
	s_load_dwordx2 s[2:3], s[4:5], 0x50
	s_addc_u32 s12, s5, 0
	s_waitcnt lgkmcnt(0)
	s_bitcmp1_b32 s9, 0
	s_cselect_b32 s1, s10, s1
	s_cselect_b32 s0, s7, s0
	v_mov_b32_e32 v1, s0
	v_mov_b32_e32 v2, s1
	flat_load_dwordx2 v[3:4], v[1:2]
	s_cselect_b32 s0, s12, s3
	s_cselect_b32 s1, s11, s2
	v_mov_b32_e32 v1, s1
	v_mov_b32_e32 v2, s0
	flat_load_dwordx2 v[1:2], v[1:2]
	s_waitcnt vmcnt(0) lgkmcnt(0)
	v_cmp_eq_f32_e32 vcc, 0, v3
	v_cmp_eq_f32_e64 s[0:1], 0, v4
	s_and_b64 s[10:11], vcc, s[0:1]
	s_mov_b64 s[0:1], -1
	s_and_saveexec_b64 s[2:3], s[10:11]
; %bb.1:
	v_cmp_neq_f32_e32 vcc, 1.0, v1
	v_cmp_neq_f32_e64 s[0:1], 0, v2
	s_or_b64 s[0:1], vcc, s[0:1]
	s_orn2_b64 s[0:1], s[0:1], exec
; %bb.2:
	s_or_b64 exec, exec, s[2:3]
	s_and_saveexec_b64 s[2:3], s[0:1]
	s_cbranch_execz .LBB431_37
; %bb.3:
	s_load_dwordx4 s[0:3], s[4:5], 0x20
	s_load_dwordx2 s[12:13], s[4:5], 0x30
	s_mov_b32 s7, 0
	s_mov_b32 s9, s7
	s_waitcnt lgkmcnt(0)
	s_cmp_eq_u64 s[0:1], 0
	s_cbranch_scc1 .LBB431_5
; %bb.4:
	s_lshl_b64 s[6:7], s[6:7], 3
	s_add_u32 s0, s0, s6
	s_addc_u32 s1, s1, s7
	s_load_dwordx2 s[0:1], s[0:1], 0x0
	s_waitcnt lgkmcnt(0)
	s_sub_u32 s6, s0, s8
	s_subb_u32 s7, s1, 0
.LBB431_5:
	s_load_dword s10, s[4:5], 0x8
	v_and_b32_e32 v11, 31, v0
	s_waitcnt lgkmcnt(0)
	s_cmp_eq_u32 s10, 1
	s_cselect_b64 s[0:1], -1, 0
	s_cmp_lg_u32 s10, 1
	s_cselect_b64 s[10:11], -1, 0
	s_lshl_b64 s[14:15], s[6:7], 3
	s_add_u32 s16, s2, s14
	s_addc_u32 s17, s3, s15
	s_add_u32 s2, s16, 8
	s_addc_u32 s3, s17, 0
	;; [unrolled: 2-line block ×3, first 2 shown]
	s_cmp_eq_u64 s[12:13], 0
	s_cselect_b32 s19, s3, s15
	s_cselect_b32 s18, s2, s14
	s_load_dwordx2 s[14:15], s[18:19], 0x0
	s_load_dwordx2 s[12:13], s[16:17], 0x0
	;; [unrolled: 1-line block ×3, first 2 shown]
	s_waitcnt lgkmcnt(0)
	v_mov_b32_e32 v5, s14
	v_mov_b32_e32 v6, s15
	v_cmp_ge_i64_e32 vcc, s[12:13], v[5:6]
	v_mov_b32_e32 v6, 0
	v_mov_b32_e32 v5, 0
	s_cbranch_vccnz .LBB431_8
; %bb.6:
	s_load_dwordx4 s[16:19], s[4:5], 0x38
	s_load_dwordx2 s[20:21], s[4:5], 0x48
	s_sub_u32 s14, s14, s8
	v_lshrrev_b32_e32 v5, 5, v0
	s_subb_u32 s15, s15, 0
	v_cndmask_b32_e64 v5, v11, v5, s[0:1]
	s_sub_u32 s0, s12, s8
	s_subb_u32 s1, s13, 0
	v_lshlrev_b32_e32 v5, 3, v5
	s_lshl_b64 s[4:5], s[0:1], 12
	s_waitcnt lgkmcnt(0)
	v_mov_b32_e32 v7, s21
	v_add_co_u32_e32 v12, vcc, s20, v5
	s_add_u32 s4, s18, s4
	v_addc_co_u32_e32 v13, vcc, 0, v7, vcc
	s_addc_u32 s5, s19, s5
	v_lshlrev_b32_e32 v5, 2, v0
	v_mov_b32_e32 v8, s5
	v_add_co_u32_e32 v7, vcc, s4, v5
	s_lshl_b64 s[4:5], s[12:13], 3
	s_lshl_b64 s[12:13], s[8:9], 3
	s_sub_u32 s4, s4, s12
	s_subb_u32 s5, s5, s13
	v_mov_b32_e32 v6, 0
	s_add_u32 s4, s16, s4
	v_mov_b32_e32 v9, s14
	v_addc_co_u32_e32 v8, vcc, 0, v8, vcc
	s_addc_u32 s5, s17, s5
	v_mov_b32_e32 v10, s15
	v_mov_b32_e32 v5, v6
.LBB431_7:                              ; =>This Inner Loop Header: Depth=1
	s_load_dwordx2 s[12:13], s[4:5], 0x0
	global_load_dword v16, v[7:8], off
	s_waitcnt lgkmcnt(0)
	s_sub_u32 s12, s12, s8
	s_subb_u32 s13, s13, 0
	s_lshl_b64 s[12:13], s[12:13], 8
	v_mov_b32_e32 v15, s13
	v_add_co_u32_e32 v14, vcc, s12, v12
	v_addc_co_u32_e32 v15, vcc, v13, v15, vcc
	global_load_dwordx2 v[14:15], v[14:15], off
	v_add_co_u32_e32 v7, vcc, 0x1000, v7
	s_add_u32 s0, s0, 1
	v_addc_co_u32_e32 v8, vcc, 0, v8, vcc
	s_addc_u32 s1, s1, 0
	v_cmp_lt_i64_e32 vcc, s[0:1], v[9:10]
	s_add_u32 s4, s4, 8
	s_addc_u32 s5, s5, 0
	s_and_b64 vcc, exec, vcc
	s_waitcnt vmcnt(0)
	v_fmac_f32_e32 v5, v16, v14
	v_fmac_f32_e32 v6, 0, v14
	;; [unrolled: 1-line block ×4, first 2 shown]
	s_cbranch_vccnz .LBB431_7
.LBB431_8:
	v_lshlrev_b32_e32 v7, 3, v0
	s_and_b64 vcc, exec, s[10:11]
	ds_write_b64 v7, v[5:6]
	s_waitcnt lgkmcnt(0)
	s_barrier
	s_cbranch_vccz .LBB431_20
; %bb.9:
	v_cmp_gt_u32_e32 vcc, 16, v11
	s_and_saveexec_b64 s[0:1], vcc
	s_cbranch_execz .LBB431_11
; %bb.10:
	ds_read2_b64 v[12:15], v7 offset1:16
	s_waitcnt lgkmcnt(0)
	v_add_f32_e32 v8, v14, v12
	v_add_f32_e32 v9, v15, v13
	ds_write_b64 v7, v[8:9]
.LBB431_11:
	s_or_b64 exec, exec, s[0:1]
	v_cmp_gt_u32_e32 vcc, 8, v11
	s_waitcnt lgkmcnt(0)
	s_barrier
	s_and_saveexec_b64 s[0:1], vcc
	s_cbranch_execz .LBB431_13
; %bb.12:
	ds_read2_b64 v[12:15], v7 offset1:8
	s_waitcnt lgkmcnt(0)
	v_add_f32_e32 v8, v14, v12
	v_add_f32_e32 v9, v15, v13
	ds_write_b64 v7, v[8:9]
.LBB431_13:
	s_or_b64 exec, exec, s[0:1]
	v_cmp_gt_u32_e32 vcc, 4, v11
	s_waitcnt lgkmcnt(0)
	s_barrier
	;; [unrolled: 13-line block ×3, first 2 shown]
	s_and_saveexec_b64 s[0:1], vcc
	s_cbranch_execz .LBB431_17
; %bb.16:
	ds_read2_b64 v[8:11], v7 offset1:2
	s_waitcnt lgkmcnt(0)
	v_add_f32_e32 v8, v10, v8
	v_add_f32_e32 v9, v11, v9
	ds_write_b64 v7, v[8:9]
.LBB431_17:
	s_or_b64 exec, exec, s[0:1]
	v_cmp_gt_u32_e32 vcc, 32, v0
	v_mov_b32_e32 v9, v6
	v_mov_b32_e32 v8, v5
	s_waitcnt lgkmcnt(0)
	s_barrier
	s_and_saveexec_b64 s[0:1], vcc
	s_cbranch_execz .LBB431_19
; %bb.18:
	s_movk_i32 s4, 0xf8
	v_mad_u32_u24 v8, v0, s4, v7
	ds_read2_b64 v[8:11], v8 offset1:1
	s_waitcnt lgkmcnt(0)
	v_add_f32_e32 v8, v10, v8
	v_add_f32_e32 v9, v11, v9
.LBB431_19:
	s_or_b64 exec, exec, s[0:1]
	s_branch .LBB431_32
.LBB431_20:
                                        ; implicit-def: $vgpr9
                                        ; implicit-def: $vgpr8
	s_cbranch_execz .LBB431_32
; %bb.21:
	s_movk_i32 s0, 0x200
	v_cmp_gt_u32_e32 vcc, s0, v0
	s_and_saveexec_b64 s[0:1], vcc
	s_cbranch_execz .LBB431_23
; %bb.22:
	ds_read2st64_b64 v[8:11], v7 offset1:8
	s_waitcnt lgkmcnt(0)
	v_add_f32_e32 v8, v10, v8
	v_add_f32_e32 v9, v11, v9
	ds_write_b64 v7, v[8:9]
.LBB431_23:
	s_or_b64 exec, exec, s[0:1]
	s_movk_i32 s0, 0x100
	v_cmp_gt_u32_e32 vcc, s0, v0
	s_waitcnt lgkmcnt(0)
	s_barrier
	s_and_saveexec_b64 s[0:1], vcc
	s_cbranch_execz .LBB431_25
; %bb.24:
	ds_read2st64_b64 v[8:11], v7 offset1:4
	s_waitcnt lgkmcnt(0)
	v_add_f32_e32 v8, v10, v8
	v_add_f32_e32 v9, v11, v9
	ds_write_b64 v7, v[8:9]
.LBB431_25:
	s_or_b64 exec, exec, s[0:1]
	s_movk_i32 s0, 0x80
	v_cmp_gt_u32_e32 vcc, s0, v0
	s_waitcnt lgkmcnt(0)
	s_barrier
	s_and_saveexec_b64 s[0:1], vcc
	s_cbranch_execz .LBB431_27
; %bb.26:
	ds_read2st64_b64 v[8:11], v7 offset1:2
	s_waitcnt lgkmcnt(0)
	v_add_f32_e32 v8, v10, v8
	v_add_f32_e32 v9, v11, v9
	ds_write_b64 v7, v[8:9]
.LBB431_27:
	s_or_b64 exec, exec, s[0:1]
	v_cmp_gt_u32_e32 vcc, 64, v0
	s_waitcnt lgkmcnt(0)
	s_barrier
	s_and_saveexec_b64 s[0:1], vcc
	s_cbranch_execz .LBB431_29
; %bb.28:
	ds_read2st64_b64 v[8:11], v7 offset1:1
	s_waitcnt lgkmcnt(0)
	v_add_f32_e32 v8, v10, v8
	v_add_f32_e32 v9, v11, v9
	ds_write_b64 v7, v[8:9]
.LBB431_29:
	s_or_b64 exec, exec, s[0:1]
	v_cmp_gt_u32_e32 vcc, 32, v0
	s_waitcnt lgkmcnt(0)
	s_and_saveexec_b64 s[0:1], vcc
	s_cbranch_execz .LBB431_31
; %bb.30:
	ds_read2_b64 v[8:11], v7 offset1:32
	s_waitcnt lgkmcnt(0)
	v_add_f32_e32 v5, v10, v8
	v_add_f32_e32 v6, v11, v9
.LBB431_31:
	s_or_b64 exec, exec, s[0:1]
	v_mov_b32_e32 v9, v6
	v_mov_b32_e32 v8, v5
.LBB431_32:
	v_cmp_gt_u32_e32 vcc, 32, v0
	s_and_b64 exec, exec, vcc
	s_cbranch_execz .LBB431_37
; %bb.33:
	v_cmp_eq_f32_e32 vcc, 0, v1
	v_cmp_eq_f32_e64 s[0:1], 0, v2
	v_mul_f32_e64 v5, v9, -v4
	v_mul_f32_e32 v6, v3, v9
	s_and_b64 s[0:1], vcc, s[0:1]
	v_fmac_f32_e32 v5, v3, v8
	v_fmac_f32_e32 v6, v4, v8
	s_and_saveexec_b64 s[4:5], s[0:1]
	s_xor_b64 s[0:1], exec, s[4:5]
	s_cbranch_execz .LBB431_35
; %bb.34:
	s_lshl_b64 s[4:5], s[6:7], 8
	s_add_u32 s4, s2, s4
	s_addc_u32 s5, s3, s5
	global_store_dwordx2 v7, v[5:6], s[4:5]
                                        ; implicit-def: $vgpr7
                                        ; implicit-def: $vgpr1_vgpr2
                                        ; implicit-def: $vgpr5
.LBB431_35:
	s_andn2_saveexec_b64 s[0:1], s[0:1]
	s_cbranch_execz .LBB431_37
; %bb.36:
	s_lshl_b64 s[0:1], s[6:7], 8
	s_add_u32 s0, s2, s0
	s_addc_u32 s1, s3, s1
	global_load_dwordx2 v[3:4], v7, s[0:1]
	s_waitcnt vmcnt(0)
	v_fmac_f32_e32 v5, v1, v3
	v_fmac_f32_e32 v6, v2, v3
	v_fma_f32 v5, -v2, v4, v5
	v_fmac_f32_e32 v6, v1, v4
	global_store_dwordx2 v7, v[5:6], s[0:1]
.LBB431_37:
	s_endpgm
	.section	.rodata,"a",@progbits
	.p2align	6, 0x0
	.amdhsa_kernel _ZN9rocsparseL20bsrxmvn_17_32_kernelILj32E21rocsparse_complex_numIfEllfS2_S2_EEvT2_20rocsparse_direction_NS_24const_host_device_scalarIT0_EES3_PKS3_PKT1_SC_S9_PKT3_PKT4_S7_PT5_21rocsparse_index_base_b
		.amdhsa_group_segment_fixed_size 8192
		.amdhsa_private_segment_fixed_size 0
		.amdhsa_kernarg_size 104
		.amdhsa_user_sgpr_count 6
		.amdhsa_user_sgpr_private_segment_buffer 1
		.amdhsa_user_sgpr_dispatch_ptr 0
		.amdhsa_user_sgpr_queue_ptr 0
		.amdhsa_user_sgpr_kernarg_segment_ptr 1
		.amdhsa_user_sgpr_dispatch_id 0
		.amdhsa_user_sgpr_flat_scratch_init 0
		.amdhsa_user_sgpr_private_segment_size 0
		.amdhsa_uses_dynamic_stack 0
		.amdhsa_system_sgpr_private_segment_wavefront_offset 0
		.amdhsa_system_sgpr_workgroup_id_x 1
		.amdhsa_system_sgpr_workgroup_id_y 0
		.amdhsa_system_sgpr_workgroup_id_z 0
		.amdhsa_system_sgpr_workgroup_info 0
		.amdhsa_system_vgpr_workitem_id 0
		.amdhsa_next_free_vgpr 29
		.amdhsa_next_free_sgpr 61
		.amdhsa_reserve_vcc 1
		.amdhsa_reserve_flat_scratch 0
		.amdhsa_float_round_mode_32 0
		.amdhsa_float_round_mode_16_64 0
		.amdhsa_float_denorm_mode_32 3
		.amdhsa_float_denorm_mode_16_64 3
		.amdhsa_dx10_clamp 1
		.amdhsa_ieee_mode 1
		.amdhsa_fp16_overflow 0
		.amdhsa_exception_fp_ieee_invalid_op 0
		.amdhsa_exception_fp_denorm_src 0
		.amdhsa_exception_fp_ieee_div_zero 0
		.amdhsa_exception_fp_ieee_overflow 0
		.amdhsa_exception_fp_ieee_underflow 0
		.amdhsa_exception_fp_ieee_inexact 0
		.amdhsa_exception_int_div_zero 0
	.end_amdhsa_kernel
	.section	.text._ZN9rocsparseL20bsrxmvn_17_32_kernelILj32E21rocsparse_complex_numIfEllfS2_S2_EEvT2_20rocsparse_direction_NS_24const_host_device_scalarIT0_EES3_PKS3_PKT1_SC_S9_PKT3_PKT4_S7_PT5_21rocsparse_index_base_b,"axG",@progbits,_ZN9rocsparseL20bsrxmvn_17_32_kernelILj32E21rocsparse_complex_numIfEllfS2_S2_EEvT2_20rocsparse_direction_NS_24const_host_device_scalarIT0_EES3_PKS3_PKT1_SC_S9_PKT3_PKT4_S7_PT5_21rocsparse_index_base_b,comdat
.Lfunc_end431:
	.size	_ZN9rocsparseL20bsrxmvn_17_32_kernelILj32E21rocsparse_complex_numIfEllfS2_S2_EEvT2_20rocsparse_direction_NS_24const_host_device_scalarIT0_EES3_PKS3_PKT1_SC_S9_PKT3_PKT4_S7_PT5_21rocsparse_index_base_b, .Lfunc_end431-_ZN9rocsparseL20bsrxmvn_17_32_kernelILj32E21rocsparse_complex_numIfEllfS2_S2_EEvT2_20rocsparse_direction_NS_24const_host_device_scalarIT0_EES3_PKS3_PKT1_SC_S9_PKT3_PKT4_S7_PT5_21rocsparse_index_base_b
                                        ; -- End function
	.set _ZN9rocsparseL20bsrxmvn_17_32_kernelILj32E21rocsparse_complex_numIfEllfS2_S2_EEvT2_20rocsparse_direction_NS_24const_host_device_scalarIT0_EES3_PKS3_PKT1_SC_S9_PKT3_PKT4_S7_PT5_21rocsparse_index_base_b.num_vgpr, 17
	.set _ZN9rocsparseL20bsrxmvn_17_32_kernelILj32E21rocsparse_complex_numIfEllfS2_S2_EEvT2_20rocsparse_direction_NS_24const_host_device_scalarIT0_EES3_PKS3_PKT1_SC_S9_PKT3_PKT4_S7_PT5_21rocsparse_index_base_b.num_agpr, 0
	.set _ZN9rocsparseL20bsrxmvn_17_32_kernelILj32E21rocsparse_complex_numIfEllfS2_S2_EEvT2_20rocsparse_direction_NS_24const_host_device_scalarIT0_EES3_PKS3_PKT1_SC_S9_PKT3_PKT4_S7_PT5_21rocsparse_index_base_b.numbered_sgpr, 22
	.set _ZN9rocsparseL20bsrxmvn_17_32_kernelILj32E21rocsparse_complex_numIfEllfS2_S2_EEvT2_20rocsparse_direction_NS_24const_host_device_scalarIT0_EES3_PKS3_PKT1_SC_S9_PKT3_PKT4_S7_PT5_21rocsparse_index_base_b.num_named_barrier, 0
	.set _ZN9rocsparseL20bsrxmvn_17_32_kernelILj32E21rocsparse_complex_numIfEllfS2_S2_EEvT2_20rocsparse_direction_NS_24const_host_device_scalarIT0_EES3_PKS3_PKT1_SC_S9_PKT3_PKT4_S7_PT5_21rocsparse_index_base_b.private_seg_size, 0
	.set _ZN9rocsparseL20bsrxmvn_17_32_kernelILj32E21rocsparse_complex_numIfEllfS2_S2_EEvT2_20rocsparse_direction_NS_24const_host_device_scalarIT0_EES3_PKS3_PKT1_SC_S9_PKT3_PKT4_S7_PT5_21rocsparse_index_base_b.uses_vcc, 1
	.set _ZN9rocsparseL20bsrxmvn_17_32_kernelILj32E21rocsparse_complex_numIfEllfS2_S2_EEvT2_20rocsparse_direction_NS_24const_host_device_scalarIT0_EES3_PKS3_PKT1_SC_S9_PKT3_PKT4_S7_PT5_21rocsparse_index_base_b.uses_flat_scratch, 0
	.set _ZN9rocsparseL20bsrxmvn_17_32_kernelILj32E21rocsparse_complex_numIfEllfS2_S2_EEvT2_20rocsparse_direction_NS_24const_host_device_scalarIT0_EES3_PKS3_PKT1_SC_S9_PKT3_PKT4_S7_PT5_21rocsparse_index_base_b.has_dyn_sized_stack, 0
	.set _ZN9rocsparseL20bsrxmvn_17_32_kernelILj32E21rocsparse_complex_numIfEllfS2_S2_EEvT2_20rocsparse_direction_NS_24const_host_device_scalarIT0_EES3_PKS3_PKT1_SC_S9_PKT3_PKT4_S7_PT5_21rocsparse_index_base_b.has_recursion, 0
	.set _ZN9rocsparseL20bsrxmvn_17_32_kernelILj32E21rocsparse_complex_numIfEllfS2_S2_EEvT2_20rocsparse_direction_NS_24const_host_device_scalarIT0_EES3_PKS3_PKT1_SC_S9_PKT3_PKT4_S7_PT5_21rocsparse_index_base_b.has_indirect_call, 0
	.section	.AMDGPU.csdata,"",@progbits
; Kernel info:
; codeLenInByte = 1304
; TotalNumSgprs: 26
; NumVgprs: 17
; ScratchSize: 0
; MemoryBound: 0
; FloatMode: 240
; IeeeMode: 1
; LDSByteSize: 8192 bytes/workgroup (compile time only)
; SGPRBlocks: 8
; VGPRBlocks: 7
; NumSGPRsForWavesPerEU: 65
; NumVGPRsForWavesPerEU: 29
; Occupancy: 8
; WaveLimiterHint : 1
; COMPUTE_PGM_RSRC2:SCRATCH_EN: 0
; COMPUTE_PGM_RSRC2:USER_SGPR: 6
; COMPUTE_PGM_RSRC2:TRAP_HANDLER: 0
; COMPUTE_PGM_RSRC2:TGID_X_EN: 1
; COMPUTE_PGM_RSRC2:TGID_Y_EN: 0
; COMPUTE_PGM_RSRC2:TGID_Z_EN: 0
; COMPUTE_PGM_RSRC2:TIDIG_COMP_CNT: 0
	.section	.text._ZN9rocsparseL20bsrxmvn_17_32_kernelILj17E21rocsparse_complex_numIdEiidS2_S2_EEvT2_20rocsparse_direction_NS_24const_host_device_scalarIT0_EES3_PKS3_PKT1_SC_S9_PKT3_PKT4_S7_PT5_21rocsparse_index_base_b,"axG",@progbits,_ZN9rocsparseL20bsrxmvn_17_32_kernelILj17E21rocsparse_complex_numIdEiidS2_S2_EEvT2_20rocsparse_direction_NS_24const_host_device_scalarIT0_EES3_PKS3_PKT1_SC_S9_PKT3_PKT4_S7_PT5_21rocsparse_index_base_b,comdat
	.globl	_ZN9rocsparseL20bsrxmvn_17_32_kernelILj17E21rocsparse_complex_numIdEiidS2_S2_EEvT2_20rocsparse_direction_NS_24const_host_device_scalarIT0_EES3_PKS3_PKT1_SC_S9_PKT3_PKT4_S7_PT5_21rocsparse_index_base_b ; -- Begin function _ZN9rocsparseL20bsrxmvn_17_32_kernelILj17E21rocsparse_complex_numIdEiidS2_S2_EEvT2_20rocsparse_direction_NS_24const_host_device_scalarIT0_EES3_PKS3_PKT1_SC_S9_PKT3_PKT4_S7_PT5_21rocsparse_index_base_b
	.p2align	8
	.type	_ZN9rocsparseL20bsrxmvn_17_32_kernelILj17E21rocsparse_complex_numIdEiidS2_S2_EEvT2_20rocsparse_direction_NS_24const_host_device_scalarIT0_EES3_PKS3_PKT1_SC_S9_PKT3_PKT4_S7_PT5_21rocsparse_index_base_b,@function
_ZN9rocsparseL20bsrxmvn_17_32_kernelILj17E21rocsparse_complex_numIdEiidS2_S2_EEvT2_20rocsparse_direction_NS_24const_host_device_scalarIT0_EES3_PKS3_PKT1_SC_S9_PKT3_PKT4_S7_PT5_21rocsparse_index_base_b: ; @_ZN9rocsparseL20bsrxmvn_17_32_kernelILj17E21rocsparse_complex_numIdEiidS2_S2_EEvT2_20rocsparse_direction_NS_24const_host_device_scalarIT0_EES3_PKS3_PKT1_SC_S9_PKT3_PKT4_S7_PT5_21rocsparse_index_base_b
; %bb.0:
	s_load_dwordx2 s[0:1], s[4:5], 0x8
	s_load_dwordx2 s[10:11], s[4:5], 0x68
	s_add_u32 s7, s4, 8
	s_addc_u32 s8, s5, 0
	s_add_u32 s9, s4, 0x50
	s_addc_u32 s12, s5, 0
	s_waitcnt lgkmcnt(0)
	s_bitcmp1_b32 s11, 0
	s_cselect_b32 s1, s8, s1
	s_cselect_b32 s0, s7, s0
	v_mov_b32_e32 v1, s0
	v_mov_b32_e32 v2, s1
	flat_load_dwordx4 v[5:8], v[1:2]
	s_load_dwordx2 s[2:3], s[4:5], 0x50
	s_waitcnt lgkmcnt(0)
	s_cselect_b32 s0, s12, s3
	s_cselect_b32 s1, s9, s2
	v_mov_b32_e32 v1, s1
	v_mov_b32_e32 v2, s0
	flat_load_dwordx4 v[1:4], v[1:2]
	s_waitcnt vmcnt(0)
	v_cmp_eq_f64_e32 vcc, 0, v[5:6]
	v_cmp_eq_f64_e64 s[0:1], 0, v[7:8]
	s_and_b64 s[8:9], vcc, s[0:1]
	s_mov_b64 s[0:1], -1
	s_and_saveexec_b64 s[2:3], s[8:9]
	s_cbranch_execz .LBB432_2
; %bb.1:
	s_waitcnt lgkmcnt(0)
	v_cmp_neq_f64_e32 vcc, 1.0, v[1:2]
	v_cmp_neq_f64_e64 s[0:1], 0, v[3:4]
	s_or_b64 s[0:1], vcc, s[0:1]
	s_orn2_b64 s[0:1], s[0:1], exec
.LBB432_2:
	s_or_b64 exec, exec, s[2:3]
	s_and_saveexec_b64 s[2:3], s[0:1]
	s_cbranch_execz .LBB432_39
; %bb.3:
	s_load_dwordx4 s[0:3], s[4:5], 0x20
	s_load_dwordx2 s[14:15], s[4:5], 0x30
	s_waitcnt lgkmcnt(0)
	s_cmp_eq_u64 s[0:1], 0
	s_cbranch_scc1 .LBB432_5
; %bb.4:
	s_ashr_i32 s7, s6, 31
	s_lshl_b64 s[6:7], s[6:7], 2
	s_add_u32 s0, s0, s6
	s_addc_u32 s1, s1, s7
	s_load_dword s0, s[0:1], 0x0
	s_waitcnt lgkmcnt(0)
	s_sub_i32 s6, s0, s10
.LBB432_5:
	s_load_dword s0, s[4:5], 0x4
	s_load_dwordx2 s[8:9], s[4:5], 0x60
	v_mul_u32_u24_e32 v13, 0xf10, v0
	v_mov_b32_e32 v9, 17
	v_mul_lo_u16_sdwa v14, v13, v9 dst_sel:DWORD dst_unused:UNUSED_PAD src0_sel:WORD_1 src1_sel:DWORD
	s_waitcnt lgkmcnt(0)
	s_cmp_eq_u32 s0, 1
	s_cselect_b64 vcc, -1, 0
	s_cmp_lg_u32 s0, 1
	s_cselect_b64 s[12:13], -1, 0
	s_ashr_i32 s7, s6, 31
	s_lshl_b64 s[0:1], s[6:7], 2
	s_add_u32 s2, s2, s0
	s_addc_u32 s3, s3, s1
	s_load_dword s11, s[2:3], 0x0
	s_add_u32 s2, s2, 4
	s_addc_u32 s3, s3, 0
	s_add_u32 s0, s14, s0
	s_addc_u32 s1, s15, s1
	s_cmp_eq_u64 s[14:15], 0
	s_cselect_b32 s1, s3, s1
	s_cselect_b32 s0, s2, s0
	s_load_dword s7, s[0:1], 0x0
	v_mov_b32_e32 v11, 0
	v_mov_b32_e32 v9, 0
	;; [unrolled: 1-line block ×4, first 2 shown]
	s_waitcnt lgkmcnt(0)
	s_cmp_ge_i32 s11, s7
	v_sub_u16_e32 v18, v0, v14
	s_cbranch_scc1 .LBB432_10
; %bb.6:
	s_load_dwordx2 s[14:15], s[4:5], 0x48
	s_load_dwordx4 s[0:3], s[4:5], 0x38
	v_mov_b32_e32 v9, 31
	v_mul_lo_u16_sdwa v9, v13, v9 dst_sel:DWORD dst_unused:UNUSED_PAD src0_sel:WORD_1 src1_sel:DWORD
	v_lshrrev_b16_e32 v9, 9, v9
	v_mul_lo_u16_e32 v9, 17, v9
	s_sub_i32 s11, s11, s10
	s_sub_i32 s7, s7, s10
	v_sub_u16_sdwa v9, v13, v9 dst_sel:DWORD dst_unused:UNUSED_PAD src0_sel:WORD_1 src1_sel:DWORD
	s_mul_i32 s5, s11, 0x908
	v_and_b32_e32 v9, 0xff, v9
	s_mul_hi_i32 s4, s11, 0x908
	s_waitcnt lgkmcnt(0)
	s_add_u32 s2, s2, s5
	v_cndmask_b32_e32 v13, v18, v9, vcc
	s_addc_u32 s3, s3, s4
	v_lshlrev_b32_e32 v9, 3, v0
	v_mov_b32_e32 v10, s3
	v_add_co_u32_e32 v14, vcc, s2, v9
	s_movk_i32 s2, 0xe3
	v_mov_b32_e32 v11, 0
	v_addc_co_u32_e32 v15, vcc, 0, v10, vcc
	v_mul_u32_u24_sdwa v19, v0, s2 dst_sel:DWORD dst_unused:UNUSED_PAD src0_sel:WORD_0 src1_sel:DWORD
	v_mov_b32_e32 v12, 0
	s_mov_b32 s2, 0
	v_mov_b32_e32 v9, v11
	s_brev_b32 s3, 1
	v_mov_b32_e32 v10, v12
	s_branch .LBB432_8
.LBB432_7:                              ;   in Loop: Header=BB432_8 Depth=1
	s_or_b64 exec, exec, s[4:5]
	s_add_i32 s11, s11, 1
	s_cmp_lt_i32 s11, s7
	s_cbranch_scc0 .LBB432_10
.LBB432_8:                              ; =>This Inner Loop Header: Depth=1
	v_add_u32_sdwa v16, v19, s11 dst_sel:DWORD dst_unused:UNUSED_PAD src0_sel:WORD_1 src1_sel:DWORD
	v_cmp_gt_i32_e32 vcc, s7, v16
	s_and_saveexec_b64 s[4:5], vcc
	s_cbranch_execz .LBB432_7
; %bb.9:                                ;   in Loop: Header=BB432_8 Depth=1
	v_ashrrev_i32_e32 v17, 31, v16
	v_lshlrev_b64 v[16:17], 2, v[16:17]
	v_mov_b32_e32 v20, s1
	v_add_co_u32_e32 v16, vcc, s0, v16
	v_addc_co_u32_e32 v17, vcc, v20, v17, vcc
	global_load_dword v16, v[16:17], off
	v_mov_b32_e32 v20, s15
	global_load_dwordx2 v[24:25], v[14:15], off
	s_waitcnt vmcnt(1)
	v_subrev_u32_e32 v16, s10, v16
	v_mad_u64_u32 v[16:17], s[16:17], v16, 17, v[13:14]
	v_ashrrev_i32_e32 v17, 31, v16
	v_lshlrev_b64 v[16:17], 4, v[16:17]
	v_add_co_u32_e32 v16, vcc, s14, v16
	v_addc_co_u32_e32 v17, vcc, v20, v17, vcc
	global_load_dwordx4 v[20:23], v[16:17], off
	v_add_co_u32_e32 v14, vcc, 0x908, v14
	v_addc_co_u32_e32 v15, vcc, 0, v15, vcc
	s_waitcnt vmcnt(0)
	v_fma_f64 v[9:10], v[24:25], v[20:21], v[9:10]
	v_fma_f64 v[11:12], v[20:21], 0, v[11:12]
	;; [unrolled: 1-line block ×4, first 2 shown]
	s_branch .LBB432_7
.LBB432_10:
	v_lshlrev_b32_e32 v17, 4, v0
	s_and_b64 vcc, exec, s[12:13]
	ds_write_b128 v17, v[9:12]
	s_waitcnt lgkmcnt(0)
	s_barrier
	s_cbranch_vccz .LBB432_22
; %bb.11:
	v_cmp_eq_u16_e32 vcc, 0, v18
	s_and_saveexec_b64 s[0:1], vcc
	s_cbranch_execz .LBB432_13
; %bb.12:
	ds_read_b128 v[13:16], v17 offset:256
	ds_read_b128 v[19:22], v17
	s_waitcnt lgkmcnt(0)
	v_add_f64 v[13:14], v[13:14], v[19:20]
	v_add_f64 v[15:16], v[15:16], v[21:22]
	ds_write_b128 v17, v[13:16]
.LBB432_13:
	s_or_b64 exec, exec, s[0:1]
	v_cmp_gt_u16_e32 vcc, 8, v18
	s_waitcnt lgkmcnt(0)
	s_barrier
	s_and_saveexec_b64 s[0:1], vcc
	s_cbranch_execz .LBB432_15
; %bb.14:
	ds_read_b128 v[13:16], v17 offset:128
	ds_read_b128 v[19:22], v17
	s_waitcnt lgkmcnt(0)
	v_add_f64 v[13:14], v[13:14], v[19:20]
	v_add_f64 v[15:16], v[15:16], v[21:22]
	ds_write_b128 v17, v[13:16]
.LBB432_15:
	s_or_b64 exec, exec, s[0:1]
	v_cmp_gt_u16_e32 vcc, 4, v18
	s_waitcnt lgkmcnt(0)
	s_barrier
	;; [unrolled: 14-line block ×3, first 2 shown]
	s_and_saveexec_b64 s[0:1], vcc
	s_cbranch_execz .LBB432_19
; %bb.18:
	ds_read_b128 v[13:16], v17
	ds_read_b128 v[18:21], v17 offset:32
	s_waitcnt lgkmcnt(0)
	v_add_f64 v[13:14], v[18:19], v[13:14]
	v_add_f64 v[15:16], v[20:21], v[15:16]
	ds_write_b128 v17, v[13:16]
.LBB432_19:
	s_or_b64 exec, exec, s[0:1]
	v_mov_b32_e32 v16, v12
	v_mov_b32_e32 v14, v10
	v_cmp_gt_u32_e32 vcc, 17, v0
	v_mov_b32_e32 v15, v11
	v_mov_b32_e32 v13, v9
	s_waitcnt lgkmcnt(0)
	s_barrier
	s_and_saveexec_b64 s[0:1], vcc
	s_cbranch_execz .LBB432_21
; %bb.20:
	v_lshl_add_u32 v18, v0, 8, v17
	ds_read_b128 v[13:16], v18
	ds_read_b128 v[18:21], v18 offset:16
	s_waitcnt lgkmcnt(0)
	v_add_f64 v[13:14], v[18:19], v[13:14]
	v_add_f64 v[15:16], v[20:21], v[15:16]
.LBB432_21:
	s_or_b64 exec, exec, s[0:1]
	v_cmp_gt_u32_e64 s[0:1], 17, v0
	s_branch .LBB432_34
.LBB432_22:
                                        ; implicit-def: $vgpr15_vgpr16
                                        ; implicit-def: $vgpr13_vgpr14
	v_cmp_gt_u32_e64 s[0:1], 17, v0
	s_cbranch_execz .LBB432_34
; %bb.23:
	s_and_saveexec_b64 s[2:3], s[0:1]
	s_cbranch_execz .LBB432_25
; %bb.24:
	ds_read_b128 v[13:16], v17 offset:4352
	ds_read_b128 v[18:21], v17
	s_waitcnt lgkmcnt(0)
	v_add_f64 v[13:14], v[13:14], v[18:19]
	v_add_f64 v[15:16], v[15:16], v[20:21]
	ds_write_b128 v17, v[13:16]
.LBB432_25:
	s_or_b64 exec, exec, s[2:3]
	s_movk_i32 s2, 0x88
	v_cmp_gt_u32_e32 vcc, s2, v0
	s_waitcnt lgkmcnt(0)
	s_barrier
	s_and_saveexec_b64 s[2:3], vcc
	s_cbranch_execz .LBB432_27
; %bb.26:
	ds_read_b128 v[13:16], v17 offset:2176
	ds_read_b128 v[18:21], v17
	s_waitcnt lgkmcnt(0)
	v_add_f64 v[13:14], v[13:14], v[18:19]
	v_add_f64 v[15:16], v[15:16], v[20:21]
	ds_write_b128 v17, v[13:16]
.LBB432_27:
	s_or_b64 exec, exec, s[2:3]
	s_movk_i32 s2, 0x44
	v_cmp_gt_u32_e32 vcc, s2, v0
	s_waitcnt lgkmcnt(0)
	s_barrier
	s_and_saveexec_b64 s[2:3], vcc
	s_cbranch_execz .LBB432_29
; %bb.28:
	ds_read_b128 v[13:16], v17 offset:1088
	ds_read_b128 v[18:21], v17
	s_waitcnt lgkmcnt(0)
	v_add_f64 v[13:14], v[13:14], v[18:19]
	v_add_f64 v[15:16], v[15:16], v[20:21]
	ds_write_b128 v17, v[13:16]
.LBB432_29:
	s_or_b64 exec, exec, s[2:3]
	v_cmp_gt_u32_e32 vcc, 34, v0
	s_waitcnt lgkmcnt(0)
	s_barrier
	s_and_saveexec_b64 s[2:3], vcc
	s_cbranch_execz .LBB432_31
; %bb.30:
	ds_read_b128 v[13:16], v17 offset:544
	ds_read_b128 v[18:21], v17
	s_waitcnt lgkmcnt(0)
	v_add_f64 v[13:14], v[13:14], v[18:19]
	v_add_f64 v[15:16], v[15:16], v[20:21]
	ds_write_b128 v17, v[13:16]
.LBB432_31:
	s_or_b64 exec, exec, s[2:3]
	s_waitcnt lgkmcnt(0)
	s_and_saveexec_b64 s[2:3], s[0:1]
	s_cbranch_execz .LBB432_33
; %bb.32:
	ds_read_b128 v[9:12], v17 offset:272
	ds_read_b128 v[13:16], v17
	s_waitcnt lgkmcnt(0)
	v_add_f64 v[9:10], v[9:10], v[13:14]
	v_add_f64 v[11:12], v[11:12], v[15:16]
.LBB432_33:
	s_or_b64 exec, exec, s[2:3]
	v_mov_b32_e32 v16, v12
	v_mov_b32_e32 v14, v10
	;; [unrolled: 1-line block ×4, first 2 shown]
.LBB432_34:
	v_cmp_gt_u32_e32 vcc, 17, v0
	s_and_b64 exec, exec, vcc
	s_cbranch_execz .LBB432_39
; %bb.35:
	v_mul_f64 v[9:10], v[15:16], -v[7:8]
	v_mul_f64 v[11:12], v[5:6], v[15:16]
	v_cmp_eq_f64_e32 vcc, 0, v[1:2]
	v_cmp_eq_f64_e64 s[0:1], 0, v[3:4]
	v_fma_f64 v[5:6], v[5:6], v[13:14], v[9:10]
	v_fma_f64 v[7:8], v[7:8], v[13:14], v[11:12]
	s_and_b64 s[0:1], vcc, s[0:1]
	s_and_saveexec_b64 s[2:3], s[0:1]
	s_xor_b64 s[0:1], exec, s[2:3]
	s_cbranch_execz .LBB432_37
; %bb.36:
	v_mad_u64_u32 v[0:1], s[2:3], s6, 17, v[0:1]
	v_mov_b32_e32 v1, 0
	v_mov_b32_e32 v2, s9
	v_lshlrev_b64 v[0:1], 4, v[0:1]
	v_add_co_u32_e32 v0, vcc, s8, v0
	v_addc_co_u32_e32 v1, vcc, v2, v1, vcc
	global_store_dwordx4 v[0:1], v[5:8], off
                                        ; implicit-def: $vgpr0
                                        ; implicit-def: $vgpr1_vgpr2
                                        ; implicit-def: $vgpr5_vgpr6
.LBB432_37:
	s_andn2_saveexec_b64 s[0:1], s[0:1]
	s_cbranch_execz .LBB432_39
; %bb.38:
	v_mad_u64_u32 v[9:10], s[0:1], s6, 17, v[0:1]
	v_mov_b32_e32 v10, 0
	v_mov_b32_e32 v0, s9
	v_lshlrev_b64 v[9:10], 4, v[9:10]
	v_add_co_u32_e32 v13, vcc, s8, v9
	v_addc_co_u32_e32 v14, vcc, v0, v10, vcc
	global_load_dwordx4 v[9:12], v[13:14], off
	s_waitcnt vmcnt(0)
	v_fma_f64 v[5:6], v[1:2], v[9:10], v[5:6]
	v_fma_f64 v[7:8], v[3:4], v[9:10], v[7:8]
	v_fma_f64 v[3:4], -v[3:4], v[11:12], v[5:6]
	v_fma_f64 v[5:6], v[1:2], v[11:12], v[7:8]
	global_store_dwordx4 v[13:14], v[3:6], off
.LBB432_39:
	s_endpgm
	.section	.rodata,"a",@progbits
	.p2align	6, 0x0
	.amdhsa_kernel _ZN9rocsparseL20bsrxmvn_17_32_kernelILj17E21rocsparse_complex_numIdEiidS2_S2_EEvT2_20rocsparse_direction_NS_24const_host_device_scalarIT0_EES3_PKS3_PKT1_SC_S9_PKT3_PKT4_S7_PT5_21rocsparse_index_base_b
		.amdhsa_group_segment_fixed_size 4624
		.amdhsa_private_segment_fixed_size 0
		.amdhsa_kernarg_size 112
		.amdhsa_user_sgpr_count 6
		.amdhsa_user_sgpr_private_segment_buffer 1
		.amdhsa_user_sgpr_dispatch_ptr 0
		.amdhsa_user_sgpr_queue_ptr 0
		.amdhsa_user_sgpr_kernarg_segment_ptr 1
		.amdhsa_user_sgpr_dispatch_id 0
		.amdhsa_user_sgpr_flat_scratch_init 0
		.amdhsa_user_sgpr_private_segment_size 0
		.amdhsa_uses_dynamic_stack 0
		.amdhsa_system_sgpr_private_segment_wavefront_offset 0
		.amdhsa_system_sgpr_workgroup_id_x 1
		.amdhsa_system_sgpr_workgroup_id_y 0
		.amdhsa_system_sgpr_workgroup_id_z 0
		.amdhsa_system_sgpr_workgroup_info 0
		.amdhsa_system_vgpr_workitem_id 0
		.amdhsa_next_free_vgpr 26
		.amdhsa_next_free_sgpr 18
		.amdhsa_reserve_vcc 1
		.amdhsa_reserve_flat_scratch 0
		.amdhsa_float_round_mode_32 0
		.amdhsa_float_round_mode_16_64 0
		.amdhsa_float_denorm_mode_32 3
		.amdhsa_float_denorm_mode_16_64 3
		.amdhsa_dx10_clamp 1
		.amdhsa_ieee_mode 1
		.amdhsa_fp16_overflow 0
		.amdhsa_exception_fp_ieee_invalid_op 0
		.amdhsa_exception_fp_denorm_src 0
		.amdhsa_exception_fp_ieee_div_zero 0
		.amdhsa_exception_fp_ieee_overflow 0
		.amdhsa_exception_fp_ieee_underflow 0
		.amdhsa_exception_fp_ieee_inexact 0
		.amdhsa_exception_int_div_zero 0
	.end_amdhsa_kernel
	.section	.text._ZN9rocsparseL20bsrxmvn_17_32_kernelILj17E21rocsparse_complex_numIdEiidS2_S2_EEvT2_20rocsparse_direction_NS_24const_host_device_scalarIT0_EES3_PKS3_PKT1_SC_S9_PKT3_PKT4_S7_PT5_21rocsparse_index_base_b,"axG",@progbits,_ZN9rocsparseL20bsrxmvn_17_32_kernelILj17E21rocsparse_complex_numIdEiidS2_S2_EEvT2_20rocsparse_direction_NS_24const_host_device_scalarIT0_EES3_PKS3_PKT1_SC_S9_PKT3_PKT4_S7_PT5_21rocsparse_index_base_b,comdat
.Lfunc_end432:
	.size	_ZN9rocsparseL20bsrxmvn_17_32_kernelILj17E21rocsparse_complex_numIdEiidS2_S2_EEvT2_20rocsparse_direction_NS_24const_host_device_scalarIT0_EES3_PKS3_PKT1_SC_S9_PKT3_PKT4_S7_PT5_21rocsparse_index_base_b, .Lfunc_end432-_ZN9rocsparseL20bsrxmvn_17_32_kernelILj17E21rocsparse_complex_numIdEiidS2_S2_EEvT2_20rocsparse_direction_NS_24const_host_device_scalarIT0_EES3_PKS3_PKT1_SC_S9_PKT3_PKT4_S7_PT5_21rocsparse_index_base_b
                                        ; -- End function
	.set _ZN9rocsparseL20bsrxmvn_17_32_kernelILj17E21rocsparse_complex_numIdEiidS2_S2_EEvT2_20rocsparse_direction_NS_24const_host_device_scalarIT0_EES3_PKS3_PKT1_SC_S9_PKT3_PKT4_S7_PT5_21rocsparse_index_base_b.num_vgpr, 26
	.set _ZN9rocsparseL20bsrxmvn_17_32_kernelILj17E21rocsparse_complex_numIdEiidS2_S2_EEvT2_20rocsparse_direction_NS_24const_host_device_scalarIT0_EES3_PKS3_PKT1_SC_S9_PKT3_PKT4_S7_PT5_21rocsparse_index_base_b.num_agpr, 0
	.set _ZN9rocsparseL20bsrxmvn_17_32_kernelILj17E21rocsparse_complex_numIdEiidS2_S2_EEvT2_20rocsparse_direction_NS_24const_host_device_scalarIT0_EES3_PKS3_PKT1_SC_S9_PKT3_PKT4_S7_PT5_21rocsparse_index_base_b.numbered_sgpr, 18
	.set _ZN9rocsparseL20bsrxmvn_17_32_kernelILj17E21rocsparse_complex_numIdEiidS2_S2_EEvT2_20rocsparse_direction_NS_24const_host_device_scalarIT0_EES3_PKS3_PKT1_SC_S9_PKT3_PKT4_S7_PT5_21rocsparse_index_base_b.num_named_barrier, 0
	.set _ZN9rocsparseL20bsrxmvn_17_32_kernelILj17E21rocsparse_complex_numIdEiidS2_S2_EEvT2_20rocsparse_direction_NS_24const_host_device_scalarIT0_EES3_PKS3_PKT1_SC_S9_PKT3_PKT4_S7_PT5_21rocsparse_index_base_b.private_seg_size, 0
	.set _ZN9rocsparseL20bsrxmvn_17_32_kernelILj17E21rocsparse_complex_numIdEiidS2_S2_EEvT2_20rocsparse_direction_NS_24const_host_device_scalarIT0_EES3_PKS3_PKT1_SC_S9_PKT3_PKT4_S7_PT5_21rocsparse_index_base_b.uses_vcc, 1
	.set _ZN9rocsparseL20bsrxmvn_17_32_kernelILj17E21rocsparse_complex_numIdEiidS2_S2_EEvT2_20rocsparse_direction_NS_24const_host_device_scalarIT0_EES3_PKS3_PKT1_SC_S9_PKT3_PKT4_S7_PT5_21rocsparse_index_base_b.uses_flat_scratch, 0
	.set _ZN9rocsparseL20bsrxmvn_17_32_kernelILj17E21rocsparse_complex_numIdEiidS2_S2_EEvT2_20rocsparse_direction_NS_24const_host_device_scalarIT0_EES3_PKS3_PKT1_SC_S9_PKT3_PKT4_S7_PT5_21rocsparse_index_base_b.has_dyn_sized_stack, 0
	.set _ZN9rocsparseL20bsrxmvn_17_32_kernelILj17E21rocsparse_complex_numIdEiidS2_S2_EEvT2_20rocsparse_direction_NS_24const_host_device_scalarIT0_EES3_PKS3_PKT1_SC_S9_PKT3_PKT4_S7_PT5_21rocsparse_index_base_b.has_recursion, 0
	.set _ZN9rocsparseL20bsrxmvn_17_32_kernelILj17E21rocsparse_complex_numIdEiidS2_S2_EEvT2_20rocsparse_direction_NS_24const_host_device_scalarIT0_EES3_PKS3_PKT1_SC_S9_PKT3_PKT4_S7_PT5_21rocsparse_index_base_b.has_indirect_call, 0
	.section	.AMDGPU.csdata,"",@progbits
; Kernel info:
; codeLenInByte = 1648
; TotalNumSgprs: 22
; NumVgprs: 26
; ScratchSize: 0
; MemoryBound: 0
; FloatMode: 240
; IeeeMode: 1
; LDSByteSize: 4624 bytes/workgroup (compile time only)
; SGPRBlocks: 2
; VGPRBlocks: 6
; NumSGPRsForWavesPerEU: 22
; NumVGPRsForWavesPerEU: 26
; Occupancy: 9
; WaveLimiterHint : 1
; COMPUTE_PGM_RSRC2:SCRATCH_EN: 0
; COMPUTE_PGM_RSRC2:USER_SGPR: 6
; COMPUTE_PGM_RSRC2:TRAP_HANDLER: 0
; COMPUTE_PGM_RSRC2:TGID_X_EN: 1
; COMPUTE_PGM_RSRC2:TGID_Y_EN: 0
; COMPUTE_PGM_RSRC2:TGID_Z_EN: 0
; COMPUTE_PGM_RSRC2:TIDIG_COMP_CNT: 0
	.section	.text._ZN9rocsparseL20bsrxmvn_17_32_kernelILj18E21rocsparse_complex_numIdEiidS2_S2_EEvT2_20rocsparse_direction_NS_24const_host_device_scalarIT0_EES3_PKS3_PKT1_SC_S9_PKT3_PKT4_S7_PT5_21rocsparse_index_base_b,"axG",@progbits,_ZN9rocsparseL20bsrxmvn_17_32_kernelILj18E21rocsparse_complex_numIdEiidS2_S2_EEvT2_20rocsparse_direction_NS_24const_host_device_scalarIT0_EES3_PKS3_PKT1_SC_S9_PKT3_PKT4_S7_PT5_21rocsparse_index_base_b,comdat
	.globl	_ZN9rocsparseL20bsrxmvn_17_32_kernelILj18E21rocsparse_complex_numIdEiidS2_S2_EEvT2_20rocsparse_direction_NS_24const_host_device_scalarIT0_EES3_PKS3_PKT1_SC_S9_PKT3_PKT4_S7_PT5_21rocsparse_index_base_b ; -- Begin function _ZN9rocsparseL20bsrxmvn_17_32_kernelILj18E21rocsparse_complex_numIdEiidS2_S2_EEvT2_20rocsparse_direction_NS_24const_host_device_scalarIT0_EES3_PKS3_PKT1_SC_S9_PKT3_PKT4_S7_PT5_21rocsparse_index_base_b
	.p2align	8
	.type	_ZN9rocsparseL20bsrxmvn_17_32_kernelILj18E21rocsparse_complex_numIdEiidS2_S2_EEvT2_20rocsparse_direction_NS_24const_host_device_scalarIT0_EES3_PKS3_PKT1_SC_S9_PKT3_PKT4_S7_PT5_21rocsparse_index_base_b,@function
_ZN9rocsparseL20bsrxmvn_17_32_kernelILj18E21rocsparse_complex_numIdEiidS2_S2_EEvT2_20rocsparse_direction_NS_24const_host_device_scalarIT0_EES3_PKS3_PKT1_SC_S9_PKT3_PKT4_S7_PT5_21rocsparse_index_base_b: ; @_ZN9rocsparseL20bsrxmvn_17_32_kernelILj18E21rocsparse_complex_numIdEiidS2_S2_EEvT2_20rocsparse_direction_NS_24const_host_device_scalarIT0_EES3_PKS3_PKT1_SC_S9_PKT3_PKT4_S7_PT5_21rocsparse_index_base_b
; %bb.0:
	s_load_dwordx2 s[0:1], s[4:5], 0x8
	s_load_dwordx2 s[10:11], s[4:5], 0x68
	s_add_u32 s7, s4, 8
	s_addc_u32 s8, s5, 0
	s_add_u32 s9, s4, 0x50
	s_addc_u32 s12, s5, 0
	s_waitcnt lgkmcnt(0)
	s_bitcmp1_b32 s11, 0
	s_cselect_b32 s1, s8, s1
	s_cselect_b32 s0, s7, s0
	v_mov_b32_e32 v1, s0
	v_mov_b32_e32 v2, s1
	flat_load_dwordx4 v[5:8], v[1:2]
	s_load_dwordx2 s[2:3], s[4:5], 0x50
	s_waitcnt lgkmcnt(0)
	s_cselect_b32 s0, s12, s3
	s_cselect_b32 s1, s9, s2
	v_mov_b32_e32 v1, s1
	v_mov_b32_e32 v2, s0
	flat_load_dwordx4 v[1:4], v[1:2]
	s_waitcnt vmcnt(0)
	v_cmp_eq_f64_e32 vcc, 0, v[5:6]
	v_cmp_eq_f64_e64 s[0:1], 0, v[7:8]
	s_and_b64 s[8:9], vcc, s[0:1]
	s_mov_b64 s[0:1], -1
	s_and_saveexec_b64 s[2:3], s[8:9]
	s_cbranch_execz .LBB433_2
; %bb.1:
	s_waitcnt lgkmcnt(0)
	v_cmp_neq_f64_e32 vcc, 1.0, v[1:2]
	v_cmp_neq_f64_e64 s[0:1], 0, v[3:4]
	s_or_b64 s[0:1], vcc, s[0:1]
	s_orn2_b64 s[0:1], s[0:1], exec
.LBB433_2:
	s_or_b64 exec, exec, s[2:3]
	s_and_saveexec_b64 s[2:3], s[0:1]
	s_cbranch_execz .LBB433_39
; %bb.3:
	s_load_dwordx4 s[0:3], s[4:5], 0x20
	s_load_dwordx2 s[14:15], s[4:5], 0x30
	s_waitcnt lgkmcnt(0)
	s_cmp_eq_u64 s[0:1], 0
	s_cbranch_scc1 .LBB433_5
; %bb.4:
	s_ashr_i32 s7, s6, 31
	s_lshl_b64 s[6:7], s[6:7], 2
	s_add_u32 s0, s0, s6
	s_addc_u32 s1, s1, s7
	s_load_dword s0, s[0:1], 0x0
	s_waitcnt lgkmcnt(0)
	s_sub_i32 s6, s0, s10
.LBB433_5:
	s_load_dword s0, s[4:5], 0x4
	s_load_dwordx2 s[8:9], s[4:5], 0x60
	v_mul_u32_u24_e32 v13, 0xe39, v0
	v_mov_b32_e32 v14, 18
	v_mul_lo_u16_sdwa v15, v13, v14 dst_sel:DWORD dst_unused:UNUSED_PAD src0_sel:WORD_1 src1_sel:DWORD
	s_waitcnt lgkmcnt(0)
	s_cmp_eq_u32 s0, 1
	s_cselect_b64 vcc, -1, 0
	s_cmp_lg_u32 s0, 1
	s_cselect_b64 s[12:13], -1, 0
	s_ashr_i32 s7, s6, 31
	s_lshl_b64 s[0:1], s[6:7], 2
	s_add_u32 s2, s2, s0
	s_addc_u32 s3, s3, s1
	s_load_dword s11, s[2:3], 0x0
	s_add_u32 s2, s2, 4
	s_addc_u32 s3, s3, 0
	s_add_u32 s0, s14, s0
	s_addc_u32 s1, s15, s1
	s_cmp_eq_u64 s[14:15], 0
	s_cselect_b32 s1, s3, s1
	s_cselect_b32 s0, s2, s0
	s_load_dword s7, s[0:1], 0x0
	v_mov_b32_e32 v11, 0
	v_mov_b32_e32 v9, 0
	;; [unrolled: 1-line block ×4, first 2 shown]
	s_waitcnt lgkmcnt(0)
	s_cmp_ge_i32 s11, s7
	v_sub_u16_e32 v18, v0, v15
	s_cbranch_scc1 .LBB433_10
; %bb.6:
	s_load_dwordx2 s[14:15], s[4:5], 0x48
	s_load_dwordx4 s[0:3], s[4:5], 0x38
	v_mov_b32_e32 v9, 15
	v_mul_lo_u16_sdwa v9, v13, v9 dst_sel:DWORD dst_unused:UNUSED_PAD src0_sel:WORD_1 src1_sel:DWORD
	v_mul_lo_u16_sdwa v9, v9, v14 dst_sel:DWORD dst_unused:UNUSED_PAD src0_sel:BYTE_1 src1_sel:DWORD
	v_sub_u16_sdwa v9, v13, v9 dst_sel:DWORD dst_unused:UNUSED_PAD src0_sel:WORD_1 src1_sel:DWORD
	s_sub_i32 s11, s11, s10
	s_sub_i32 s7, s7, s10
	v_and_b32_e32 v9, 0xff, v9
	s_mul_i32 s5, s11, 0xa20
	v_cndmask_b32_e32 v13, v18, v9, vcc
	s_mul_hi_i32 s4, s11, 0xa20
	s_waitcnt lgkmcnt(0)
	s_add_u32 s2, s2, s5
	v_lshlrev_b32_e32 v9, 3, v0
	s_addc_u32 s3, s3, s4
	v_add_co_u32_e32 v14, vcc, s2, v9
	s_movk_i32 s2, 0x195
	v_mov_b32_e32 v10, s3
	v_mul_u32_u24_sdwa v9, v0, s2 dst_sel:DWORD dst_unused:UNUSED_PAD src0_sel:WORD_0 src1_sel:DWORD
	v_mov_b32_e32 v11, 0
	v_addc_co_u32_e32 v15, vcc, 0, v10, vcc
	v_lshrrev_b32_e32 v19, 17, v9
	v_mov_b32_e32 v12, 0
	s_mov_b32 s2, 0
	v_mov_b32_e32 v9, v11
	s_brev_b32 s3, 1
	v_mov_b32_e32 v10, v12
	s_branch .LBB433_8
.LBB433_7:                              ;   in Loop: Header=BB433_8 Depth=1
	s_or_b64 exec, exec, s[4:5]
	s_add_i32 s11, s11, 1
	s_cmp_lt_i32 s11, s7
	s_cbranch_scc0 .LBB433_10
.LBB433_8:                              ; =>This Inner Loop Header: Depth=1
	v_add_u32_e32 v16, s11, v19
	v_cmp_gt_i32_e32 vcc, s7, v16
	s_and_saveexec_b64 s[4:5], vcc
	s_cbranch_execz .LBB433_7
; %bb.9:                                ;   in Loop: Header=BB433_8 Depth=1
	v_ashrrev_i32_e32 v17, 31, v16
	v_lshlrev_b64 v[16:17], 2, v[16:17]
	v_mov_b32_e32 v20, s1
	v_add_co_u32_e32 v16, vcc, s0, v16
	v_addc_co_u32_e32 v17, vcc, v20, v17, vcc
	global_load_dword v16, v[16:17], off
	v_mov_b32_e32 v20, s15
	global_load_dwordx2 v[24:25], v[14:15], off
	s_waitcnt vmcnt(1)
	v_subrev_u32_e32 v16, s10, v16
	v_mad_u64_u32 v[16:17], s[16:17], v16, 18, v[13:14]
	v_ashrrev_i32_e32 v17, 31, v16
	v_lshlrev_b64 v[16:17], 4, v[16:17]
	v_add_co_u32_e32 v16, vcc, s14, v16
	v_addc_co_u32_e32 v17, vcc, v20, v17, vcc
	global_load_dwordx4 v[20:23], v[16:17], off
	v_add_co_u32_e32 v14, vcc, 0xa20, v14
	v_addc_co_u32_e32 v15, vcc, 0, v15, vcc
	s_waitcnt vmcnt(0)
	v_fma_f64 v[9:10], v[24:25], v[20:21], v[9:10]
	v_fma_f64 v[11:12], v[20:21], 0, v[11:12]
	;; [unrolled: 1-line block ×4, first 2 shown]
	s_branch .LBB433_7
.LBB433_10:
	v_lshlrev_b32_e32 v17, 4, v0
	s_and_b64 vcc, exec, s[12:13]
	ds_write_b128 v17, v[9:12]
	s_waitcnt lgkmcnt(0)
	s_barrier
	s_cbranch_vccz .LBB433_22
; %bb.11:
	v_cmp_gt_u16_e32 vcc, 2, v18
	s_and_saveexec_b64 s[0:1], vcc
	s_cbranch_execz .LBB433_13
; %bb.12:
	ds_read_b128 v[13:16], v17 offset:256
	ds_read_b128 v[19:22], v17
	s_waitcnt lgkmcnt(0)
	v_add_f64 v[13:14], v[13:14], v[19:20]
	v_add_f64 v[15:16], v[15:16], v[21:22]
	ds_write_b128 v17, v[13:16]
.LBB433_13:
	s_or_b64 exec, exec, s[0:1]
	v_cmp_gt_u16_e64 s[0:1], 8, v18
	s_waitcnt lgkmcnt(0)
	s_barrier
	s_and_saveexec_b64 s[2:3], s[0:1]
	s_cbranch_execz .LBB433_15
; %bb.14:
	ds_read_b128 v[13:16], v17 offset:128
	ds_read_b128 v[19:22], v17
	s_waitcnt lgkmcnt(0)
	v_add_f64 v[13:14], v[13:14], v[19:20]
	v_add_f64 v[15:16], v[15:16], v[21:22]
	ds_write_b128 v17, v[13:16]
.LBB433_15:
	s_or_b64 exec, exec, s[2:3]
	v_cmp_gt_u16_e64 s[0:1], 4, v18
	s_waitcnt lgkmcnt(0)
	s_barrier
	s_and_saveexec_b64 s[2:3], s[0:1]
	s_cbranch_execz .LBB433_17
; %bb.16:
	ds_read_b128 v[13:16], v17 offset:64
	ds_read_b128 v[18:21], v17
	s_waitcnt lgkmcnt(0)
	v_add_f64 v[13:14], v[13:14], v[18:19]
	v_add_f64 v[15:16], v[15:16], v[20:21]
	ds_write_b128 v17, v[13:16]
.LBB433_17:
	s_or_b64 exec, exec, s[2:3]
	s_waitcnt lgkmcnt(0)
	s_barrier
	s_and_saveexec_b64 s[0:1], vcc
	s_cbranch_execz .LBB433_19
; %bb.18:
	ds_read_b128 v[13:16], v17
	ds_read_b128 v[18:21], v17 offset:32
	s_waitcnt lgkmcnt(0)
	v_add_f64 v[13:14], v[18:19], v[13:14]
	v_add_f64 v[15:16], v[20:21], v[15:16]
	ds_write_b128 v17, v[13:16]
.LBB433_19:
	s_or_b64 exec, exec, s[0:1]
	v_mov_b32_e32 v16, v12
	v_mov_b32_e32 v14, v10
	v_cmp_gt_u32_e32 vcc, 18, v0
	v_mov_b32_e32 v15, v11
	v_mov_b32_e32 v13, v9
	s_waitcnt lgkmcnt(0)
	s_barrier
	s_and_saveexec_b64 s[0:1], vcc
	s_cbranch_execz .LBB433_21
; %bb.20:
	s_movk_i32 s2, 0x110
	v_mad_u32_u24 v18, v0, s2, v17
	ds_read_b128 v[13:16], v18
	ds_read_b128 v[18:21], v18 offset:16
	s_waitcnt lgkmcnt(0)
	v_add_f64 v[13:14], v[18:19], v[13:14]
	v_add_f64 v[15:16], v[20:21], v[15:16]
.LBB433_21:
	s_or_b64 exec, exec, s[0:1]
	s_branch .LBB433_34
.LBB433_22:
                                        ; implicit-def: $vgpr15_vgpr16
                                        ; implicit-def: $vgpr13_vgpr14
	s_cbranch_execz .LBB433_34
; %bb.23:
	v_cmp_gt_u32_e32 vcc, 36, v0
	s_and_saveexec_b64 s[0:1], vcc
	s_cbranch_execz .LBB433_25
; %bb.24:
	ds_read_b128 v[13:16], v17 offset:4608
	ds_read_b128 v[18:21], v17
	s_waitcnt lgkmcnt(0)
	v_add_f64 v[13:14], v[13:14], v[18:19]
	v_add_f64 v[15:16], v[15:16], v[20:21]
	ds_write_b128 v17, v[13:16]
.LBB433_25:
	s_or_b64 exec, exec, s[0:1]
	s_movk_i32 s0, 0x90
	v_cmp_gt_u32_e64 s[0:1], s0, v0
	s_waitcnt lgkmcnt(0)
	s_barrier
	s_and_saveexec_b64 s[2:3], s[0:1]
	s_cbranch_execz .LBB433_27
; %bb.26:
	ds_read_b128 v[13:16], v17 offset:2304
	ds_read_b128 v[18:21], v17
	s_waitcnt lgkmcnt(0)
	v_add_f64 v[13:14], v[13:14], v[18:19]
	v_add_f64 v[15:16], v[15:16], v[20:21]
	ds_write_b128 v17, v[13:16]
.LBB433_27:
	s_or_b64 exec, exec, s[2:3]
	s_movk_i32 s0, 0x48
	v_cmp_gt_u32_e64 s[0:1], s0, v0
	s_waitcnt lgkmcnt(0)
	s_barrier
	s_and_saveexec_b64 s[2:3], s[0:1]
	s_cbranch_execz .LBB433_29
; %bb.28:
	ds_read_b128 v[13:16], v17 offset:1152
	ds_read_b128 v[18:21], v17
	s_waitcnt lgkmcnt(0)
	v_add_f64 v[13:14], v[13:14], v[18:19]
	v_add_f64 v[15:16], v[15:16], v[20:21]
	ds_write_b128 v17, v[13:16]
.LBB433_29:
	s_or_b64 exec, exec, s[2:3]
	s_waitcnt lgkmcnt(0)
	s_barrier
	s_and_saveexec_b64 s[0:1], vcc
	s_cbranch_execz .LBB433_31
; %bb.30:
	ds_read_b128 v[13:16], v17 offset:576
	ds_read_b128 v[18:21], v17
	s_waitcnt lgkmcnt(0)
	v_add_f64 v[13:14], v[13:14], v[18:19]
	v_add_f64 v[15:16], v[15:16], v[20:21]
	ds_write_b128 v17, v[13:16]
.LBB433_31:
	s_or_b64 exec, exec, s[0:1]
	v_cmp_gt_u32_e32 vcc, 18, v0
	s_waitcnt lgkmcnt(0)
	s_and_saveexec_b64 s[0:1], vcc
	s_cbranch_execz .LBB433_33
; %bb.32:
	ds_read_b128 v[9:12], v17 offset:288
	ds_read_b128 v[13:16], v17
	s_waitcnt lgkmcnt(0)
	v_add_f64 v[9:10], v[9:10], v[13:14]
	v_add_f64 v[11:12], v[11:12], v[15:16]
.LBB433_33:
	s_or_b64 exec, exec, s[0:1]
	v_mov_b32_e32 v16, v12
	v_mov_b32_e32 v14, v10
	;; [unrolled: 1-line block ×4, first 2 shown]
.LBB433_34:
	v_cmp_gt_u32_e32 vcc, 18, v0
	s_and_b64 exec, exec, vcc
	s_cbranch_execz .LBB433_39
; %bb.35:
	v_mul_f64 v[9:10], v[15:16], -v[7:8]
	v_mul_f64 v[11:12], v[5:6], v[15:16]
	v_cmp_eq_f64_e32 vcc, 0, v[1:2]
	v_cmp_eq_f64_e64 s[0:1], 0, v[3:4]
	v_fma_f64 v[5:6], v[5:6], v[13:14], v[9:10]
	v_fma_f64 v[7:8], v[7:8], v[13:14], v[11:12]
	s_and_b64 s[0:1], vcc, s[0:1]
	s_and_saveexec_b64 s[2:3], s[0:1]
	s_xor_b64 s[0:1], exec, s[2:3]
	s_cbranch_execz .LBB433_37
; %bb.36:
	v_mad_u64_u32 v[0:1], s[2:3], s6, 18, v[0:1]
	v_mov_b32_e32 v1, 0
	v_mov_b32_e32 v2, s9
	v_lshlrev_b64 v[0:1], 4, v[0:1]
	v_add_co_u32_e32 v0, vcc, s8, v0
	v_addc_co_u32_e32 v1, vcc, v2, v1, vcc
	global_store_dwordx4 v[0:1], v[5:8], off
                                        ; implicit-def: $vgpr0
                                        ; implicit-def: $vgpr1_vgpr2
                                        ; implicit-def: $vgpr5_vgpr6
.LBB433_37:
	s_andn2_saveexec_b64 s[0:1], s[0:1]
	s_cbranch_execz .LBB433_39
; %bb.38:
	v_mad_u64_u32 v[9:10], s[0:1], s6, 18, v[0:1]
	v_mov_b32_e32 v10, 0
	v_mov_b32_e32 v0, s9
	v_lshlrev_b64 v[9:10], 4, v[9:10]
	v_add_co_u32_e32 v13, vcc, s8, v9
	v_addc_co_u32_e32 v14, vcc, v0, v10, vcc
	global_load_dwordx4 v[9:12], v[13:14], off
	s_waitcnt vmcnt(0)
	v_fma_f64 v[5:6], v[1:2], v[9:10], v[5:6]
	v_fma_f64 v[7:8], v[3:4], v[9:10], v[7:8]
	v_fma_f64 v[3:4], -v[3:4], v[11:12], v[5:6]
	v_fma_f64 v[5:6], v[1:2], v[11:12], v[7:8]
	global_store_dwordx4 v[13:14], v[3:6], off
.LBB433_39:
	s_endpgm
	.section	.rodata,"a",@progbits
	.p2align	6, 0x0
	.amdhsa_kernel _ZN9rocsparseL20bsrxmvn_17_32_kernelILj18E21rocsparse_complex_numIdEiidS2_S2_EEvT2_20rocsparse_direction_NS_24const_host_device_scalarIT0_EES3_PKS3_PKT1_SC_S9_PKT3_PKT4_S7_PT5_21rocsparse_index_base_b
		.amdhsa_group_segment_fixed_size 5184
		.amdhsa_private_segment_fixed_size 0
		.amdhsa_kernarg_size 112
		.amdhsa_user_sgpr_count 6
		.amdhsa_user_sgpr_private_segment_buffer 1
		.amdhsa_user_sgpr_dispatch_ptr 0
		.amdhsa_user_sgpr_queue_ptr 0
		.amdhsa_user_sgpr_kernarg_segment_ptr 1
		.amdhsa_user_sgpr_dispatch_id 0
		.amdhsa_user_sgpr_flat_scratch_init 0
		.amdhsa_user_sgpr_private_segment_size 0
		.amdhsa_uses_dynamic_stack 0
		.amdhsa_system_sgpr_private_segment_wavefront_offset 0
		.amdhsa_system_sgpr_workgroup_id_x 1
		.amdhsa_system_sgpr_workgroup_id_y 0
		.amdhsa_system_sgpr_workgroup_id_z 0
		.amdhsa_system_sgpr_workgroup_info 0
		.amdhsa_system_vgpr_workitem_id 0
		.amdhsa_next_free_vgpr 26
		.amdhsa_next_free_sgpr 61
		.amdhsa_reserve_vcc 1
		.amdhsa_reserve_flat_scratch 0
		.amdhsa_float_round_mode_32 0
		.amdhsa_float_round_mode_16_64 0
		.amdhsa_float_denorm_mode_32 3
		.amdhsa_float_denorm_mode_16_64 3
		.amdhsa_dx10_clamp 1
		.amdhsa_ieee_mode 1
		.amdhsa_fp16_overflow 0
		.amdhsa_exception_fp_ieee_invalid_op 0
		.amdhsa_exception_fp_denorm_src 0
		.amdhsa_exception_fp_ieee_div_zero 0
		.amdhsa_exception_fp_ieee_overflow 0
		.amdhsa_exception_fp_ieee_underflow 0
		.amdhsa_exception_fp_ieee_inexact 0
		.amdhsa_exception_int_div_zero 0
	.end_amdhsa_kernel
	.section	.text._ZN9rocsparseL20bsrxmvn_17_32_kernelILj18E21rocsparse_complex_numIdEiidS2_S2_EEvT2_20rocsparse_direction_NS_24const_host_device_scalarIT0_EES3_PKS3_PKT1_SC_S9_PKT3_PKT4_S7_PT5_21rocsparse_index_base_b,"axG",@progbits,_ZN9rocsparseL20bsrxmvn_17_32_kernelILj18E21rocsparse_complex_numIdEiidS2_S2_EEvT2_20rocsparse_direction_NS_24const_host_device_scalarIT0_EES3_PKS3_PKT1_SC_S9_PKT3_PKT4_S7_PT5_21rocsparse_index_base_b,comdat
.Lfunc_end433:
	.size	_ZN9rocsparseL20bsrxmvn_17_32_kernelILj18E21rocsparse_complex_numIdEiidS2_S2_EEvT2_20rocsparse_direction_NS_24const_host_device_scalarIT0_EES3_PKS3_PKT1_SC_S9_PKT3_PKT4_S7_PT5_21rocsparse_index_base_b, .Lfunc_end433-_ZN9rocsparseL20bsrxmvn_17_32_kernelILj18E21rocsparse_complex_numIdEiidS2_S2_EEvT2_20rocsparse_direction_NS_24const_host_device_scalarIT0_EES3_PKS3_PKT1_SC_S9_PKT3_PKT4_S7_PT5_21rocsparse_index_base_b
                                        ; -- End function
	.set _ZN9rocsparseL20bsrxmvn_17_32_kernelILj18E21rocsparse_complex_numIdEiidS2_S2_EEvT2_20rocsparse_direction_NS_24const_host_device_scalarIT0_EES3_PKS3_PKT1_SC_S9_PKT3_PKT4_S7_PT5_21rocsparse_index_base_b.num_vgpr, 26
	.set _ZN9rocsparseL20bsrxmvn_17_32_kernelILj18E21rocsparse_complex_numIdEiidS2_S2_EEvT2_20rocsparse_direction_NS_24const_host_device_scalarIT0_EES3_PKS3_PKT1_SC_S9_PKT3_PKT4_S7_PT5_21rocsparse_index_base_b.num_agpr, 0
	.set _ZN9rocsparseL20bsrxmvn_17_32_kernelILj18E21rocsparse_complex_numIdEiidS2_S2_EEvT2_20rocsparse_direction_NS_24const_host_device_scalarIT0_EES3_PKS3_PKT1_SC_S9_PKT3_PKT4_S7_PT5_21rocsparse_index_base_b.numbered_sgpr, 18
	.set _ZN9rocsparseL20bsrxmvn_17_32_kernelILj18E21rocsparse_complex_numIdEiidS2_S2_EEvT2_20rocsparse_direction_NS_24const_host_device_scalarIT0_EES3_PKS3_PKT1_SC_S9_PKT3_PKT4_S7_PT5_21rocsparse_index_base_b.num_named_barrier, 0
	.set _ZN9rocsparseL20bsrxmvn_17_32_kernelILj18E21rocsparse_complex_numIdEiidS2_S2_EEvT2_20rocsparse_direction_NS_24const_host_device_scalarIT0_EES3_PKS3_PKT1_SC_S9_PKT3_PKT4_S7_PT5_21rocsparse_index_base_b.private_seg_size, 0
	.set _ZN9rocsparseL20bsrxmvn_17_32_kernelILj18E21rocsparse_complex_numIdEiidS2_S2_EEvT2_20rocsparse_direction_NS_24const_host_device_scalarIT0_EES3_PKS3_PKT1_SC_S9_PKT3_PKT4_S7_PT5_21rocsparse_index_base_b.uses_vcc, 1
	.set _ZN9rocsparseL20bsrxmvn_17_32_kernelILj18E21rocsparse_complex_numIdEiidS2_S2_EEvT2_20rocsparse_direction_NS_24const_host_device_scalarIT0_EES3_PKS3_PKT1_SC_S9_PKT3_PKT4_S7_PT5_21rocsparse_index_base_b.uses_flat_scratch, 0
	.set _ZN9rocsparseL20bsrxmvn_17_32_kernelILj18E21rocsparse_complex_numIdEiidS2_S2_EEvT2_20rocsparse_direction_NS_24const_host_device_scalarIT0_EES3_PKS3_PKT1_SC_S9_PKT3_PKT4_S7_PT5_21rocsparse_index_base_b.has_dyn_sized_stack, 0
	.set _ZN9rocsparseL20bsrxmvn_17_32_kernelILj18E21rocsparse_complex_numIdEiidS2_S2_EEvT2_20rocsparse_direction_NS_24const_host_device_scalarIT0_EES3_PKS3_PKT1_SC_S9_PKT3_PKT4_S7_PT5_21rocsparse_index_base_b.has_recursion, 0
	.set _ZN9rocsparseL20bsrxmvn_17_32_kernelILj18E21rocsparse_complex_numIdEiidS2_S2_EEvT2_20rocsparse_direction_NS_24const_host_device_scalarIT0_EES3_PKS3_PKT1_SC_S9_PKT3_PKT4_S7_PT5_21rocsparse_index_base_b.has_indirect_call, 0
	.section	.AMDGPU.csdata,"",@progbits
; Kernel info:
; codeLenInByte = 1652
; TotalNumSgprs: 22
; NumVgprs: 26
; ScratchSize: 0
; MemoryBound: 0
; FloatMode: 240
; IeeeMode: 1
; LDSByteSize: 5184 bytes/workgroup (compile time only)
; SGPRBlocks: 8
; VGPRBlocks: 6
; NumSGPRsForWavesPerEU: 65
; NumVGPRsForWavesPerEU: 26
; Occupancy: 9
; WaveLimiterHint : 1
; COMPUTE_PGM_RSRC2:SCRATCH_EN: 0
; COMPUTE_PGM_RSRC2:USER_SGPR: 6
; COMPUTE_PGM_RSRC2:TRAP_HANDLER: 0
; COMPUTE_PGM_RSRC2:TGID_X_EN: 1
; COMPUTE_PGM_RSRC2:TGID_Y_EN: 0
; COMPUTE_PGM_RSRC2:TGID_Z_EN: 0
; COMPUTE_PGM_RSRC2:TIDIG_COMP_CNT: 0
	.section	.text._ZN9rocsparseL20bsrxmvn_17_32_kernelILj19E21rocsparse_complex_numIdEiidS2_S2_EEvT2_20rocsparse_direction_NS_24const_host_device_scalarIT0_EES3_PKS3_PKT1_SC_S9_PKT3_PKT4_S7_PT5_21rocsparse_index_base_b,"axG",@progbits,_ZN9rocsparseL20bsrxmvn_17_32_kernelILj19E21rocsparse_complex_numIdEiidS2_S2_EEvT2_20rocsparse_direction_NS_24const_host_device_scalarIT0_EES3_PKS3_PKT1_SC_S9_PKT3_PKT4_S7_PT5_21rocsparse_index_base_b,comdat
	.globl	_ZN9rocsparseL20bsrxmvn_17_32_kernelILj19E21rocsparse_complex_numIdEiidS2_S2_EEvT2_20rocsparse_direction_NS_24const_host_device_scalarIT0_EES3_PKS3_PKT1_SC_S9_PKT3_PKT4_S7_PT5_21rocsparse_index_base_b ; -- Begin function _ZN9rocsparseL20bsrxmvn_17_32_kernelILj19E21rocsparse_complex_numIdEiidS2_S2_EEvT2_20rocsparse_direction_NS_24const_host_device_scalarIT0_EES3_PKS3_PKT1_SC_S9_PKT3_PKT4_S7_PT5_21rocsparse_index_base_b
	.p2align	8
	.type	_ZN9rocsparseL20bsrxmvn_17_32_kernelILj19E21rocsparse_complex_numIdEiidS2_S2_EEvT2_20rocsparse_direction_NS_24const_host_device_scalarIT0_EES3_PKS3_PKT1_SC_S9_PKT3_PKT4_S7_PT5_21rocsparse_index_base_b,@function
_ZN9rocsparseL20bsrxmvn_17_32_kernelILj19E21rocsparse_complex_numIdEiidS2_S2_EEvT2_20rocsparse_direction_NS_24const_host_device_scalarIT0_EES3_PKS3_PKT1_SC_S9_PKT3_PKT4_S7_PT5_21rocsparse_index_base_b: ; @_ZN9rocsparseL20bsrxmvn_17_32_kernelILj19E21rocsparse_complex_numIdEiidS2_S2_EEvT2_20rocsparse_direction_NS_24const_host_device_scalarIT0_EES3_PKS3_PKT1_SC_S9_PKT3_PKT4_S7_PT5_21rocsparse_index_base_b
; %bb.0:
	s_load_dwordx2 s[0:1], s[4:5], 0x8
	s_load_dwordx2 s[10:11], s[4:5], 0x68
	s_add_u32 s7, s4, 8
	s_addc_u32 s8, s5, 0
	s_add_u32 s9, s4, 0x50
	s_addc_u32 s12, s5, 0
	s_waitcnt lgkmcnt(0)
	s_bitcmp1_b32 s11, 0
	s_cselect_b32 s1, s8, s1
	s_cselect_b32 s0, s7, s0
	v_mov_b32_e32 v1, s0
	v_mov_b32_e32 v2, s1
	flat_load_dwordx4 v[5:8], v[1:2]
	s_load_dwordx2 s[2:3], s[4:5], 0x50
	s_waitcnt lgkmcnt(0)
	s_cselect_b32 s0, s12, s3
	s_cselect_b32 s1, s9, s2
	v_mov_b32_e32 v1, s1
	v_mov_b32_e32 v2, s0
	flat_load_dwordx4 v[1:4], v[1:2]
	s_waitcnt vmcnt(0)
	v_cmp_eq_f64_e32 vcc, 0, v[5:6]
	v_cmp_eq_f64_e64 s[0:1], 0, v[7:8]
	s_and_b64 s[8:9], vcc, s[0:1]
	s_mov_b64 s[0:1], -1
	s_and_saveexec_b64 s[2:3], s[8:9]
	s_cbranch_execz .LBB434_2
; %bb.1:
	s_waitcnt lgkmcnt(0)
	v_cmp_neq_f64_e32 vcc, 1.0, v[1:2]
	v_cmp_neq_f64_e64 s[0:1], 0, v[3:4]
	s_or_b64 s[0:1], vcc, s[0:1]
	s_orn2_b64 s[0:1], s[0:1], exec
.LBB434_2:
	s_or_b64 exec, exec, s[2:3]
	s_and_saveexec_b64 s[2:3], s[0:1]
	s_cbranch_execz .LBB434_39
; %bb.3:
	s_load_dwordx4 s[0:3], s[4:5], 0x20
	s_load_dwordx2 s[14:15], s[4:5], 0x30
	s_waitcnt lgkmcnt(0)
	s_cmp_eq_u64 s[0:1], 0
	s_cbranch_scc1 .LBB434_5
; %bb.4:
	s_ashr_i32 s7, s6, 31
	s_lshl_b64 s[6:7], s[6:7], 2
	s_add_u32 s0, s0, s6
	s_addc_u32 s1, s1, s7
	s_load_dword s0, s[0:1], 0x0
	s_waitcnt lgkmcnt(0)
	s_sub_i32 s6, s0, s10
.LBB434_5:
	s_load_dword s0, s[4:5], 0x4
	s_load_dwordx2 s[8:9], s[4:5], 0x60
	v_mul_u32_u24_e32 v13, 0xd7a, v0
	v_mov_b32_e32 v14, 19
	v_mul_lo_u16_sdwa v15, v13, v14 dst_sel:DWORD dst_unused:UNUSED_PAD src0_sel:WORD_1 src1_sel:DWORD
	s_waitcnt lgkmcnt(0)
	s_cmp_eq_u32 s0, 1
	s_cselect_b64 vcc, -1, 0
	s_cmp_lg_u32 s0, 1
	s_cselect_b64 s[12:13], -1, 0
	s_ashr_i32 s7, s6, 31
	s_lshl_b64 s[0:1], s[6:7], 2
	s_add_u32 s2, s2, s0
	s_addc_u32 s3, s3, s1
	s_load_dword s11, s[2:3], 0x0
	s_add_u32 s2, s2, 4
	s_addc_u32 s3, s3, 0
	s_add_u32 s0, s14, s0
	s_addc_u32 s1, s15, s1
	s_cmp_eq_u64 s[14:15], 0
	s_cselect_b32 s1, s3, s1
	s_cselect_b32 s0, s2, s0
	s_load_dword s7, s[0:1], 0x0
	v_mov_b32_e32 v11, 0
	v_mov_b32_e32 v9, 0
	;; [unrolled: 1-line block ×4, first 2 shown]
	s_waitcnt lgkmcnt(0)
	s_cmp_ge_i32 s11, s7
	v_sub_u16_e32 v18, v0, v15
	s_cbranch_scc1 .LBB434_10
; %bb.6:
	s_load_dwordx2 s[14:15], s[4:5], 0x48
	s_load_dwordx4 s[0:3], s[4:5], 0x38
	v_mov_b32_e32 v9, 14
	v_mul_lo_u16_sdwa v9, v13, v9 dst_sel:DWORD dst_unused:UNUSED_PAD src0_sel:WORD_1 src1_sel:DWORD
	v_mul_lo_u16_sdwa v9, v9, v14 dst_sel:DWORD dst_unused:UNUSED_PAD src0_sel:BYTE_1 src1_sel:DWORD
	s_sub_i32 s11, s11, s10
	s_sub_i32 s7, s7, s10
	v_sub_u16_sdwa v9, v13, v9 dst_sel:DWORD dst_unused:UNUSED_PAD src0_sel:WORD_1 src1_sel:DWORD
	s_mul_i32 s5, s11, 0xb48
	v_and_b32_e32 v9, 0xff, v9
	s_mul_hi_i32 s4, s11, 0xb48
	s_waitcnt lgkmcnt(0)
	s_add_u32 s2, s2, s5
	v_cndmask_b32_e32 v13, v18, v9, vcc
	s_addc_u32 s3, s3, s4
	v_lshlrev_b32_e32 v9, 3, v0
	v_mov_b32_e32 v10, s3
	v_add_co_u32_e32 v14, vcc, s2, v9
	s_movk_i32 s2, 0xb6
	v_mov_b32_e32 v11, 0
	v_addc_co_u32_e32 v15, vcc, 0, v10, vcc
	v_mul_u32_u24_sdwa v19, v0, s2 dst_sel:DWORD dst_unused:UNUSED_PAD src0_sel:WORD_0 src1_sel:DWORD
	v_mov_b32_e32 v12, 0
	s_mov_b32 s2, 0
	v_mov_b32_e32 v9, v11
	s_brev_b32 s3, 1
	v_mov_b32_e32 v10, v12
	s_branch .LBB434_8
.LBB434_7:                              ;   in Loop: Header=BB434_8 Depth=1
	s_or_b64 exec, exec, s[4:5]
	s_add_i32 s11, s11, 1
	s_cmp_lt_i32 s11, s7
	s_cbranch_scc0 .LBB434_10
.LBB434_8:                              ; =>This Inner Loop Header: Depth=1
	v_add_u32_sdwa v16, v19, s11 dst_sel:DWORD dst_unused:UNUSED_PAD src0_sel:WORD_1 src1_sel:DWORD
	v_cmp_gt_i32_e32 vcc, s7, v16
	s_and_saveexec_b64 s[4:5], vcc
	s_cbranch_execz .LBB434_7
; %bb.9:                                ;   in Loop: Header=BB434_8 Depth=1
	v_ashrrev_i32_e32 v17, 31, v16
	v_lshlrev_b64 v[16:17], 2, v[16:17]
	v_mov_b32_e32 v20, s1
	v_add_co_u32_e32 v16, vcc, s0, v16
	v_addc_co_u32_e32 v17, vcc, v20, v17, vcc
	global_load_dword v16, v[16:17], off
	v_mov_b32_e32 v20, s15
	global_load_dwordx2 v[24:25], v[14:15], off
	s_waitcnt vmcnt(1)
	v_subrev_u32_e32 v16, s10, v16
	v_mad_u64_u32 v[16:17], s[16:17], v16, 19, v[13:14]
	v_ashrrev_i32_e32 v17, 31, v16
	v_lshlrev_b64 v[16:17], 4, v[16:17]
	v_add_co_u32_e32 v16, vcc, s14, v16
	v_addc_co_u32_e32 v17, vcc, v20, v17, vcc
	global_load_dwordx4 v[20:23], v[16:17], off
	v_add_co_u32_e32 v14, vcc, 0xb48, v14
	v_addc_co_u32_e32 v15, vcc, 0, v15, vcc
	s_waitcnt vmcnt(0)
	v_fma_f64 v[9:10], v[24:25], v[20:21], v[9:10]
	v_fma_f64 v[11:12], v[20:21], 0, v[11:12]
	;; [unrolled: 1-line block ×4, first 2 shown]
	s_branch .LBB434_7
.LBB434_10:
	v_lshlrev_b32_e32 v17, 4, v0
	s_and_b64 vcc, exec, s[12:13]
	ds_write_b128 v17, v[9:12]
	s_waitcnt lgkmcnt(0)
	s_barrier
	s_cbranch_vccz .LBB434_22
; %bb.11:
	v_cmp_gt_u16_e32 vcc, 3, v18
	s_and_saveexec_b64 s[0:1], vcc
	s_cbranch_execz .LBB434_13
; %bb.12:
	ds_read_b128 v[13:16], v17 offset:256
	ds_read_b128 v[19:22], v17
	s_waitcnt lgkmcnt(0)
	v_add_f64 v[13:14], v[13:14], v[19:20]
	v_add_f64 v[15:16], v[15:16], v[21:22]
	ds_write_b128 v17, v[13:16]
.LBB434_13:
	s_or_b64 exec, exec, s[0:1]
	v_cmp_gt_u16_e32 vcc, 8, v18
	s_waitcnt lgkmcnt(0)
	s_barrier
	s_and_saveexec_b64 s[0:1], vcc
	s_cbranch_execz .LBB434_15
; %bb.14:
	ds_read_b128 v[13:16], v17 offset:128
	ds_read_b128 v[19:22], v17
	s_waitcnt lgkmcnt(0)
	v_add_f64 v[13:14], v[13:14], v[19:20]
	v_add_f64 v[15:16], v[15:16], v[21:22]
	ds_write_b128 v17, v[13:16]
.LBB434_15:
	s_or_b64 exec, exec, s[0:1]
	v_cmp_gt_u16_e32 vcc, 4, v18
	s_waitcnt lgkmcnt(0)
	s_barrier
	;; [unrolled: 14-line block ×3, first 2 shown]
	s_and_saveexec_b64 s[0:1], vcc
	s_cbranch_execz .LBB434_19
; %bb.18:
	ds_read_b128 v[13:16], v17
	ds_read_b128 v[18:21], v17 offset:32
	s_waitcnt lgkmcnt(0)
	v_add_f64 v[13:14], v[18:19], v[13:14]
	v_add_f64 v[15:16], v[20:21], v[15:16]
	ds_write_b128 v17, v[13:16]
.LBB434_19:
	s_or_b64 exec, exec, s[0:1]
	v_mov_b32_e32 v16, v12
	v_mov_b32_e32 v14, v10
	v_cmp_gt_u32_e32 vcc, 19, v0
	v_mov_b32_e32 v15, v11
	v_mov_b32_e32 v13, v9
	s_waitcnt lgkmcnt(0)
	s_barrier
	s_and_saveexec_b64 s[0:1], vcc
	s_cbranch_execz .LBB434_21
; %bb.20:
	s_movk_i32 s2, 0x120
	v_mad_u32_u24 v18, v0, s2, v17
	ds_read_b128 v[13:16], v18
	ds_read_b128 v[18:21], v18 offset:16
	s_waitcnt lgkmcnt(0)
	v_add_f64 v[13:14], v[18:19], v[13:14]
	v_add_f64 v[15:16], v[20:21], v[15:16]
.LBB434_21:
	s_or_b64 exec, exec, s[0:1]
	s_branch .LBB434_34
.LBB434_22:
                                        ; implicit-def: $vgpr15_vgpr16
                                        ; implicit-def: $vgpr13_vgpr14
	s_cbranch_execz .LBB434_34
; %bb.23:
	v_cmp_gt_u32_e32 vcc, 57, v0
	s_and_saveexec_b64 s[0:1], vcc
	s_cbranch_execz .LBB434_25
; %bb.24:
	ds_read_b128 v[13:16], v17 offset:4864
	ds_read_b128 v[18:21], v17
	s_waitcnt lgkmcnt(0)
	v_add_f64 v[13:14], v[13:14], v[18:19]
	v_add_f64 v[15:16], v[15:16], v[20:21]
	ds_write_b128 v17, v[13:16]
.LBB434_25:
	s_or_b64 exec, exec, s[0:1]
	s_movk_i32 s0, 0x98
	v_cmp_gt_u32_e32 vcc, s0, v0
	s_waitcnt lgkmcnt(0)
	s_barrier
	s_and_saveexec_b64 s[0:1], vcc
	s_cbranch_execz .LBB434_27
; %bb.26:
	ds_read_b128 v[13:16], v17 offset:2432
	ds_read_b128 v[18:21], v17
	s_waitcnt lgkmcnt(0)
	v_add_f64 v[13:14], v[13:14], v[18:19]
	v_add_f64 v[15:16], v[15:16], v[20:21]
	ds_write_b128 v17, v[13:16]
.LBB434_27:
	s_or_b64 exec, exec, s[0:1]
	s_movk_i32 s0, 0x4c
	v_cmp_gt_u32_e32 vcc, s0, v0
	s_waitcnt lgkmcnt(0)
	s_barrier
	s_and_saveexec_b64 s[0:1], vcc
	s_cbranch_execz .LBB434_29
; %bb.28:
	ds_read_b128 v[13:16], v17 offset:1216
	ds_read_b128 v[18:21], v17
	s_waitcnt lgkmcnt(0)
	v_add_f64 v[13:14], v[13:14], v[18:19]
	v_add_f64 v[15:16], v[15:16], v[20:21]
	ds_write_b128 v17, v[13:16]
.LBB434_29:
	s_or_b64 exec, exec, s[0:1]
	v_cmp_gt_u32_e32 vcc, 38, v0
	s_waitcnt lgkmcnt(0)
	s_barrier
	s_and_saveexec_b64 s[0:1], vcc
	s_cbranch_execz .LBB434_31
; %bb.30:
	ds_read_b128 v[13:16], v17 offset:608
	ds_read_b128 v[18:21], v17
	s_waitcnt lgkmcnt(0)
	v_add_f64 v[13:14], v[13:14], v[18:19]
	v_add_f64 v[15:16], v[15:16], v[20:21]
	ds_write_b128 v17, v[13:16]
.LBB434_31:
	s_or_b64 exec, exec, s[0:1]
	v_cmp_gt_u32_e32 vcc, 19, v0
	s_waitcnt lgkmcnt(0)
	s_and_saveexec_b64 s[0:1], vcc
	s_cbranch_execz .LBB434_33
; %bb.32:
	ds_read_b128 v[9:12], v17 offset:304
	ds_read_b128 v[13:16], v17
	s_waitcnt lgkmcnt(0)
	v_add_f64 v[9:10], v[9:10], v[13:14]
	v_add_f64 v[11:12], v[11:12], v[15:16]
.LBB434_33:
	s_or_b64 exec, exec, s[0:1]
	v_mov_b32_e32 v16, v12
	v_mov_b32_e32 v14, v10
	;; [unrolled: 1-line block ×4, first 2 shown]
.LBB434_34:
	v_cmp_gt_u32_e32 vcc, 19, v0
	s_and_b64 exec, exec, vcc
	s_cbranch_execz .LBB434_39
; %bb.35:
	v_mul_f64 v[9:10], v[15:16], -v[7:8]
	v_mul_f64 v[11:12], v[5:6], v[15:16]
	v_cmp_eq_f64_e32 vcc, 0, v[1:2]
	v_cmp_eq_f64_e64 s[0:1], 0, v[3:4]
	v_fma_f64 v[5:6], v[5:6], v[13:14], v[9:10]
	v_fma_f64 v[7:8], v[7:8], v[13:14], v[11:12]
	s_and_b64 s[0:1], vcc, s[0:1]
	s_and_saveexec_b64 s[2:3], s[0:1]
	s_xor_b64 s[0:1], exec, s[2:3]
	s_cbranch_execz .LBB434_37
; %bb.36:
	v_mad_u64_u32 v[0:1], s[2:3], s6, 19, v[0:1]
	v_mov_b32_e32 v1, 0
	v_mov_b32_e32 v2, s9
	v_lshlrev_b64 v[0:1], 4, v[0:1]
	v_add_co_u32_e32 v0, vcc, s8, v0
	v_addc_co_u32_e32 v1, vcc, v2, v1, vcc
	global_store_dwordx4 v[0:1], v[5:8], off
                                        ; implicit-def: $vgpr0
                                        ; implicit-def: $vgpr1_vgpr2
                                        ; implicit-def: $vgpr5_vgpr6
.LBB434_37:
	s_andn2_saveexec_b64 s[0:1], s[0:1]
	s_cbranch_execz .LBB434_39
; %bb.38:
	v_mad_u64_u32 v[9:10], s[0:1], s6, 19, v[0:1]
	v_mov_b32_e32 v10, 0
	v_mov_b32_e32 v0, s9
	v_lshlrev_b64 v[9:10], 4, v[9:10]
	v_add_co_u32_e32 v13, vcc, s8, v9
	v_addc_co_u32_e32 v14, vcc, v0, v10, vcc
	global_load_dwordx4 v[9:12], v[13:14], off
	s_waitcnt vmcnt(0)
	v_fma_f64 v[5:6], v[1:2], v[9:10], v[5:6]
	v_fma_f64 v[7:8], v[3:4], v[9:10], v[7:8]
	v_fma_f64 v[3:4], -v[3:4], v[11:12], v[5:6]
	v_fma_f64 v[5:6], v[1:2], v[11:12], v[7:8]
	global_store_dwordx4 v[13:14], v[3:6], off
.LBB434_39:
	s_endpgm
	.section	.rodata,"a",@progbits
	.p2align	6, 0x0
	.amdhsa_kernel _ZN9rocsparseL20bsrxmvn_17_32_kernelILj19E21rocsparse_complex_numIdEiidS2_S2_EEvT2_20rocsparse_direction_NS_24const_host_device_scalarIT0_EES3_PKS3_PKT1_SC_S9_PKT3_PKT4_S7_PT5_21rocsparse_index_base_b
		.amdhsa_group_segment_fixed_size 5776
		.amdhsa_private_segment_fixed_size 0
		.amdhsa_kernarg_size 112
		.amdhsa_user_sgpr_count 6
		.amdhsa_user_sgpr_private_segment_buffer 1
		.amdhsa_user_sgpr_dispatch_ptr 0
		.amdhsa_user_sgpr_queue_ptr 0
		.amdhsa_user_sgpr_kernarg_segment_ptr 1
		.amdhsa_user_sgpr_dispatch_id 0
		.amdhsa_user_sgpr_flat_scratch_init 0
		.amdhsa_user_sgpr_private_segment_size 0
		.amdhsa_uses_dynamic_stack 0
		.amdhsa_system_sgpr_private_segment_wavefront_offset 0
		.amdhsa_system_sgpr_workgroup_id_x 1
		.amdhsa_system_sgpr_workgroup_id_y 0
		.amdhsa_system_sgpr_workgroup_id_z 0
		.amdhsa_system_sgpr_workgroup_info 0
		.amdhsa_system_vgpr_workitem_id 0
		.amdhsa_next_free_vgpr 26
		.amdhsa_next_free_sgpr 61
		.amdhsa_reserve_vcc 1
		.amdhsa_reserve_flat_scratch 0
		.amdhsa_float_round_mode_32 0
		.amdhsa_float_round_mode_16_64 0
		.amdhsa_float_denorm_mode_32 3
		.amdhsa_float_denorm_mode_16_64 3
		.amdhsa_dx10_clamp 1
		.amdhsa_ieee_mode 1
		.amdhsa_fp16_overflow 0
		.amdhsa_exception_fp_ieee_invalid_op 0
		.amdhsa_exception_fp_denorm_src 0
		.amdhsa_exception_fp_ieee_div_zero 0
		.amdhsa_exception_fp_ieee_overflow 0
		.amdhsa_exception_fp_ieee_underflow 0
		.amdhsa_exception_fp_ieee_inexact 0
		.amdhsa_exception_int_div_zero 0
	.end_amdhsa_kernel
	.section	.text._ZN9rocsparseL20bsrxmvn_17_32_kernelILj19E21rocsparse_complex_numIdEiidS2_S2_EEvT2_20rocsparse_direction_NS_24const_host_device_scalarIT0_EES3_PKS3_PKT1_SC_S9_PKT3_PKT4_S7_PT5_21rocsparse_index_base_b,"axG",@progbits,_ZN9rocsparseL20bsrxmvn_17_32_kernelILj19E21rocsparse_complex_numIdEiidS2_S2_EEvT2_20rocsparse_direction_NS_24const_host_device_scalarIT0_EES3_PKS3_PKT1_SC_S9_PKT3_PKT4_S7_PT5_21rocsparse_index_base_b,comdat
.Lfunc_end434:
	.size	_ZN9rocsparseL20bsrxmvn_17_32_kernelILj19E21rocsparse_complex_numIdEiidS2_S2_EEvT2_20rocsparse_direction_NS_24const_host_device_scalarIT0_EES3_PKS3_PKT1_SC_S9_PKT3_PKT4_S7_PT5_21rocsparse_index_base_b, .Lfunc_end434-_ZN9rocsparseL20bsrxmvn_17_32_kernelILj19E21rocsparse_complex_numIdEiidS2_S2_EEvT2_20rocsparse_direction_NS_24const_host_device_scalarIT0_EES3_PKS3_PKT1_SC_S9_PKT3_PKT4_S7_PT5_21rocsparse_index_base_b
                                        ; -- End function
	.set _ZN9rocsparseL20bsrxmvn_17_32_kernelILj19E21rocsparse_complex_numIdEiidS2_S2_EEvT2_20rocsparse_direction_NS_24const_host_device_scalarIT0_EES3_PKS3_PKT1_SC_S9_PKT3_PKT4_S7_PT5_21rocsparse_index_base_b.num_vgpr, 26
	.set _ZN9rocsparseL20bsrxmvn_17_32_kernelILj19E21rocsparse_complex_numIdEiidS2_S2_EEvT2_20rocsparse_direction_NS_24const_host_device_scalarIT0_EES3_PKS3_PKT1_SC_S9_PKT3_PKT4_S7_PT5_21rocsparse_index_base_b.num_agpr, 0
	.set _ZN9rocsparseL20bsrxmvn_17_32_kernelILj19E21rocsparse_complex_numIdEiidS2_S2_EEvT2_20rocsparse_direction_NS_24const_host_device_scalarIT0_EES3_PKS3_PKT1_SC_S9_PKT3_PKT4_S7_PT5_21rocsparse_index_base_b.numbered_sgpr, 18
	.set _ZN9rocsparseL20bsrxmvn_17_32_kernelILj19E21rocsparse_complex_numIdEiidS2_S2_EEvT2_20rocsparse_direction_NS_24const_host_device_scalarIT0_EES3_PKS3_PKT1_SC_S9_PKT3_PKT4_S7_PT5_21rocsparse_index_base_b.num_named_barrier, 0
	.set _ZN9rocsparseL20bsrxmvn_17_32_kernelILj19E21rocsparse_complex_numIdEiidS2_S2_EEvT2_20rocsparse_direction_NS_24const_host_device_scalarIT0_EES3_PKS3_PKT1_SC_S9_PKT3_PKT4_S7_PT5_21rocsparse_index_base_b.private_seg_size, 0
	.set _ZN9rocsparseL20bsrxmvn_17_32_kernelILj19E21rocsparse_complex_numIdEiidS2_S2_EEvT2_20rocsparse_direction_NS_24const_host_device_scalarIT0_EES3_PKS3_PKT1_SC_S9_PKT3_PKT4_S7_PT5_21rocsparse_index_base_b.uses_vcc, 1
	.set _ZN9rocsparseL20bsrxmvn_17_32_kernelILj19E21rocsparse_complex_numIdEiidS2_S2_EEvT2_20rocsparse_direction_NS_24const_host_device_scalarIT0_EES3_PKS3_PKT1_SC_S9_PKT3_PKT4_S7_PT5_21rocsparse_index_base_b.uses_flat_scratch, 0
	.set _ZN9rocsparseL20bsrxmvn_17_32_kernelILj19E21rocsparse_complex_numIdEiidS2_S2_EEvT2_20rocsparse_direction_NS_24const_host_device_scalarIT0_EES3_PKS3_PKT1_SC_S9_PKT3_PKT4_S7_PT5_21rocsparse_index_base_b.has_dyn_sized_stack, 0
	.set _ZN9rocsparseL20bsrxmvn_17_32_kernelILj19E21rocsparse_complex_numIdEiidS2_S2_EEvT2_20rocsparse_direction_NS_24const_host_device_scalarIT0_EES3_PKS3_PKT1_SC_S9_PKT3_PKT4_S7_PT5_21rocsparse_index_base_b.has_recursion, 0
	.set _ZN9rocsparseL20bsrxmvn_17_32_kernelILj19E21rocsparse_complex_numIdEiidS2_S2_EEvT2_20rocsparse_direction_NS_24const_host_device_scalarIT0_EES3_PKS3_PKT1_SC_S9_PKT3_PKT4_S7_PT5_21rocsparse_index_base_b.has_indirect_call, 0
	.section	.AMDGPU.csdata,"",@progbits
; Kernel info:
; codeLenInByte = 1644
; TotalNumSgprs: 22
; NumVgprs: 26
; ScratchSize: 0
; MemoryBound: 0
; FloatMode: 240
; IeeeMode: 1
; LDSByteSize: 5776 bytes/workgroup (compile time only)
; SGPRBlocks: 8
; VGPRBlocks: 6
; NumSGPRsForWavesPerEU: 65
; NumVGPRsForWavesPerEU: 26
; Occupancy: 9
; WaveLimiterHint : 1
; COMPUTE_PGM_RSRC2:SCRATCH_EN: 0
; COMPUTE_PGM_RSRC2:USER_SGPR: 6
; COMPUTE_PGM_RSRC2:TRAP_HANDLER: 0
; COMPUTE_PGM_RSRC2:TGID_X_EN: 1
; COMPUTE_PGM_RSRC2:TGID_Y_EN: 0
; COMPUTE_PGM_RSRC2:TGID_Z_EN: 0
; COMPUTE_PGM_RSRC2:TIDIG_COMP_CNT: 0
	.section	.text._ZN9rocsparseL20bsrxmvn_17_32_kernelILj20E21rocsparse_complex_numIdEiidS2_S2_EEvT2_20rocsparse_direction_NS_24const_host_device_scalarIT0_EES3_PKS3_PKT1_SC_S9_PKT3_PKT4_S7_PT5_21rocsparse_index_base_b,"axG",@progbits,_ZN9rocsparseL20bsrxmvn_17_32_kernelILj20E21rocsparse_complex_numIdEiidS2_S2_EEvT2_20rocsparse_direction_NS_24const_host_device_scalarIT0_EES3_PKS3_PKT1_SC_S9_PKT3_PKT4_S7_PT5_21rocsparse_index_base_b,comdat
	.globl	_ZN9rocsparseL20bsrxmvn_17_32_kernelILj20E21rocsparse_complex_numIdEiidS2_S2_EEvT2_20rocsparse_direction_NS_24const_host_device_scalarIT0_EES3_PKS3_PKT1_SC_S9_PKT3_PKT4_S7_PT5_21rocsparse_index_base_b ; -- Begin function _ZN9rocsparseL20bsrxmvn_17_32_kernelILj20E21rocsparse_complex_numIdEiidS2_S2_EEvT2_20rocsparse_direction_NS_24const_host_device_scalarIT0_EES3_PKS3_PKT1_SC_S9_PKT3_PKT4_S7_PT5_21rocsparse_index_base_b
	.p2align	8
	.type	_ZN9rocsparseL20bsrxmvn_17_32_kernelILj20E21rocsparse_complex_numIdEiidS2_S2_EEvT2_20rocsparse_direction_NS_24const_host_device_scalarIT0_EES3_PKS3_PKT1_SC_S9_PKT3_PKT4_S7_PT5_21rocsparse_index_base_b,@function
_ZN9rocsparseL20bsrxmvn_17_32_kernelILj20E21rocsparse_complex_numIdEiidS2_S2_EEvT2_20rocsparse_direction_NS_24const_host_device_scalarIT0_EES3_PKS3_PKT1_SC_S9_PKT3_PKT4_S7_PT5_21rocsparse_index_base_b: ; @_ZN9rocsparseL20bsrxmvn_17_32_kernelILj20E21rocsparse_complex_numIdEiidS2_S2_EEvT2_20rocsparse_direction_NS_24const_host_device_scalarIT0_EES3_PKS3_PKT1_SC_S9_PKT3_PKT4_S7_PT5_21rocsparse_index_base_b
; %bb.0:
	s_load_dwordx2 s[0:1], s[4:5], 0x8
	s_load_dwordx2 s[10:11], s[4:5], 0x68
	s_add_u32 s7, s4, 8
	s_addc_u32 s8, s5, 0
	s_add_u32 s9, s4, 0x50
	s_addc_u32 s12, s5, 0
	s_waitcnt lgkmcnt(0)
	s_bitcmp1_b32 s11, 0
	s_cselect_b32 s1, s8, s1
	s_cselect_b32 s0, s7, s0
	v_mov_b32_e32 v1, s0
	v_mov_b32_e32 v2, s1
	flat_load_dwordx4 v[5:8], v[1:2]
	s_load_dwordx2 s[2:3], s[4:5], 0x50
	s_waitcnt lgkmcnt(0)
	s_cselect_b32 s0, s12, s3
	s_cselect_b32 s1, s9, s2
	v_mov_b32_e32 v1, s1
	v_mov_b32_e32 v2, s0
	flat_load_dwordx4 v[1:4], v[1:2]
	s_waitcnt vmcnt(0)
	v_cmp_eq_f64_e32 vcc, 0, v[5:6]
	v_cmp_eq_f64_e64 s[0:1], 0, v[7:8]
	s_and_b64 s[8:9], vcc, s[0:1]
	s_mov_b64 s[0:1], -1
	s_and_saveexec_b64 s[2:3], s[8:9]
	s_cbranch_execz .LBB435_2
; %bb.1:
	s_waitcnt lgkmcnt(0)
	v_cmp_neq_f64_e32 vcc, 1.0, v[1:2]
	v_cmp_neq_f64_e64 s[0:1], 0, v[3:4]
	s_or_b64 s[0:1], vcc, s[0:1]
	s_orn2_b64 s[0:1], s[0:1], exec
.LBB435_2:
	s_or_b64 exec, exec, s[2:3]
	s_and_saveexec_b64 s[2:3], s[0:1]
	s_cbranch_execz .LBB435_39
; %bb.3:
	s_load_dwordx4 s[0:3], s[4:5], 0x20
	s_load_dwordx2 s[14:15], s[4:5], 0x30
	s_waitcnt lgkmcnt(0)
	s_cmp_eq_u64 s[0:1], 0
	s_cbranch_scc1 .LBB435_5
; %bb.4:
	s_ashr_i32 s7, s6, 31
	s_lshl_b64 s[6:7], s[6:7], 2
	s_add_u32 s0, s0, s6
	s_addc_u32 s1, s1, s7
	s_load_dword s0, s[0:1], 0x0
	s_waitcnt lgkmcnt(0)
	s_sub_i32 s6, s0, s10
.LBB435_5:
	s_load_dword s0, s[4:5], 0x4
	s_load_dwordx2 s[8:9], s[4:5], 0x60
	v_mul_u32_u24_e32 v13, 0xccd, v0
	v_mov_b32_e32 v14, 20
	v_mul_lo_u16_sdwa v15, v13, v14 dst_sel:DWORD dst_unused:UNUSED_PAD src0_sel:WORD_1 src1_sel:DWORD
	s_waitcnt lgkmcnt(0)
	s_cmp_eq_u32 s0, 1
	s_cselect_b64 vcc, -1, 0
	s_cmp_lg_u32 s0, 1
	s_cselect_b64 s[12:13], -1, 0
	s_ashr_i32 s7, s6, 31
	s_lshl_b64 s[0:1], s[6:7], 2
	s_add_u32 s2, s2, s0
	s_addc_u32 s3, s3, s1
	s_load_dword s11, s[2:3], 0x0
	s_add_u32 s2, s2, 4
	s_addc_u32 s3, s3, 0
	s_add_u32 s0, s14, s0
	s_addc_u32 s1, s15, s1
	s_cmp_eq_u64 s[14:15], 0
	s_cselect_b32 s1, s3, s1
	s_cselect_b32 s0, s2, s0
	s_load_dword s7, s[0:1], 0x0
	v_mov_b32_e32 v11, 0
	v_mov_b32_e32 v9, 0
	;; [unrolled: 1-line block ×4, first 2 shown]
	s_waitcnt lgkmcnt(0)
	s_cmp_ge_i32 s11, s7
	v_sub_u16_e32 v18, v0, v15
	s_cbranch_scc1 .LBB435_10
; %bb.6:
	s_load_dwordx2 s[14:15], s[4:5], 0x48
	s_load_dwordx4 s[0:3], s[4:5], 0x38
	v_mov_b32_e32 v9, 13
	v_mul_lo_u16_sdwa v9, v13, v9 dst_sel:DWORD dst_unused:UNUSED_PAD src0_sel:WORD_1 src1_sel:DWORD
	v_mul_lo_u16_sdwa v9, v9, v14 dst_sel:DWORD dst_unused:UNUSED_PAD src0_sel:BYTE_1 src1_sel:DWORD
	s_sub_i32 s11, s11, s10
	s_sub_i32 s7, s7, s10
	v_sub_u16_sdwa v9, v13, v9 dst_sel:DWORD dst_unused:UNUSED_PAD src0_sel:WORD_1 src1_sel:DWORD
	s_mul_i32 s5, s11, 0xc80
	v_and_b32_e32 v9, 0xff, v9
	s_mul_hi_i32 s4, s11, 0xc80
	s_waitcnt lgkmcnt(0)
	s_add_u32 s2, s2, s5
	v_cndmask_b32_e32 v13, v18, v9, vcc
	s_addc_u32 s3, s3, s4
	v_lshlrev_b32_e32 v9, 3, v0
	v_mov_b32_e32 v10, s3
	v_add_co_u32_e32 v14, vcc, s2, v9
	s_movk_i32 s2, 0xa4
	v_mov_b32_e32 v11, 0
	v_addc_co_u32_e32 v15, vcc, 0, v10, vcc
	v_mul_u32_u24_sdwa v19, v0, s2 dst_sel:DWORD dst_unused:UNUSED_PAD src0_sel:WORD_0 src1_sel:DWORD
	v_mov_b32_e32 v12, 0
	s_mov_b32 s2, 0
	v_mov_b32_e32 v9, v11
	s_brev_b32 s3, 1
	v_mov_b32_e32 v10, v12
	s_branch .LBB435_8
.LBB435_7:                              ;   in Loop: Header=BB435_8 Depth=1
	s_or_b64 exec, exec, s[4:5]
	s_add_i32 s11, s11, 1
	s_cmp_lt_i32 s11, s7
	s_cbranch_scc0 .LBB435_10
.LBB435_8:                              ; =>This Inner Loop Header: Depth=1
	v_add_u32_sdwa v16, v19, s11 dst_sel:DWORD dst_unused:UNUSED_PAD src0_sel:WORD_1 src1_sel:DWORD
	v_cmp_gt_i32_e32 vcc, s7, v16
	s_and_saveexec_b64 s[4:5], vcc
	s_cbranch_execz .LBB435_7
; %bb.9:                                ;   in Loop: Header=BB435_8 Depth=1
	v_ashrrev_i32_e32 v17, 31, v16
	v_lshlrev_b64 v[16:17], 2, v[16:17]
	v_mov_b32_e32 v20, s1
	v_add_co_u32_e32 v16, vcc, s0, v16
	v_addc_co_u32_e32 v17, vcc, v20, v17, vcc
	global_load_dword v16, v[16:17], off
	v_mov_b32_e32 v20, s15
	global_load_dwordx2 v[24:25], v[14:15], off
	s_waitcnt vmcnt(1)
	v_subrev_u32_e32 v16, s10, v16
	v_mad_u64_u32 v[16:17], s[16:17], v16, 20, v[13:14]
	v_ashrrev_i32_e32 v17, 31, v16
	v_lshlrev_b64 v[16:17], 4, v[16:17]
	v_add_co_u32_e32 v16, vcc, s14, v16
	v_addc_co_u32_e32 v17, vcc, v20, v17, vcc
	global_load_dwordx4 v[20:23], v[16:17], off
	v_add_co_u32_e32 v14, vcc, 0xc80, v14
	v_addc_co_u32_e32 v15, vcc, 0, v15, vcc
	s_waitcnt vmcnt(0)
	v_fma_f64 v[9:10], v[24:25], v[20:21], v[9:10]
	v_fma_f64 v[11:12], v[20:21], 0, v[11:12]
	;; [unrolled: 1-line block ×4, first 2 shown]
	s_branch .LBB435_7
.LBB435_10:
	v_lshlrev_b32_e32 v17, 4, v0
	s_and_b64 vcc, exec, s[12:13]
	ds_write_b128 v17, v[9:12]
	s_waitcnt lgkmcnt(0)
	s_barrier
	s_cbranch_vccz .LBB435_22
; %bb.11:
	v_cmp_gt_u16_e32 vcc, 4, v18
	s_and_saveexec_b64 s[0:1], vcc
	s_cbranch_execz .LBB435_13
; %bb.12:
	ds_read_b128 v[13:16], v17 offset:256
	ds_read_b128 v[19:22], v17
	s_waitcnt lgkmcnt(0)
	v_add_f64 v[13:14], v[13:14], v[19:20]
	v_add_f64 v[15:16], v[15:16], v[21:22]
	ds_write_b128 v17, v[13:16]
.LBB435_13:
	s_or_b64 exec, exec, s[0:1]
	v_cmp_gt_u16_e64 s[0:1], 8, v18
	s_waitcnt lgkmcnt(0)
	s_barrier
	s_and_saveexec_b64 s[2:3], s[0:1]
	s_cbranch_execz .LBB435_15
; %bb.14:
	ds_read_b128 v[13:16], v17 offset:128
	ds_read_b128 v[19:22], v17
	s_waitcnt lgkmcnt(0)
	v_add_f64 v[13:14], v[13:14], v[19:20]
	v_add_f64 v[15:16], v[15:16], v[21:22]
	ds_write_b128 v17, v[13:16]
.LBB435_15:
	s_or_b64 exec, exec, s[2:3]
	s_waitcnt lgkmcnt(0)
	s_barrier
	s_and_saveexec_b64 s[0:1], vcc
	s_cbranch_execz .LBB435_17
; %bb.16:
	ds_read_b128 v[13:16], v17 offset:64
	ds_read_b128 v[19:22], v17
	s_waitcnt lgkmcnt(0)
	v_add_f64 v[13:14], v[13:14], v[19:20]
	v_add_f64 v[15:16], v[15:16], v[21:22]
	ds_write_b128 v17, v[13:16]
.LBB435_17:
	s_or_b64 exec, exec, s[0:1]
	v_cmp_gt_u16_e32 vcc, 2, v18
	s_waitcnt lgkmcnt(0)
	s_barrier
	s_and_saveexec_b64 s[0:1], vcc
	s_cbranch_execz .LBB435_19
; %bb.18:
	ds_read_b128 v[13:16], v17
	ds_read_b128 v[18:21], v17 offset:32
	s_waitcnt lgkmcnt(0)
	v_add_f64 v[13:14], v[18:19], v[13:14]
	v_add_f64 v[15:16], v[20:21], v[15:16]
	ds_write_b128 v17, v[13:16]
.LBB435_19:
	s_or_b64 exec, exec, s[0:1]
	v_mov_b32_e32 v16, v12
	v_mov_b32_e32 v14, v10
	v_cmp_gt_u32_e32 vcc, 20, v0
	v_mov_b32_e32 v15, v11
	v_mov_b32_e32 v13, v9
	s_waitcnt lgkmcnt(0)
	s_barrier
	s_and_saveexec_b64 s[0:1], vcc
	s_cbranch_execz .LBB435_21
; %bb.20:
	s_movk_i32 s2, 0x130
	v_mad_u32_u24 v18, v0, s2, v17
	ds_read_b128 v[13:16], v18
	ds_read_b128 v[18:21], v18 offset:16
	s_waitcnt lgkmcnt(0)
	v_add_f64 v[13:14], v[18:19], v[13:14]
	v_add_f64 v[15:16], v[20:21], v[15:16]
.LBB435_21:
	s_or_b64 exec, exec, s[0:1]
	s_branch .LBB435_34
.LBB435_22:
                                        ; implicit-def: $vgpr15_vgpr16
                                        ; implicit-def: $vgpr13_vgpr14
	s_cbranch_execz .LBB435_34
; %bb.23:
	s_movk_i32 s0, 0x50
	v_cmp_gt_u32_e32 vcc, s0, v0
	s_and_saveexec_b64 s[0:1], vcc
	s_cbranch_execz .LBB435_25
; %bb.24:
	ds_read_b128 v[13:16], v17 offset:5120
	ds_read_b128 v[18:21], v17
	s_waitcnt lgkmcnt(0)
	v_add_f64 v[13:14], v[13:14], v[18:19]
	v_add_f64 v[15:16], v[15:16], v[20:21]
	ds_write_b128 v17, v[13:16]
.LBB435_25:
	s_or_b64 exec, exec, s[0:1]
	s_movk_i32 s0, 0xa0
	v_cmp_gt_u32_e64 s[0:1], s0, v0
	s_waitcnt lgkmcnt(0)
	s_barrier
	s_and_saveexec_b64 s[2:3], s[0:1]
	s_cbranch_execz .LBB435_27
; %bb.26:
	ds_read_b128 v[13:16], v17 offset:2560
	ds_read_b128 v[18:21], v17
	s_waitcnt lgkmcnt(0)
	v_add_f64 v[13:14], v[13:14], v[18:19]
	v_add_f64 v[15:16], v[15:16], v[20:21]
	ds_write_b128 v17, v[13:16]
.LBB435_27:
	s_or_b64 exec, exec, s[2:3]
	s_waitcnt lgkmcnt(0)
	s_barrier
	s_and_saveexec_b64 s[0:1], vcc
	s_cbranch_execz .LBB435_29
; %bb.28:
	ds_read_b128 v[13:16], v17 offset:1280
	ds_read_b128 v[18:21], v17
	s_waitcnt lgkmcnt(0)
	v_add_f64 v[13:14], v[13:14], v[18:19]
	v_add_f64 v[15:16], v[15:16], v[20:21]
	ds_write_b128 v17, v[13:16]
.LBB435_29:
	s_or_b64 exec, exec, s[0:1]
	v_cmp_gt_u32_e32 vcc, 40, v0
	s_waitcnt lgkmcnt(0)
	s_barrier
	s_and_saveexec_b64 s[0:1], vcc
	s_cbranch_execz .LBB435_31
; %bb.30:
	ds_read_b128 v[13:16], v17 offset:640
	ds_read_b128 v[18:21], v17
	s_waitcnt lgkmcnt(0)
	v_add_f64 v[13:14], v[13:14], v[18:19]
	v_add_f64 v[15:16], v[15:16], v[20:21]
	ds_write_b128 v17, v[13:16]
.LBB435_31:
	s_or_b64 exec, exec, s[0:1]
	v_cmp_gt_u32_e32 vcc, 20, v0
	s_waitcnt lgkmcnt(0)
	s_and_saveexec_b64 s[0:1], vcc
	s_cbranch_execz .LBB435_33
; %bb.32:
	ds_read_b128 v[9:12], v17 offset:320
	ds_read_b128 v[13:16], v17
	s_waitcnt lgkmcnt(0)
	v_add_f64 v[9:10], v[9:10], v[13:14]
	v_add_f64 v[11:12], v[11:12], v[15:16]
.LBB435_33:
	s_or_b64 exec, exec, s[0:1]
	v_mov_b32_e32 v16, v12
	v_mov_b32_e32 v14, v10
	;; [unrolled: 1-line block ×4, first 2 shown]
.LBB435_34:
	v_cmp_gt_u32_e32 vcc, 20, v0
	s_and_b64 exec, exec, vcc
	s_cbranch_execz .LBB435_39
; %bb.35:
	v_mul_f64 v[9:10], v[15:16], -v[7:8]
	v_mul_f64 v[11:12], v[5:6], v[15:16]
	v_cmp_eq_f64_e32 vcc, 0, v[1:2]
	v_cmp_eq_f64_e64 s[0:1], 0, v[3:4]
	v_fma_f64 v[5:6], v[5:6], v[13:14], v[9:10]
	v_fma_f64 v[7:8], v[7:8], v[13:14], v[11:12]
	s_and_b64 s[0:1], vcc, s[0:1]
	s_and_saveexec_b64 s[2:3], s[0:1]
	s_xor_b64 s[0:1], exec, s[2:3]
	s_cbranch_execz .LBB435_37
; %bb.36:
	v_mad_u64_u32 v[0:1], s[2:3], s6, 20, v[0:1]
	v_mov_b32_e32 v1, 0
	v_mov_b32_e32 v2, s9
	v_lshlrev_b64 v[0:1], 4, v[0:1]
	v_add_co_u32_e32 v0, vcc, s8, v0
	v_addc_co_u32_e32 v1, vcc, v2, v1, vcc
	global_store_dwordx4 v[0:1], v[5:8], off
                                        ; implicit-def: $vgpr0
                                        ; implicit-def: $vgpr1_vgpr2
                                        ; implicit-def: $vgpr5_vgpr6
.LBB435_37:
	s_andn2_saveexec_b64 s[0:1], s[0:1]
	s_cbranch_execz .LBB435_39
; %bb.38:
	v_mad_u64_u32 v[9:10], s[0:1], s6, 20, v[0:1]
	v_mov_b32_e32 v10, 0
	v_mov_b32_e32 v0, s9
	v_lshlrev_b64 v[9:10], 4, v[9:10]
	v_add_co_u32_e32 v13, vcc, s8, v9
	v_addc_co_u32_e32 v14, vcc, v0, v10, vcc
	global_load_dwordx4 v[9:12], v[13:14], off
	s_waitcnt vmcnt(0)
	v_fma_f64 v[5:6], v[1:2], v[9:10], v[5:6]
	v_fma_f64 v[7:8], v[3:4], v[9:10], v[7:8]
	v_fma_f64 v[3:4], -v[3:4], v[11:12], v[5:6]
	v_fma_f64 v[5:6], v[1:2], v[11:12], v[7:8]
	global_store_dwordx4 v[13:14], v[3:6], off
.LBB435_39:
	s_endpgm
	.section	.rodata,"a",@progbits
	.p2align	6, 0x0
	.amdhsa_kernel _ZN9rocsparseL20bsrxmvn_17_32_kernelILj20E21rocsparse_complex_numIdEiidS2_S2_EEvT2_20rocsparse_direction_NS_24const_host_device_scalarIT0_EES3_PKS3_PKT1_SC_S9_PKT3_PKT4_S7_PT5_21rocsparse_index_base_b
		.amdhsa_group_segment_fixed_size 6400
		.amdhsa_private_segment_fixed_size 0
		.amdhsa_kernarg_size 112
		.amdhsa_user_sgpr_count 6
		.amdhsa_user_sgpr_private_segment_buffer 1
		.amdhsa_user_sgpr_dispatch_ptr 0
		.amdhsa_user_sgpr_queue_ptr 0
		.amdhsa_user_sgpr_kernarg_segment_ptr 1
		.amdhsa_user_sgpr_dispatch_id 0
		.amdhsa_user_sgpr_flat_scratch_init 0
		.amdhsa_user_sgpr_private_segment_size 0
		.amdhsa_uses_dynamic_stack 0
		.amdhsa_system_sgpr_private_segment_wavefront_offset 0
		.amdhsa_system_sgpr_workgroup_id_x 1
		.amdhsa_system_sgpr_workgroup_id_y 0
		.amdhsa_system_sgpr_workgroup_id_z 0
		.amdhsa_system_sgpr_workgroup_info 0
		.amdhsa_system_vgpr_workitem_id 0
		.amdhsa_next_free_vgpr 26
		.amdhsa_next_free_sgpr 61
		.amdhsa_reserve_vcc 1
		.amdhsa_reserve_flat_scratch 0
		.amdhsa_float_round_mode_32 0
		.amdhsa_float_round_mode_16_64 0
		.amdhsa_float_denorm_mode_32 3
		.amdhsa_float_denorm_mode_16_64 3
		.amdhsa_dx10_clamp 1
		.amdhsa_ieee_mode 1
		.amdhsa_fp16_overflow 0
		.amdhsa_exception_fp_ieee_invalid_op 0
		.amdhsa_exception_fp_denorm_src 0
		.amdhsa_exception_fp_ieee_div_zero 0
		.amdhsa_exception_fp_ieee_overflow 0
		.amdhsa_exception_fp_ieee_underflow 0
		.amdhsa_exception_fp_ieee_inexact 0
		.amdhsa_exception_int_div_zero 0
	.end_amdhsa_kernel
	.section	.text._ZN9rocsparseL20bsrxmvn_17_32_kernelILj20E21rocsparse_complex_numIdEiidS2_S2_EEvT2_20rocsparse_direction_NS_24const_host_device_scalarIT0_EES3_PKS3_PKT1_SC_S9_PKT3_PKT4_S7_PT5_21rocsparse_index_base_b,"axG",@progbits,_ZN9rocsparseL20bsrxmvn_17_32_kernelILj20E21rocsparse_complex_numIdEiidS2_S2_EEvT2_20rocsparse_direction_NS_24const_host_device_scalarIT0_EES3_PKS3_PKT1_SC_S9_PKT3_PKT4_S7_PT5_21rocsparse_index_base_b,comdat
.Lfunc_end435:
	.size	_ZN9rocsparseL20bsrxmvn_17_32_kernelILj20E21rocsparse_complex_numIdEiidS2_S2_EEvT2_20rocsparse_direction_NS_24const_host_device_scalarIT0_EES3_PKS3_PKT1_SC_S9_PKT3_PKT4_S7_PT5_21rocsparse_index_base_b, .Lfunc_end435-_ZN9rocsparseL20bsrxmvn_17_32_kernelILj20E21rocsparse_complex_numIdEiidS2_S2_EEvT2_20rocsparse_direction_NS_24const_host_device_scalarIT0_EES3_PKS3_PKT1_SC_S9_PKT3_PKT4_S7_PT5_21rocsparse_index_base_b
                                        ; -- End function
	.set _ZN9rocsparseL20bsrxmvn_17_32_kernelILj20E21rocsparse_complex_numIdEiidS2_S2_EEvT2_20rocsparse_direction_NS_24const_host_device_scalarIT0_EES3_PKS3_PKT1_SC_S9_PKT3_PKT4_S7_PT5_21rocsparse_index_base_b.num_vgpr, 26
	.set _ZN9rocsparseL20bsrxmvn_17_32_kernelILj20E21rocsparse_complex_numIdEiidS2_S2_EEvT2_20rocsparse_direction_NS_24const_host_device_scalarIT0_EES3_PKS3_PKT1_SC_S9_PKT3_PKT4_S7_PT5_21rocsparse_index_base_b.num_agpr, 0
	.set _ZN9rocsparseL20bsrxmvn_17_32_kernelILj20E21rocsparse_complex_numIdEiidS2_S2_EEvT2_20rocsparse_direction_NS_24const_host_device_scalarIT0_EES3_PKS3_PKT1_SC_S9_PKT3_PKT4_S7_PT5_21rocsparse_index_base_b.numbered_sgpr, 18
	.set _ZN9rocsparseL20bsrxmvn_17_32_kernelILj20E21rocsparse_complex_numIdEiidS2_S2_EEvT2_20rocsparse_direction_NS_24const_host_device_scalarIT0_EES3_PKS3_PKT1_SC_S9_PKT3_PKT4_S7_PT5_21rocsparse_index_base_b.num_named_barrier, 0
	.set _ZN9rocsparseL20bsrxmvn_17_32_kernelILj20E21rocsparse_complex_numIdEiidS2_S2_EEvT2_20rocsparse_direction_NS_24const_host_device_scalarIT0_EES3_PKS3_PKT1_SC_S9_PKT3_PKT4_S7_PT5_21rocsparse_index_base_b.private_seg_size, 0
	.set _ZN9rocsparseL20bsrxmvn_17_32_kernelILj20E21rocsparse_complex_numIdEiidS2_S2_EEvT2_20rocsparse_direction_NS_24const_host_device_scalarIT0_EES3_PKS3_PKT1_SC_S9_PKT3_PKT4_S7_PT5_21rocsparse_index_base_b.uses_vcc, 1
	.set _ZN9rocsparseL20bsrxmvn_17_32_kernelILj20E21rocsparse_complex_numIdEiidS2_S2_EEvT2_20rocsparse_direction_NS_24const_host_device_scalarIT0_EES3_PKS3_PKT1_SC_S9_PKT3_PKT4_S7_PT5_21rocsparse_index_base_b.uses_flat_scratch, 0
	.set _ZN9rocsparseL20bsrxmvn_17_32_kernelILj20E21rocsparse_complex_numIdEiidS2_S2_EEvT2_20rocsparse_direction_NS_24const_host_device_scalarIT0_EES3_PKS3_PKT1_SC_S9_PKT3_PKT4_S7_PT5_21rocsparse_index_base_b.has_dyn_sized_stack, 0
	.set _ZN9rocsparseL20bsrxmvn_17_32_kernelILj20E21rocsparse_complex_numIdEiidS2_S2_EEvT2_20rocsparse_direction_NS_24const_host_device_scalarIT0_EES3_PKS3_PKT1_SC_S9_PKT3_PKT4_S7_PT5_21rocsparse_index_base_b.has_recursion, 0
	.set _ZN9rocsparseL20bsrxmvn_17_32_kernelILj20E21rocsparse_complex_numIdEiidS2_S2_EEvT2_20rocsparse_direction_NS_24const_host_device_scalarIT0_EES3_PKS3_PKT1_SC_S9_PKT3_PKT4_S7_PT5_21rocsparse_index_base_b.has_indirect_call, 0
	.section	.AMDGPU.csdata,"",@progbits
; Kernel info:
; codeLenInByte = 1644
; TotalNumSgprs: 22
; NumVgprs: 26
; ScratchSize: 0
; MemoryBound: 0
; FloatMode: 240
; IeeeMode: 1
; LDSByteSize: 6400 bytes/workgroup (compile time only)
; SGPRBlocks: 8
; VGPRBlocks: 6
; NumSGPRsForWavesPerEU: 65
; NumVGPRsForWavesPerEU: 26
; Occupancy: 9
; WaveLimiterHint : 1
; COMPUTE_PGM_RSRC2:SCRATCH_EN: 0
; COMPUTE_PGM_RSRC2:USER_SGPR: 6
; COMPUTE_PGM_RSRC2:TRAP_HANDLER: 0
; COMPUTE_PGM_RSRC2:TGID_X_EN: 1
; COMPUTE_PGM_RSRC2:TGID_Y_EN: 0
; COMPUTE_PGM_RSRC2:TGID_Z_EN: 0
; COMPUTE_PGM_RSRC2:TIDIG_COMP_CNT: 0
	.section	.text._ZN9rocsparseL20bsrxmvn_17_32_kernelILj21E21rocsparse_complex_numIdEiidS2_S2_EEvT2_20rocsparse_direction_NS_24const_host_device_scalarIT0_EES3_PKS3_PKT1_SC_S9_PKT3_PKT4_S7_PT5_21rocsparse_index_base_b,"axG",@progbits,_ZN9rocsparseL20bsrxmvn_17_32_kernelILj21E21rocsparse_complex_numIdEiidS2_S2_EEvT2_20rocsparse_direction_NS_24const_host_device_scalarIT0_EES3_PKS3_PKT1_SC_S9_PKT3_PKT4_S7_PT5_21rocsparse_index_base_b,comdat
	.globl	_ZN9rocsparseL20bsrxmvn_17_32_kernelILj21E21rocsparse_complex_numIdEiidS2_S2_EEvT2_20rocsparse_direction_NS_24const_host_device_scalarIT0_EES3_PKS3_PKT1_SC_S9_PKT3_PKT4_S7_PT5_21rocsparse_index_base_b ; -- Begin function _ZN9rocsparseL20bsrxmvn_17_32_kernelILj21E21rocsparse_complex_numIdEiidS2_S2_EEvT2_20rocsparse_direction_NS_24const_host_device_scalarIT0_EES3_PKS3_PKT1_SC_S9_PKT3_PKT4_S7_PT5_21rocsparse_index_base_b
	.p2align	8
	.type	_ZN9rocsparseL20bsrxmvn_17_32_kernelILj21E21rocsparse_complex_numIdEiidS2_S2_EEvT2_20rocsparse_direction_NS_24const_host_device_scalarIT0_EES3_PKS3_PKT1_SC_S9_PKT3_PKT4_S7_PT5_21rocsparse_index_base_b,@function
_ZN9rocsparseL20bsrxmvn_17_32_kernelILj21E21rocsparse_complex_numIdEiidS2_S2_EEvT2_20rocsparse_direction_NS_24const_host_device_scalarIT0_EES3_PKS3_PKT1_SC_S9_PKT3_PKT4_S7_PT5_21rocsparse_index_base_b: ; @_ZN9rocsparseL20bsrxmvn_17_32_kernelILj21E21rocsparse_complex_numIdEiidS2_S2_EEvT2_20rocsparse_direction_NS_24const_host_device_scalarIT0_EES3_PKS3_PKT1_SC_S9_PKT3_PKT4_S7_PT5_21rocsparse_index_base_b
; %bb.0:
	s_load_dwordx2 s[0:1], s[4:5], 0x8
	s_load_dwordx2 s[10:11], s[4:5], 0x68
	s_add_u32 s7, s4, 8
	s_addc_u32 s8, s5, 0
	s_add_u32 s9, s4, 0x50
	s_addc_u32 s12, s5, 0
	s_waitcnt lgkmcnt(0)
	s_bitcmp1_b32 s11, 0
	s_cselect_b32 s1, s8, s1
	s_cselect_b32 s0, s7, s0
	v_mov_b32_e32 v1, s0
	v_mov_b32_e32 v2, s1
	flat_load_dwordx4 v[5:8], v[1:2]
	s_load_dwordx2 s[2:3], s[4:5], 0x50
	s_waitcnt lgkmcnt(0)
	s_cselect_b32 s0, s12, s3
	s_cselect_b32 s1, s9, s2
	v_mov_b32_e32 v1, s1
	v_mov_b32_e32 v2, s0
	flat_load_dwordx4 v[1:4], v[1:2]
	s_waitcnt vmcnt(0)
	v_cmp_eq_f64_e32 vcc, 0, v[5:6]
	v_cmp_eq_f64_e64 s[0:1], 0, v[7:8]
	s_and_b64 s[8:9], vcc, s[0:1]
	s_mov_b64 s[0:1], -1
	s_and_saveexec_b64 s[2:3], s[8:9]
	s_cbranch_execz .LBB436_2
; %bb.1:
	s_waitcnt lgkmcnt(0)
	v_cmp_neq_f64_e32 vcc, 1.0, v[1:2]
	v_cmp_neq_f64_e64 s[0:1], 0, v[3:4]
	s_or_b64 s[0:1], vcc, s[0:1]
	s_orn2_b64 s[0:1], s[0:1], exec
.LBB436_2:
	s_or_b64 exec, exec, s[2:3]
	s_and_saveexec_b64 s[2:3], s[0:1]
	s_cbranch_execz .LBB436_39
; %bb.3:
	s_load_dwordx4 s[0:3], s[4:5], 0x20
	s_load_dwordx2 s[14:15], s[4:5], 0x30
	s_waitcnt lgkmcnt(0)
	s_cmp_eq_u64 s[0:1], 0
	s_cbranch_scc1 .LBB436_5
; %bb.4:
	s_ashr_i32 s7, s6, 31
	s_lshl_b64 s[6:7], s[6:7], 2
	s_add_u32 s0, s0, s6
	s_addc_u32 s1, s1, s7
	s_load_dword s0, s[0:1], 0x0
	s_waitcnt lgkmcnt(0)
	s_sub_i32 s6, s0, s10
.LBB436_5:
	s_load_dword s0, s[4:5], 0x4
	s_load_dwordx2 s[8:9], s[4:5], 0x60
	v_mul_u32_u24_e32 v13, 0xc31, v0
	v_mov_b32_e32 v9, 21
	v_mul_lo_u16_sdwa v14, v13, v9 dst_sel:DWORD dst_unused:UNUSED_PAD src0_sel:WORD_1 src1_sel:DWORD
	s_waitcnt lgkmcnt(0)
	s_cmp_eq_u32 s0, 1
	s_cselect_b64 vcc, -1, 0
	s_cmp_lg_u32 s0, 1
	s_cselect_b64 s[12:13], -1, 0
	s_ashr_i32 s7, s6, 31
	s_lshl_b64 s[0:1], s[6:7], 2
	s_add_u32 s2, s2, s0
	s_addc_u32 s3, s3, s1
	s_load_dword s11, s[2:3], 0x0
	s_add_u32 s2, s2, 4
	s_addc_u32 s3, s3, 0
	s_add_u32 s0, s14, s0
	s_addc_u32 s1, s15, s1
	s_cmp_eq_u64 s[14:15], 0
	s_cselect_b32 s1, s3, s1
	s_cselect_b32 s0, s2, s0
	s_load_dword s7, s[0:1], 0x0
	v_mov_b32_e32 v11, 0
	v_mov_b32_e32 v9, 0
	;; [unrolled: 1-line block ×4, first 2 shown]
	s_waitcnt lgkmcnt(0)
	s_cmp_ge_i32 s11, s7
	v_sub_u16_e32 v18, v0, v14
	s_cbranch_scc1 .LBB436_10
; %bb.6:
	v_mov_b32_e32 v9, 25
	s_load_dwordx2 s[14:15], s[4:5], 0x48
	s_load_dwordx4 s[0:3], s[4:5], 0x38
	v_mul_lo_u16_sdwa v9, v13, v9 dst_sel:DWORD dst_unused:UNUSED_PAD src0_sel:WORD_1 src1_sel:DWORD
	v_lshrrev_b16_e32 v9, 9, v9
	v_mul_lo_u16_e32 v9, 21, v9
	v_sub_u16_sdwa v9, v13, v9 dst_sel:DWORD dst_unused:UNUSED_PAD src0_sel:WORD_1 src1_sel:DWORD
	s_sub_i32 s11, s11, s10
	s_sub_i32 s7, s7, s10
	v_and_b32_e32 v9, 0xff, v9
	s_mul_i32 s5, s11, 0xdc8
	v_cndmask_b32_e32 v13, v18, v9, vcc
	s_mul_hi_i32 s4, s11, 0xdc8
	s_waitcnt lgkmcnt(0)
	s_add_u32 s2, s2, s5
	v_lshlrev_b32_e32 v9, 3, v0
	s_addc_u32 s3, s3, s4
	v_add_co_u32_e32 v14, vcc, s2, v9
	s_movk_i32 s2, 0x253
	v_mov_b32_e32 v10, s3
	v_mul_u32_u24_sdwa v9, v0, s2 dst_sel:DWORD dst_unused:UNUSED_PAD src0_sel:WORD_0 src1_sel:DWORD
	v_mov_b32_e32 v11, 0
	v_addc_co_u32_e32 v15, vcc, 0, v10, vcc
	v_lshrrev_b32_e32 v19, 18, v9
	v_mov_b32_e32 v12, 0
	s_mov_b32 s2, 0
	v_mov_b32_e32 v9, v11
	s_brev_b32 s3, 1
	v_mov_b32_e32 v10, v12
	s_branch .LBB436_8
.LBB436_7:                              ;   in Loop: Header=BB436_8 Depth=1
	s_or_b64 exec, exec, s[4:5]
	s_add_i32 s11, s11, 1
	s_cmp_lt_i32 s11, s7
	s_cbranch_scc0 .LBB436_10
.LBB436_8:                              ; =>This Inner Loop Header: Depth=1
	v_add_u32_e32 v16, s11, v19
	v_cmp_gt_i32_e32 vcc, s7, v16
	s_and_saveexec_b64 s[4:5], vcc
	s_cbranch_execz .LBB436_7
; %bb.9:                                ;   in Loop: Header=BB436_8 Depth=1
	v_ashrrev_i32_e32 v17, 31, v16
	v_lshlrev_b64 v[16:17], 2, v[16:17]
	v_mov_b32_e32 v20, s1
	v_add_co_u32_e32 v16, vcc, s0, v16
	v_addc_co_u32_e32 v17, vcc, v20, v17, vcc
	global_load_dword v16, v[16:17], off
	v_mov_b32_e32 v20, s15
	global_load_dwordx2 v[24:25], v[14:15], off
	s_waitcnt vmcnt(1)
	v_subrev_u32_e32 v16, s10, v16
	v_mad_u64_u32 v[16:17], s[16:17], v16, 21, v[13:14]
	v_ashrrev_i32_e32 v17, 31, v16
	v_lshlrev_b64 v[16:17], 4, v[16:17]
	v_add_co_u32_e32 v16, vcc, s14, v16
	v_addc_co_u32_e32 v17, vcc, v20, v17, vcc
	global_load_dwordx4 v[20:23], v[16:17], off
	v_add_co_u32_e32 v14, vcc, 0xdc8, v14
	v_addc_co_u32_e32 v15, vcc, 0, v15, vcc
	s_waitcnt vmcnt(0)
	v_fma_f64 v[9:10], v[24:25], v[20:21], v[9:10]
	v_fma_f64 v[11:12], v[20:21], 0, v[11:12]
	;; [unrolled: 1-line block ×4, first 2 shown]
	s_branch .LBB436_7
.LBB436_10:
	v_lshlrev_b32_e32 v17, 4, v0
	s_and_b64 vcc, exec, s[12:13]
	ds_write_b128 v17, v[9:12]
	s_waitcnt lgkmcnt(0)
	s_barrier
	s_cbranch_vccz .LBB436_22
; %bb.11:
	v_cmp_gt_u16_e32 vcc, 5, v18
	s_and_saveexec_b64 s[0:1], vcc
	s_cbranch_execz .LBB436_13
; %bb.12:
	ds_read_b128 v[13:16], v17 offset:256
	ds_read_b128 v[19:22], v17
	s_waitcnt lgkmcnt(0)
	v_add_f64 v[13:14], v[13:14], v[19:20]
	v_add_f64 v[15:16], v[15:16], v[21:22]
	ds_write_b128 v17, v[13:16]
.LBB436_13:
	s_or_b64 exec, exec, s[0:1]
	v_cmp_gt_u16_e32 vcc, 8, v18
	s_waitcnt lgkmcnt(0)
	s_barrier
	s_and_saveexec_b64 s[0:1], vcc
	s_cbranch_execz .LBB436_15
; %bb.14:
	ds_read_b128 v[13:16], v17 offset:128
	ds_read_b128 v[19:22], v17
	s_waitcnt lgkmcnt(0)
	v_add_f64 v[13:14], v[13:14], v[19:20]
	v_add_f64 v[15:16], v[15:16], v[21:22]
	ds_write_b128 v17, v[13:16]
.LBB436_15:
	s_or_b64 exec, exec, s[0:1]
	v_cmp_gt_u16_e32 vcc, 4, v18
	s_waitcnt lgkmcnt(0)
	s_barrier
	s_and_saveexec_b64 s[0:1], vcc
	s_cbranch_execz .LBB436_17
; %bb.16:
	ds_read_b128 v[13:16], v17 offset:64
	ds_read_b128 v[19:22], v17
	s_waitcnt lgkmcnt(0)
	v_add_f64 v[13:14], v[13:14], v[19:20]
	v_add_f64 v[15:16], v[15:16], v[21:22]
	ds_write_b128 v17, v[13:16]
.LBB436_17:
	s_or_b64 exec, exec, s[0:1]
	v_cmp_gt_u16_e32 vcc, 2, v18
	s_waitcnt lgkmcnt(0)
	s_barrier
	s_and_saveexec_b64 s[0:1], vcc
	s_cbranch_execz .LBB436_19
; %bb.18:
	ds_read_b128 v[13:16], v17
	ds_read_b128 v[18:21], v17 offset:32
	s_waitcnt lgkmcnt(0)
	v_add_f64 v[13:14], v[18:19], v[13:14]
	v_add_f64 v[15:16], v[20:21], v[15:16]
	ds_write_b128 v17, v[13:16]
.LBB436_19:
	s_or_b64 exec, exec, s[0:1]
	v_mov_b32_e32 v16, v12
	v_mov_b32_e32 v14, v10
	v_cmp_gt_u32_e32 vcc, 21, v0
	v_mov_b32_e32 v15, v11
	v_mov_b32_e32 v13, v9
	s_waitcnt lgkmcnt(0)
	s_barrier
	s_and_saveexec_b64 s[0:1], vcc
	s_cbranch_execz .LBB436_21
; %bb.20:
	s_movk_i32 s2, 0x140
	v_mad_u32_u24 v18, v0, s2, v17
	ds_read_b128 v[13:16], v18
	ds_read_b128 v[18:21], v18 offset:16
	s_waitcnt lgkmcnt(0)
	v_add_f64 v[13:14], v[18:19], v[13:14]
	v_add_f64 v[15:16], v[20:21], v[15:16]
.LBB436_21:
	s_or_b64 exec, exec, s[0:1]
	s_branch .LBB436_34
.LBB436_22:
                                        ; implicit-def: $vgpr15_vgpr16
                                        ; implicit-def: $vgpr13_vgpr14
	s_cbranch_execz .LBB436_34
; %bb.23:
	s_movk_i32 s0, 0x69
	v_cmp_gt_u32_e32 vcc, s0, v0
	s_and_saveexec_b64 s[0:1], vcc
	s_cbranch_execz .LBB436_25
; %bb.24:
	ds_read_b128 v[13:16], v17 offset:5376
	ds_read_b128 v[18:21], v17
	s_waitcnt lgkmcnt(0)
	v_add_f64 v[13:14], v[13:14], v[18:19]
	v_add_f64 v[15:16], v[15:16], v[20:21]
	ds_write_b128 v17, v[13:16]
.LBB436_25:
	s_or_b64 exec, exec, s[0:1]
	s_movk_i32 s0, 0xa8
	v_cmp_gt_u32_e32 vcc, s0, v0
	s_waitcnt lgkmcnt(0)
	s_barrier
	s_and_saveexec_b64 s[0:1], vcc
	s_cbranch_execz .LBB436_27
; %bb.26:
	ds_read_b128 v[13:16], v17 offset:2688
	ds_read_b128 v[18:21], v17
	s_waitcnt lgkmcnt(0)
	v_add_f64 v[13:14], v[13:14], v[18:19]
	v_add_f64 v[15:16], v[15:16], v[20:21]
	ds_write_b128 v17, v[13:16]
.LBB436_27:
	s_or_b64 exec, exec, s[0:1]
	s_movk_i32 s0, 0x54
	v_cmp_gt_u32_e32 vcc, s0, v0
	s_waitcnt lgkmcnt(0)
	s_barrier
	s_and_saveexec_b64 s[0:1], vcc
	s_cbranch_execz .LBB436_29
; %bb.28:
	ds_read_b128 v[13:16], v17 offset:1344
	ds_read_b128 v[18:21], v17
	s_waitcnt lgkmcnt(0)
	v_add_f64 v[13:14], v[13:14], v[18:19]
	v_add_f64 v[15:16], v[15:16], v[20:21]
	ds_write_b128 v17, v[13:16]
.LBB436_29:
	s_or_b64 exec, exec, s[0:1]
	v_cmp_gt_u32_e32 vcc, 42, v0
	s_waitcnt lgkmcnt(0)
	s_barrier
	s_and_saveexec_b64 s[0:1], vcc
	s_cbranch_execz .LBB436_31
; %bb.30:
	ds_read_b128 v[13:16], v17 offset:672
	ds_read_b128 v[18:21], v17
	s_waitcnt lgkmcnt(0)
	v_add_f64 v[13:14], v[13:14], v[18:19]
	v_add_f64 v[15:16], v[15:16], v[20:21]
	ds_write_b128 v17, v[13:16]
.LBB436_31:
	s_or_b64 exec, exec, s[0:1]
	v_cmp_gt_u32_e32 vcc, 21, v0
	s_waitcnt lgkmcnt(0)
	s_and_saveexec_b64 s[0:1], vcc
	s_cbranch_execz .LBB436_33
; %bb.32:
	ds_read_b128 v[9:12], v17 offset:336
	ds_read_b128 v[13:16], v17
	s_waitcnt lgkmcnt(0)
	v_add_f64 v[9:10], v[9:10], v[13:14]
	v_add_f64 v[11:12], v[11:12], v[15:16]
.LBB436_33:
	s_or_b64 exec, exec, s[0:1]
	v_mov_b32_e32 v16, v12
	v_mov_b32_e32 v14, v10
	;; [unrolled: 1-line block ×4, first 2 shown]
.LBB436_34:
	v_cmp_gt_u32_e32 vcc, 21, v0
	s_and_b64 exec, exec, vcc
	s_cbranch_execz .LBB436_39
; %bb.35:
	v_mul_f64 v[9:10], v[15:16], -v[7:8]
	v_mul_f64 v[11:12], v[5:6], v[15:16]
	v_cmp_eq_f64_e32 vcc, 0, v[1:2]
	v_cmp_eq_f64_e64 s[0:1], 0, v[3:4]
	v_fma_f64 v[5:6], v[5:6], v[13:14], v[9:10]
	v_fma_f64 v[7:8], v[7:8], v[13:14], v[11:12]
	s_and_b64 s[0:1], vcc, s[0:1]
	s_and_saveexec_b64 s[2:3], s[0:1]
	s_xor_b64 s[0:1], exec, s[2:3]
	s_cbranch_execz .LBB436_37
; %bb.36:
	v_mad_u64_u32 v[0:1], s[2:3], s6, 21, v[0:1]
	v_mov_b32_e32 v1, 0
	v_mov_b32_e32 v2, s9
	v_lshlrev_b64 v[0:1], 4, v[0:1]
	v_add_co_u32_e32 v0, vcc, s8, v0
	v_addc_co_u32_e32 v1, vcc, v2, v1, vcc
	global_store_dwordx4 v[0:1], v[5:8], off
                                        ; implicit-def: $vgpr0
                                        ; implicit-def: $vgpr1_vgpr2
                                        ; implicit-def: $vgpr5_vgpr6
.LBB436_37:
	s_andn2_saveexec_b64 s[0:1], s[0:1]
	s_cbranch_execz .LBB436_39
; %bb.38:
	v_mad_u64_u32 v[9:10], s[0:1], s6, 21, v[0:1]
	v_mov_b32_e32 v10, 0
	v_mov_b32_e32 v0, s9
	v_lshlrev_b64 v[9:10], 4, v[9:10]
	v_add_co_u32_e32 v13, vcc, s8, v9
	v_addc_co_u32_e32 v14, vcc, v0, v10, vcc
	global_load_dwordx4 v[9:12], v[13:14], off
	s_waitcnt vmcnt(0)
	v_fma_f64 v[5:6], v[1:2], v[9:10], v[5:6]
	v_fma_f64 v[7:8], v[3:4], v[9:10], v[7:8]
	v_fma_f64 v[3:4], -v[3:4], v[11:12], v[5:6]
	v_fma_f64 v[5:6], v[1:2], v[11:12], v[7:8]
	global_store_dwordx4 v[13:14], v[3:6], off
.LBB436_39:
	s_endpgm
	.section	.rodata,"a",@progbits
	.p2align	6, 0x0
	.amdhsa_kernel _ZN9rocsparseL20bsrxmvn_17_32_kernelILj21E21rocsparse_complex_numIdEiidS2_S2_EEvT2_20rocsparse_direction_NS_24const_host_device_scalarIT0_EES3_PKS3_PKT1_SC_S9_PKT3_PKT4_S7_PT5_21rocsparse_index_base_b
		.amdhsa_group_segment_fixed_size 7056
		.amdhsa_private_segment_fixed_size 0
		.amdhsa_kernarg_size 112
		.amdhsa_user_sgpr_count 6
		.amdhsa_user_sgpr_private_segment_buffer 1
		.amdhsa_user_sgpr_dispatch_ptr 0
		.amdhsa_user_sgpr_queue_ptr 0
		.amdhsa_user_sgpr_kernarg_segment_ptr 1
		.amdhsa_user_sgpr_dispatch_id 0
		.amdhsa_user_sgpr_flat_scratch_init 0
		.amdhsa_user_sgpr_private_segment_size 0
		.amdhsa_uses_dynamic_stack 0
		.amdhsa_system_sgpr_private_segment_wavefront_offset 0
		.amdhsa_system_sgpr_workgroup_id_x 1
		.amdhsa_system_sgpr_workgroup_id_y 0
		.amdhsa_system_sgpr_workgroup_id_z 0
		.amdhsa_system_sgpr_workgroup_info 0
		.amdhsa_system_vgpr_workitem_id 0
		.amdhsa_next_free_vgpr 26
		.amdhsa_next_free_sgpr 61
		.amdhsa_reserve_vcc 1
		.amdhsa_reserve_flat_scratch 0
		.amdhsa_float_round_mode_32 0
		.amdhsa_float_round_mode_16_64 0
		.amdhsa_float_denorm_mode_32 3
		.amdhsa_float_denorm_mode_16_64 3
		.amdhsa_dx10_clamp 1
		.amdhsa_ieee_mode 1
		.amdhsa_fp16_overflow 0
		.amdhsa_exception_fp_ieee_invalid_op 0
		.amdhsa_exception_fp_denorm_src 0
		.amdhsa_exception_fp_ieee_div_zero 0
		.amdhsa_exception_fp_ieee_overflow 0
		.amdhsa_exception_fp_ieee_underflow 0
		.amdhsa_exception_fp_ieee_inexact 0
		.amdhsa_exception_int_div_zero 0
	.end_amdhsa_kernel
	.section	.text._ZN9rocsparseL20bsrxmvn_17_32_kernelILj21E21rocsparse_complex_numIdEiidS2_S2_EEvT2_20rocsparse_direction_NS_24const_host_device_scalarIT0_EES3_PKS3_PKT1_SC_S9_PKT3_PKT4_S7_PT5_21rocsparse_index_base_b,"axG",@progbits,_ZN9rocsparseL20bsrxmvn_17_32_kernelILj21E21rocsparse_complex_numIdEiidS2_S2_EEvT2_20rocsparse_direction_NS_24const_host_device_scalarIT0_EES3_PKS3_PKT1_SC_S9_PKT3_PKT4_S7_PT5_21rocsparse_index_base_b,comdat
.Lfunc_end436:
	.size	_ZN9rocsparseL20bsrxmvn_17_32_kernelILj21E21rocsparse_complex_numIdEiidS2_S2_EEvT2_20rocsparse_direction_NS_24const_host_device_scalarIT0_EES3_PKS3_PKT1_SC_S9_PKT3_PKT4_S7_PT5_21rocsparse_index_base_b, .Lfunc_end436-_ZN9rocsparseL20bsrxmvn_17_32_kernelILj21E21rocsparse_complex_numIdEiidS2_S2_EEvT2_20rocsparse_direction_NS_24const_host_device_scalarIT0_EES3_PKS3_PKT1_SC_S9_PKT3_PKT4_S7_PT5_21rocsparse_index_base_b
                                        ; -- End function
	.set _ZN9rocsparseL20bsrxmvn_17_32_kernelILj21E21rocsparse_complex_numIdEiidS2_S2_EEvT2_20rocsparse_direction_NS_24const_host_device_scalarIT0_EES3_PKS3_PKT1_SC_S9_PKT3_PKT4_S7_PT5_21rocsparse_index_base_b.num_vgpr, 26
	.set _ZN9rocsparseL20bsrxmvn_17_32_kernelILj21E21rocsparse_complex_numIdEiidS2_S2_EEvT2_20rocsparse_direction_NS_24const_host_device_scalarIT0_EES3_PKS3_PKT1_SC_S9_PKT3_PKT4_S7_PT5_21rocsparse_index_base_b.num_agpr, 0
	.set _ZN9rocsparseL20bsrxmvn_17_32_kernelILj21E21rocsparse_complex_numIdEiidS2_S2_EEvT2_20rocsparse_direction_NS_24const_host_device_scalarIT0_EES3_PKS3_PKT1_SC_S9_PKT3_PKT4_S7_PT5_21rocsparse_index_base_b.numbered_sgpr, 18
	.set _ZN9rocsparseL20bsrxmvn_17_32_kernelILj21E21rocsparse_complex_numIdEiidS2_S2_EEvT2_20rocsparse_direction_NS_24const_host_device_scalarIT0_EES3_PKS3_PKT1_SC_S9_PKT3_PKT4_S7_PT5_21rocsparse_index_base_b.num_named_barrier, 0
	.set _ZN9rocsparseL20bsrxmvn_17_32_kernelILj21E21rocsparse_complex_numIdEiidS2_S2_EEvT2_20rocsparse_direction_NS_24const_host_device_scalarIT0_EES3_PKS3_PKT1_SC_S9_PKT3_PKT4_S7_PT5_21rocsparse_index_base_b.private_seg_size, 0
	.set _ZN9rocsparseL20bsrxmvn_17_32_kernelILj21E21rocsparse_complex_numIdEiidS2_S2_EEvT2_20rocsparse_direction_NS_24const_host_device_scalarIT0_EES3_PKS3_PKT1_SC_S9_PKT3_PKT4_S7_PT5_21rocsparse_index_base_b.uses_vcc, 1
	.set _ZN9rocsparseL20bsrxmvn_17_32_kernelILj21E21rocsparse_complex_numIdEiidS2_S2_EEvT2_20rocsparse_direction_NS_24const_host_device_scalarIT0_EES3_PKS3_PKT1_SC_S9_PKT3_PKT4_S7_PT5_21rocsparse_index_base_b.uses_flat_scratch, 0
	.set _ZN9rocsparseL20bsrxmvn_17_32_kernelILj21E21rocsparse_complex_numIdEiidS2_S2_EEvT2_20rocsparse_direction_NS_24const_host_device_scalarIT0_EES3_PKS3_PKT1_SC_S9_PKT3_PKT4_S7_PT5_21rocsparse_index_base_b.has_dyn_sized_stack, 0
	.set _ZN9rocsparseL20bsrxmvn_17_32_kernelILj21E21rocsparse_complex_numIdEiidS2_S2_EEvT2_20rocsparse_direction_NS_24const_host_device_scalarIT0_EES3_PKS3_PKT1_SC_S9_PKT3_PKT4_S7_PT5_21rocsparse_index_base_b.has_recursion, 0
	.set _ZN9rocsparseL20bsrxmvn_17_32_kernelILj21E21rocsparse_complex_numIdEiidS2_S2_EEvT2_20rocsparse_direction_NS_24const_host_device_scalarIT0_EES3_PKS3_PKT1_SC_S9_PKT3_PKT4_S7_PT5_21rocsparse_index_base_b.has_indirect_call, 0
	.section	.AMDGPU.csdata,"",@progbits
; Kernel info:
; codeLenInByte = 1648
; TotalNumSgprs: 22
; NumVgprs: 26
; ScratchSize: 0
; MemoryBound: 0
; FloatMode: 240
; IeeeMode: 1
; LDSByteSize: 7056 bytes/workgroup (compile time only)
; SGPRBlocks: 8
; VGPRBlocks: 6
; NumSGPRsForWavesPerEU: 65
; NumVGPRsForWavesPerEU: 26
; Occupancy: 9
; WaveLimiterHint : 1
; COMPUTE_PGM_RSRC2:SCRATCH_EN: 0
; COMPUTE_PGM_RSRC2:USER_SGPR: 6
; COMPUTE_PGM_RSRC2:TRAP_HANDLER: 0
; COMPUTE_PGM_RSRC2:TGID_X_EN: 1
; COMPUTE_PGM_RSRC2:TGID_Y_EN: 0
; COMPUTE_PGM_RSRC2:TGID_Z_EN: 0
; COMPUTE_PGM_RSRC2:TIDIG_COMP_CNT: 0
	.section	.text._ZN9rocsparseL20bsrxmvn_17_32_kernelILj22E21rocsparse_complex_numIdEiidS2_S2_EEvT2_20rocsparse_direction_NS_24const_host_device_scalarIT0_EES3_PKS3_PKT1_SC_S9_PKT3_PKT4_S7_PT5_21rocsparse_index_base_b,"axG",@progbits,_ZN9rocsparseL20bsrxmvn_17_32_kernelILj22E21rocsparse_complex_numIdEiidS2_S2_EEvT2_20rocsparse_direction_NS_24const_host_device_scalarIT0_EES3_PKS3_PKT1_SC_S9_PKT3_PKT4_S7_PT5_21rocsparse_index_base_b,comdat
	.globl	_ZN9rocsparseL20bsrxmvn_17_32_kernelILj22E21rocsparse_complex_numIdEiidS2_S2_EEvT2_20rocsparse_direction_NS_24const_host_device_scalarIT0_EES3_PKS3_PKT1_SC_S9_PKT3_PKT4_S7_PT5_21rocsparse_index_base_b ; -- Begin function _ZN9rocsparseL20bsrxmvn_17_32_kernelILj22E21rocsparse_complex_numIdEiidS2_S2_EEvT2_20rocsparse_direction_NS_24const_host_device_scalarIT0_EES3_PKS3_PKT1_SC_S9_PKT3_PKT4_S7_PT5_21rocsparse_index_base_b
	.p2align	8
	.type	_ZN9rocsparseL20bsrxmvn_17_32_kernelILj22E21rocsparse_complex_numIdEiidS2_S2_EEvT2_20rocsparse_direction_NS_24const_host_device_scalarIT0_EES3_PKS3_PKT1_SC_S9_PKT3_PKT4_S7_PT5_21rocsparse_index_base_b,@function
_ZN9rocsparseL20bsrxmvn_17_32_kernelILj22E21rocsparse_complex_numIdEiidS2_S2_EEvT2_20rocsparse_direction_NS_24const_host_device_scalarIT0_EES3_PKS3_PKT1_SC_S9_PKT3_PKT4_S7_PT5_21rocsparse_index_base_b: ; @_ZN9rocsparseL20bsrxmvn_17_32_kernelILj22E21rocsparse_complex_numIdEiidS2_S2_EEvT2_20rocsparse_direction_NS_24const_host_device_scalarIT0_EES3_PKS3_PKT1_SC_S9_PKT3_PKT4_S7_PT5_21rocsparse_index_base_b
; %bb.0:
	s_load_dwordx2 s[0:1], s[4:5], 0x8
	s_load_dwordx2 s[10:11], s[4:5], 0x68
	s_add_u32 s7, s4, 8
	s_addc_u32 s8, s5, 0
	s_add_u32 s9, s4, 0x50
	s_addc_u32 s12, s5, 0
	s_waitcnt lgkmcnt(0)
	s_bitcmp1_b32 s11, 0
	s_cselect_b32 s1, s8, s1
	s_cselect_b32 s0, s7, s0
	v_mov_b32_e32 v1, s0
	v_mov_b32_e32 v2, s1
	flat_load_dwordx4 v[5:8], v[1:2]
	s_load_dwordx2 s[2:3], s[4:5], 0x50
	s_waitcnt lgkmcnt(0)
	s_cselect_b32 s0, s12, s3
	s_cselect_b32 s1, s9, s2
	v_mov_b32_e32 v1, s1
	v_mov_b32_e32 v2, s0
	flat_load_dwordx4 v[1:4], v[1:2]
	s_waitcnt vmcnt(0)
	v_cmp_eq_f64_e32 vcc, 0, v[5:6]
	v_cmp_eq_f64_e64 s[0:1], 0, v[7:8]
	s_and_b64 s[8:9], vcc, s[0:1]
	s_mov_b64 s[0:1], -1
	s_and_saveexec_b64 s[2:3], s[8:9]
	s_cbranch_execz .LBB437_2
; %bb.1:
	s_waitcnt lgkmcnt(0)
	v_cmp_neq_f64_e32 vcc, 1.0, v[1:2]
	v_cmp_neq_f64_e64 s[0:1], 0, v[3:4]
	s_or_b64 s[0:1], vcc, s[0:1]
	s_orn2_b64 s[0:1], s[0:1], exec
.LBB437_2:
	s_or_b64 exec, exec, s[2:3]
	s_and_saveexec_b64 s[2:3], s[0:1]
	s_cbranch_execz .LBB437_39
; %bb.3:
	s_load_dwordx4 s[0:3], s[4:5], 0x20
	s_load_dwordx2 s[14:15], s[4:5], 0x30
	s_waitcnt lgkmcnt(0)
	s_cmp_eq_u64 s[0:1], 0
	s_cbranch_scc1 .LBB437_5
; %bb.4:
	s_ashr_i32 s7, s6, 31
	s_lshl_b64 s[6:7], s[6:7], 2
	s_add_u32 s0, s0, s6
	s_addc_u32 s1, s1, s7
	s_load_dword s0, s[0:1], 0x0
	s_waitcnt lgkmcnt(0)
	s_sub_i32 s6, s0, s10
.LBB437_5:
	s_load_dword s0, s[4:5], 0x4
	s_load_dwordx2 s[8:9], s[4:5], 0x60
	v_mul_u32_u24_e32 v13, 0xba3, v0
	v_mov_b32_e32 v14, 22
	v_mul_lo_u16_sdwa v15, v13, v14 dst_sel:DWORD dst_unused:UNUSED_PAD src0_sel:WORD_1 src1_sel:DWORD
	s_waitcnt lgkmcnt(0)
	s_cmp_eq_u32 s0, 1
	s_cselect_b64 vcc, -1, 0
	s_cmp_lg_u32 s0, 1
	s_cselect_b64 s[12:13], -1, 0
	s_ashr_i32 s7, s6, 31
	s_lshl_b64 s[0:1], s[6:7], 2
	s_add_u32 s2, s2, s0
	s_addc_u32 s3, s3, s1
	s_load_dword s11, s[2:3], 0x0
	s_add_u32 s2, s2, 4
	s_addc_u32 s3, s3, 0
	s_add_u32 s0, s14, s0
	s_addc_u32 s1, s15, s1
	s_cmp_eq_u64 s[14:15], 0
	s_cselect_b32 s1, s3, s1
	s_cselect_b32 s0, s2, s0
	s_load_dword s7, s[0:1], 0x0
	v_mov_b32_e32 v11, 0
	v_mov_b32_e32 v9, 0
	;; [unrolled: 1-line block ×4, first 2 shown]
	s_waitcnt lgkmcnt(0)
	s_cmp_ge_i32 s11, s7
	v_sub_u16_e32 v18, v0, v15
	s_cbranch_scc1 .LBB437_10
; %bb.6:
	s_load_dwordx2 s[14:15], s[4:5], 0x48
	s_load_dwordx4 s[0:3], s[4:5], 0x38
	v_mov_b32_e32 v9, 12
	v_mul_lo_u16_sdwa v9, v13, v9 dst_sel:DWORD dst_unused:UNUSED_PAD src0_sel:WORD_1 src1_sel:DWORD
	v_mul_lo_u16_sdwa v9, v9, v14 dst_sel:DWORD dst_unused:UNUSED_PAD src0_sel:BYTE_1 src1_sel:DWORD
	v_sub_u16_sdwa v9, v13, v9 dst_sel:DWORD dst_unused:UNUSED_PAD src0_sel:WORD_1 src1_sel:DWORD
	s_sub_i32 s11, s11, s10
	s_sub_i32 s7, s7, s10
	v_and_b32_e32 v9, 0xff, v9
	s_mul_i32 s5, s11, 0xf20
	v_cndmask_b32_e32 v13, v18, v9, vcc
	s_mul_hi_i32 s4, s11, 0xf20
	s_waitcnt lgkmcnt(0)
	s_add_u32 s2, s2, s5
	v_lshlrev_b32_e32 v9, 3, v0
	s_addc_u32 s3, s3, s4
	v_add_co_u32_e32 v14, vcc, s2, v9
	s_movk_i32 s2, 0x10f
	v_mov_b32_e32 v10, s3
	v_mul_u32_u24_sdwa v9, v0, s2 dst_sel:DWORD dst_unused:UNUSED_PAD src0_sel:WORD_0 src1_sel:DWORD
	v_mov_b32_e32 v11, 0
	v_addc_co_u32_e32 v15, vcc, 0, v10, vcc
	v_lshrrev_b32_e32 v19, 17, v9
	v_mov_b32_e32 v12, 0
	s_mov_b32 s2, 0
	v_mov_b32_e32 v9, v11
	s_brev_b32 s3, 1
	v_mov_b32_e32 v10, v12
	s_branch .LBB437_8
.LBB437_7:                              ;   in Loop: Header=BB437_8 Depth=1
	s_or_b64 exec, exec, s[4:5]
	s_add_i32 s11, s11, 1
	s_cmp_lt_i32 s11, s7
	s_cbranch_scc0 .LBB437_10
.LBB437_8:                              ; =>This Inner Loop Header: Depth=1
	v_add_u32_e32 v16, s11, v19
	v_cmp_gt_i32_e32 vcc, s7, v16
	s_and_saveexec_b64 s[4:5], vcc
	s_cbranch_execz .LBB437_7
; %bb.9:                                ;   in Loop: Header=BB437_8 Depth=1
	v_ashrrev_i32_e32 v17, 31, v16
	v_lshlrev_b64 v[16:17], 2, v[16:17]
	v_mov_b32_e32 v20, s1
	v_add_co_u32_e32 v16, vcc, s0, v16
	v_addc_co_u32_e32 v17, vcc, v20, v17, vcc
	global_load_dword v16, v[16:17], off
	v_mov_b32_e32 v20, s15
	global_load_dwordx2 v[24:25], v[14:15], off
	s_waitcnt vmcnt(1)
	v_subrev_u32_e32 v16, s10, v16
	v_mad_u64_u32 v[16:17], s[16:17], v16, 22, v[13:14]
	v_ashrrev_i32_e32 v17, 31, v16
	v_lshlrev_b64 v[16:17], 4, v[16:17]
	v_add_co_u32_e32 v16, vcc, s14, v16
	v_addc_co_u32_e32 v17, vcc, v20, v17, vcc
	global_load_dwordx4 v[20:23], v[16:17], off
	v_add_co_u32_e32 v14, vcc, 0xf20, v14
	v_addc_co_u32_e32 v15, vcc, 0, v15, vcc
	s_waitcnt vmcnt(0)
	v_fma_f64 v[9:10], v[24:25], v[20:21], v[9:10]
	v_fma_f64 v[11:12], v[20:21], 0, v[11:12]
	;; [unrolled: 1-line block ×4, first 2 shown]
	s_branch .LBB437_7
.LBB437_10:
	v_lshlrev_b32_e32 v17, 4, v0
	s_and_b64 vcc, exec, s[12:13]
	ds_write_b128 v17, v[9:12]
	s_waitcnt lgkmcnt(0)
	s_barrier
	s_cbranch_vccz .LBB437_22
; %bb.11:
	v_cmp_gt_u16_e32 vcc, 6, v18
	s_and_saveexec_b64 s[0:1], vcc
	s_cbranch_execz .LBB437_13
; %bb.12:
	ds_read_b128 v[13:16], v17 offset:256
	ds_read_b128 v[19:22], v17
	s_waitcnt lgkmcnt(0)
	v_add_f64 v[13:14], v[13:14], v[19:20]
	v_add_f64 v[15:16], v[15:16], v[21:22]
	ds_write_b128 v17, v[13:16]
.LBB437_13:
	s_or_b64 exec, exec, s[0:1]
	v_cmp_gt_u16_e32 vcc, 8, v18
	s_waitcnt lgkmcnt(0)
	s_barrier
	s_and_saveexec_b64 s[0:1], vcc
	s_cbranch_execz .LBB437_15
; %bb.14:
	ds_read_b128 v[13:16], v17 offset:128
	ds_read_b128 v[19:22], v17
	s_waitcnt lgkmcnt(0)
	v_add_f64 v[13:14], v[13:14], v[19:20]
	v_add_f64 v[15:16], v[15:16], v[21:22]
	ds_write_b128 v17, v[13:16]
.LBB437_15:
	s_or_b64 exec, exec, s[0:1]
	v_cmp_gt_u16_e32 vcc, 4, v18
	s_waitcnt lgkmcnt(0)
	s_barrier
	;; [unrolled: 14-line block ×3, first 2 shown]
	s_and_saveexec_b64 s[0:1], vcc
	s_cbranch_execz .LBB437_19
; %bb.18:
	ds_read_b128 v[13:16], v17
	ds_read_b128 v[18:21], v17 offset:32
	s_waitcnt lgkmcnt(0)
	v_add_f64 v[13:14], v[18:19], v[13:14]
	v_add_f64 v[15:16], v[20:21], v[15:16]
	ds_write_b128 v17, v[13:16]
.LBB437_19:
	s_or_b64 exec, exec, s[0:1]
	v_mov_b32_e32 v16, v12
	v_mov_b32_e32 v14, v10
	v_cmp_gt_u32_e32 vcc, 22, v0
	v_mov_b32_e32 v15, v11
	v_mov_b32_e32 v13, v9
	s_waitcnt lgkmcnt(0)
	s_barrier
	s_and_saveexec_b64 s[0:1], vcc
	s_cbranch_execz .LBB437_21
; %bb.20:
	s_movk_i32 s2, 0x150
	v_mad_u32_u24 v18, v0, s2, v17
	ds_read_b128 v[13:16], v18
	ds_read_b128 v[18:21], v18 offset:16
	s_waitcnt lgkmcnt(0)
	v_add_f64 v[13:14], v[18:19], v[13:14]
	v_add_f64 v[15:16], v[20:21], v[15:16]
.LBB437_21:
	s_or_b64 exec, exec, s[0:1]
	s_branch .LBB437_34
.LBB437_22:
                                        ; implicit-def: $vgpr15_vgpr16
                                        ; implicit-def: $vgpr13_vgpr14
	s_cbranch_execz .LBB437_34
; %bb.23:
	s_movk_i32 s0, 0x84
	v_cmp_gt_u32_e32 vcc, s0, v0
	s_and_saveexec_b64 s[0:1], vcc
	s_cbranch_execz .LBB437_25
; %bb.24:
	ds_read_b128 v[13:16], v17 offset:5632
	ds_read_b128 v[18:21], v17
	s_waitcnt lgkmcnt(0)
	v_add_f64 v[13:14], v[13:14], v[18:19]
	v_add_f64 v[15:16], v[15:16], v[20:21]
	ds_write_b128 v17, v[13:16]
.LBB437_25:
	s_or_b64 exec, exec, s[0:1]
	s_movk_i32 s0, 0xb0
	v_cmp_gt_u32_e32 vcc, s0, v0
	s_waitcnt lgkmcnt(0)
	s_barrier
	s_and_saveexec_b64 s[0:1], vcc
	s_cbranch_execz .LBB437_27
; %bb.26:
	ds_read_b128 v[13:16], v17 offset:2816
	ds_read_b128 v[18:21], v17
	s_waitcnt lgkmcnt(0)
	v_add_f64 v[13:14], v[13:14], v[18:19]
	v_add_f64 v[15:16], v[15:16], v[20:21]
	ds_write_b128 v17, v[13:16]
.LBB437_27:
	s_or_b64 exec, exec, s[0:1]
	s_movk_i32 s0, 0x58
	v_cmp_gt_u32_e32 vcc, s0, v0
	s_waitcnt lgkmcnt(0)
	s_barrier
	s_and_saveexec_b64 s[0:1], vcc
	s_cbranch_execz .LBB437_29
; %bb.28:
	ds_read_b128 v[13:16], v17 offset:1408
	ds_read_b128 v[18:21], v17
	s_waitcnt lgkmcnt(0)
	v_add_f64 v[13:14], v[13:14], v[18:19]
	v_add_f64 v[15:16], v[15:16], v[20:21]
	ds_write_b128 v17, v[13:16]
.LBB437_29:
	s_or_b64 exec, exec, s[0:1]
	v_cmp_gt_u32_e32 vcc, 44, v0
	s_waitcnt lgkmcnt(0)
	s_barrier
	s_and_saveexec_b64 s[0:1], vcc
	s_cbranch_execz .LBB437_31
; %bb.30:
	ds_read_b128 v[13:16], v17 offset:704
	ds_read_b128 v[18:21], v17
	s_waitcnt lgkmcnt(0)
	v_add_f64 v[13:14], v[13:14], v[18:19]
	v_add_f64 v[15:16], v[15:16], v[20:21]
	ds_write_b128 v17, v[13:16]
.LBB437_31:
	s_or_b64 exec, exec, s[0:1]
	v_cmp_gt_u32_e32 vcc, 22, v0
	s_waitcnt lgkmcnt(0)
	s_and_saveexec_b64 s[0:1], vcc
	s_cbranch_execz .LBB437_33
; %bb.32:
	ds_read_b128 v[9:12], v17 offset:352
	ds_read_b128 v[13:16], v17
	s_waitcnt lgkmcnt(0)
	v_add_f64 v[9:10], v[9:10], v[13:14]
	v_add_f64 v[11:12], v[11:12], v[15:16]
.LBB437_33:
	s_or_b64 exec, exec, s[0:1]
	v_mov_b32_e32 v16, v12
	v_mov_b32_e32 v14, v10
	v_mov_b32_e32 v15, v11
	v_mov_b32_e32 v13, v9
.LBB437_34:
	v_cmp_gt_u32_e32 vcc, 22, v0
	s_and_b64 exec, exec, vcc
	s_cbranch_execz .LBB437_39
; %bb.35:
	v_mul_f64 v[9:10], v[15:16], -v[7:8]
	v_mul_f64 v[11:12], v[5:6], v[15:16]
	v_cmp_eq_f64_e32 vcc, 0, v[1:2]
	v_cmp_eq_f64_e64 s[0:1], 0, v[3:4]
	v_fma_f64 v[5:6], v[5:6], v[13:14], v[9:10]
	v_fma_f64 v[7:8], v[7:8], v[13:14], v[11:12]
	s_and_b64 s[0:1], vcc, s[0:1]
	s_and_saveexec_b64 s[2:3], s[0:1]
	s_xor_b64 s[0:1], exec, s[2:3]
	s_cbranch_execz .LBB437_37
; %bb.36:
	v_mad_u64_u32 v[0:1], s[2:3], s6, 22, v[0:1]
	v_mov_b32_e32 v1, 0
	v_mov_b32_e32 v2, s9
	v_lshlrev_b64 v[0:1], 4, v[0:1]
	v_add_co_u32_e32 v0, vcc, s8, v0
	v_addc_co_u32_e32 v1, vcc, v2, v1, vcc
	global_store_dwordx4 v[0:1], v[5:8], off
                                        ; implicit-def: $vgpr0
                                        ; implicit-def: $vgpr1_vgpr2
                                        ; implicit-def: $vgpr5_vgpr6
.LBB437_37:
	s_andn2_saveexec_b64 s[0:1], s[0:1]
	s_cbranch_execz .LBB437_39
; %bb.38:
	v_mad_u64_u32 v[9:10], s[0:1], s6, 22, v[0:1]
	v_mov_b32_e32 v10, 0
	v_mov_b32_e32 v0, s9
	v_lshlrev_b64 v[9:10], 4, v[9:10]
	v_add_co_u32_e32 v13, vcc, s8, v9
	v_addc_co_u32_e32 v14, vcc, v0, v10, vcc
	global_load_dwordx4 v[9:12], v[13:14], off
	s_waitcnt vmcnt(0)
	v_fma_f64 v[5:6], v[1:2], v[9:10], v[5:6]
	v_fma_f64 v[7:8], v[3:4], v[9:10], v[7:8]
	v_fma_f64 v[3:4], -v[3:4], v[11:12], v[5:6]
	v_fma_f64 v[5:6], v[1:2], v[11:12], v[7:8]
	global_store_dwordx4 v[13:14], v[3:6], off
.LBB437_39:
	s_endpgm
	.section	.rodata,"a",@progbits
	.p2align	6, 0x0
	.amdhsa_kernel _ZN9rocsparseL20bsrxmvn_17_32_kernelILj22E21rocsparse_complex_numIdEiidS2_S2_EEvT2_20rocsparse_direction_NS_24const_host_device_scalarIT0_EES3_PKS3_PKT1_SC_S9_PKT3_PKT4_S7_PT5_21rocsparse_index_base_b
		.amdhsa_group_segment_fixed_size 7744
		.amdhsa_private_segment_fixed_size 0
		.amdhsa_kernarg_size 112
		.amdhsa_user_sgpr_count 6
		.amdhsa_user_sgpr_private_segment_buffer 1
		.amdhsa_user_sgpr_dispatch_ptr 0
		.amdhsa_user_sgpr_queue_ptr 0
		.amdhsa_user_sgpr_kernarg_segment_ptr 1
		.amdhsa_user_sgpr_dispatch_id 0
		.amdhsa_user_sgpr_flat_scratch_init 0
		.amdhsa_user_sgpr_private_segment_size 0
		.amdhsa_uses_dynamic_stack 0
		.amdhsa_system_sgpr_private_segment_wavefront_offset 0
		.amdhsa_system_sgpr_workgroup_id_x 1
		.amdhsa_system_sgpr_workgroup_id_y 0
		.amdhsa_system_sgpr_workgroup_id_z 0
		.amdhsa_system_sgpr_workgroup_info 0
		.amdhsa_system_vgpr_workitem_id 0
		.amdhsa_next_free_vgpr 26
		.amdhsa_next_free_sgpr 18
		.amdhsa_reserve_vcc 1
		.amdhsa_reserve_flat_scratch 0
		.amdhsa_float_round_mode_32 0
		.amdhsa_float_round_mode_16_64 0
		.amdhsa_float_denorm_mode_32 3
		.amdhsa_float_denorm_mode_16_64 3
		.amdhsa_dx10_clamp 1
		.amdhsa_ieee_mode 1
		.amdhsa_fp16_overflow 0
		.amdhsa_exception_fp_ieee_invalid_op 0
		.amdhsa_exception_fp_denorm_src 0
		.amdhsa_exception_fp_ieee_div_zero 0
		.amdhsa_exception_fp_ieee_overflow 0
		.amdhsa_exception_fp_ieee_underflow 0
		.amdhsa_exception_fp_ieee_inexact 0
		.amdhsa_exception_int_div_zero 0
	.end_amdhsa_kernel
	.section	.text._ZN9rocsparseL20bsrxmvn_17_32_kernelILj22E21rocsparse_complex_numIdEiidS2_S2_EEvT2_20rocsparse_direction_NS_24const_host_device_scalarIT0_EES3_PKS3_PKT1_SC_S9_PKT3_PKT4_S7_PT5_21rocsparse_index_base_b,"axG",@progbits,_ZN9rocsparseL20bsrxmvn_17_32_kernelILj22E21rocsparse_complex_numIdEiidS2_S2_EEvT2_20rocsparse_direction_NS_24const_host_device_scalarIT0_EES3_PKS3_PKT1_SC_S9_PKT3_PKT4_S7_PT5_21rocsparse_index_base_b,comdat
.Lfunc_end437:
	.size	_ZN9rocsparseL20bsrxmvn_17_32_kernelILj22E21rocsparse_complex_numIdEiidS2_S2_EEvT2_20rocsparse_direction_NS_24const_host_device_scalarIT0_EES3_PKS3_PKT1_SC_S9_PKT3_PKT4_S7_PT5_21rocsparse_index_base_b, .Lfunc_end437-_ZN9rocsparseL20bsrxmvn_17_32_kernelILj22E21rocsparse_complex_numIdEiidS2_S2_EEvT2_20rocsparse_direction_NS_24const_host_device_scalarIT0_EES3_PKS3_PKT1_SC_S9_PKT3_PKT4_S7_PT5_21rocsparse_index_base_b
                                        ; -- End function
	.set _ZN9rocsparseL20bsrxmvn_17_32_kernelILj22E21rocsparse_complex_numIdEiidS2_S2_EEvT2_20rocsparse_direction_NS_24const_host_device_scalarIT0_EES3_PKS3_PKT1_SC_S9_PKT3_PKT4_S7_PT5_21rocsparse_index_base_b.num_vgpr, 26
	.set _ZN9rocsparseL20bsrxmvn_17_32_kernelILj22E21rocsparse_complex_numIdEiidS2_S2_EEvT2_20rocsparse_direction_NS_24const_host_device_scalarIT0_EES3_PKS3_PKT1_SC_S9_PKT3_PKT4_S7_PT5_21rocsparse_index_base_b.num_agpr, 0
	.set _ZN9rocsparseL20bsrxmvn_17_32_kernelILj22E21rocsparse_complex_numIdEiidS2_S2_EEvT2_20rocsparse_direction_NS_24const_host_device_scalarIT0_EES3_PKS3_PKT1_SC_S9_PKT3_PKT4_S7_PT5_21rocsparse_index_base_b.numbered_sgpr, 18
	.set _ZN9rocsparseL20bsrxmvn_17_32_kernelILj22E21rocsparse_complex_numIdEiidS2_S2_EEvT2_20rocsparse_direction_NS_24const_host_device_scalarIT0_EES3_PKS3_PKT1_SC_S9_PKT3_PKT4_S7_PT5_21rocsparse_index_base_b.num_named_barrier, 0
	.set _ZN9rocsparseL20bsrxmvn_17_32_kernelILj22E21rocsparse_complex_numIdEiidS2_S2_EEvT2_20rocsparse_direction_NS_24const_host_device_scalarIT0_EES3_PKS3_PKT1_SC_S9_PKT3_PKT4_S7_PT5_21rocsparse_index_base_b.private_seg_size, 0
	.set _ZN9rocsparseL20bsrxmvn_17_32_kernelILj22E21rocsparse_complex_numIdEiidS2_S2_EEvT2_20rocsparse_direction_NS_24const_host_device_scalarIT0_EES3_PKS3_PKT1_SC_S9_PKT3_PKT4_S7_PT5_21rocsparse_index_base_b.uses_vcc, 1
	.set _ZN9rocsparseL20bsrxmvn_17_32_kernelILj22E21rocsparse_complex_numIdEiidS2_S2_EEvT2_20rocsparse_direction_NS_24const_host_device_scalarIT0_EES3_PKS3_PKT1_SC_S9_PKT3_PKT4_S7_PT5_21rocsparse_index_base_b.uses_flat_scratch, 0
	.set _ZN9rocsparseL20bsrxmvn_17_32_kernelILj22E21rocsparse_complex_numIdEiidS2_S2_EEvT2_20rocsparse_direction_NS_24const_host_device_scalarIT0_EES3_PKS3_PKT1_SC_S9_PKT3_PKT4_S7_PT5_21rocsparse_index_base_b.has_dyn_sized_stack, 0
	.set _ZN9rocsparseL20bsrxmvn_17_32_kernelILj22E21rocsparse_complex_numIdEiidS2_S2_EEvT2_20rocsparse_direction_NS_24const_host_device_scalarIT0_EES3_PKS3_PKT1_SC_S9_PKT3_PKT4_S7_PT5_21rocsparse_index_base_b.has_recursion, 0
	.set _ZN9rocsparseL20bsrxmvn_17_32_kernelILj22E21rocsparse_complex_numIdEiidS2_S2_EEvT2_20rocsparse_direction_NS_24const_host_device_scalarIT0_EES3_PKS3_PKT1_SC_S9_PKT3_PKT4_S7_PT5_21rocsparse_index_base_b.has_indirect_call, 0
	.section	.AMDGPU.csdata,"",@progbits
; Kernel info:
; codeLenInByte = 1648
; TotalNumSgprs: 22
; NumVgprs: 26
; ScratchSize: 0
; MemoryBound: 0
; FloatMode: 240
; IeeeMode: 1
; LDSByteSize: 7744 bytes/workgroup (compile time only)
; SGPRBlocks: 2
; VGPRBlocks: 6
; NumSGPRsForWavesPerEU: 22
; NumVGPRsForWavesPerEU: 26
; Occupancy: 9
; WaveLimiterHint : 1
; COMPUTE_PGM_RSRC2:SCRATCH_EN: 0
; COMPUTE_PGM_RSRC2:USER_SGPR: 6
; COMPUTE_PGM_RSRC2:TRAP_HANDLER: 0
; COMPUTE_PGM_RSRC2:TGID_X_EN: 1
; COMPUTE_PGM_RSRC2:TGID_Y_EN: 0
; COMPUTE_PGM_RSRC2:TGID_Z_EN: 0
; COMPUTE_PGM_RSRC2:TIDIG_COMP_CNT: 0
	.section	.text._ZN9rocsparseL20bsrxmvn_17_32_kernelILj23E21rocsparse_complex_numIdEiidS2_S2_EEvT2_20rocsparse_direction_NS_24const_host_device_scalarIT0_EES3_PKS3_PKT1_SC_S9_PKT3_PKT4_S7_PT5_21rocsparse_index_base_b,"axG",@progbits,_ZN9rocsparseL20bsrxmvn_17_32_kernelILj23E21rocsparse_complex_numIdEiidS2_S2_EEvT2_20rocsparse_direction_NS_24const_host_device_scalarIT0_EES3_PKS3_PKT1_SC_S9_PKT3_PKT4_S7_PT5_21rocsparse_index_base_b,comdat
	.globl	_ZN9rocsparseL20bsrxmvn_17_32_kernelILj23E21rocsparse_complex_numIdEiidS2_S2_EEvT2_20rocsparse_direction_NS_24const_host_device_scalarIT0_EES3_PKS3_PKT1_SC_S9_PKT3_PKT4_S7_PT5_21rocsparse_index_base_b ; -- Begin function _ZN9rocsparseL20bsrxmvn_17_32_kernelILj23E21rocsparse_complex_numIdEiidS2_S2_EEvT2_20rocsparse_direction_NS_24const_host_device_scalarIT0_EES3_PKS3_PKT1_SC_S9_PKT3_PKT4_S7_PT5_21rocsparse_index_base_b
	.p2align	8
	.type	_ZN9rocsparseL20bsrxmvn_17_32_kernelILj23E21rocsparse_complex_numIdEiidS2_S2_EEvT2_20rocsparse_direction_NS_24const_host_device_scalarIT0_EES3_PKS3_PKT1_SC_S9_PKT3_PKT4_S7_PT5_21rocsparse_index_base_b,@function
_ZN9rocsparseL20bsrxmvn_17_32_kernelILj23E21rocsparse_complex_numIdEiidS2_S2_EEvT2_20rocsparse_direction_NS_24const_host_device_scalarIT0_EES3_PKS3_PKT1_SC_S9_PKT3_PKT4_S7_PT5_21rocsparse_index_base_b: ; @_ZN9rocsparseL20bsrxmvn_17_32_kernelILj23E21rocsparse_complex_numIdEiidS2_S2_EEvT2_20rocsparse_direction_NS_24const_host_device_scalarIT0_EES3_PKS3_PKT1_SC_S9_PKT3_PKT4_S7_PT5_21rocsparse_index_base_b
; %bb.0:
	s_load_dwordx2 s[0:1], s[4:5], 0x8
	s_load_dwordx2 s[14:15], s[4:5], 0x68
	s_add_u32 s7, s4, 8
	s_addc_u32 s8, s5, 0
	s_add_u32 s9, s4, 0x50
	s_addc_u32 s10, s5, 0
	s_waitcnt lgkmcnt(0)
	s_bitcmp1_b32 s15, 0
	s_cselect_b32 s1, s8, s1
	s_cselect_b32 s0, s7, s0
	v_mov_b32_e32 v1, s0
	v_mov_b32_e32 v2, s1
	flat_load_dwordx4 v[5:8], v[1:2]
	s_load_dwordx2 s[2:3], s[4:5], 0x50
	s_waitcnt lgkmcnt(0)
	s_cselect_b32 s0, s10, s3
	s_cselect_b32 s1, s9, s2
	v_mov_b32_e32 v1, s1
	v_mov_b32_e32 v2, s0
	flat_load_dwordx4 v[1:4], v[1:2]
	s_waitcnt vmcnt(0)
	v_cmp_eq_f64_e32 vcc, 0, v[5:6]
	v_cmp_eq_f64_e64 s[0:1], 0, v[7:8]
	s_and_b64 s[8:9], vcc, s[0:1]
	s_mov_b64 s[0:1], -1
	s_and_saveexec_b64 s[2:3], s[8:9]
	s_cbranch_execz .LBB438_2
; %bb.1:
	s_waitcnt lgkmcnt(0)
	v_cmp_neq_f64_e32 vcc, 1.0, v[1:2]
	v_cmp_neq_f64_e64 s[0:1], 0, v[3:4]
	s_or_b64 s[0:1], vcc, s[0:1]
	s_orn2_b64 s[0:1], s[0:1], exec
.LBB438_2:
	s_or_b64 exec, exec, s[2:3]
	s_and_saveexec_b64 s[2:3], s[0:1]
	s_cbranch_execz .LBB438_39
; %bb.3:
	s_load_dwordx4 s[0:3], s[4:5], 0x20
	s_load_dwordx2 s[8:9], s[4:5], 0x30
	s_waitcnt lgkmcnt(0)
	s_cmp_eq_u64 s[0:1], 0
	s_cbranch_scc1 .LBB438_5
; %bb.4:
	s_ashr_i32 s7, s6, 31
	s_lshl_b64 s[6:7], s[6:7], 2
	s_add_u32 s0, s0, s6
	s_addc_u32 s1, s1, s7
	s_load_dword s0, s[0:1], 0x0
	s_waitcnt lgkmcnt(0)
	s_sub_i32 s6, s0, s14
.LBB438_5:
	s_load_dword s0, s[4:5], 0x4
	s_load_dwordx2 s[12:13], s[4:5], 0x60
	v_mul_u32_u24_e32 v13, 0xb22, v0
	v_mov_b32_e32 v9, 23
	v_mul_lo_u16_sdwa v14, v13, v9 dst_sel:DWORD dst_unused:UNUSED_PAD src0_sel:WORD_1 src1_sel:DWORD
	s_waitcnt lgkmcnt(0)
	s_cmp_eq_u32 s0, 1
	s_cselect_b64 vcc, -1, 0
	s_cmp_lg_u32 s0, 1
	s_cselect_b64 s[16:17], -1, 0
	s_ashr_i32 s7, s6, 31
	s_lshl_b64 s[0:1], s[6:7], 2
	s_add_u32 s2, s2, s0
	s_addc_u32 s3, s3, s1
	s_load_dword s15, s[2:3], 0x0
	s_add_u32 s2, s2, 4
	s_addc_u32 s3, s3, 0
	s_add_u32 s0, s8, s0
	s_addc_u32 s1, s9, s1
	s_cmp_eq_u64 s[8:9], 0
	s_cselect_b32 s1, s3, s1
	s_cselect_b32 s0, s2, s0
	s_load_dword s0, s[0:1], 0x0
	v_mov_b32_e32 v11, 0
	v_mov_b32_e32 v9, 0
	;; [unrolled: 1-line block ×4, first 2 shown]
	s_waitcnt lgkmcnt(0)
	s_cmp_ge_i32 s15, s0
	v_sub_u16_e32 v18, v0, v14
	s_cbranch_scc1 .LBB438_10
; %bb.6:
	s_load_dwordx2 s[2:3], s[4:5], 0x48
	s_load_dwordx4 s[8:11], s[4:5], 0x38
	s_sub_i32 s7, s0, s14
	s_mov_b32 s0, 0xffff
	s_movk_i32 s1, 0x211
	v_and_b32_sdwa v9, s0, v13 dst_sel:DWORD dst_unused:UNUSED_PAD src0_sel:DWORD src1_sel:WORD_1
	v_subrev_u32_e32 v10, 23, v9
	v_cmp_gt_u32_e64 s[0:1], s1, v0
	s_sub_i32 s15, s15, s14
	v_cndmask_b32_e64 v9, v10, v9, s[0:1]
	s_mul_i32 s1, s15, 0x1088
	s_mul_hi_i32 s0, s15, 0x1088
	s_waitcnt lgkmcnt(0)
	s_add_u32 s1, s10, s1
	v_cndmask_b32_e32 v13, v18, v9, vcc
	s_addc_u32 s0, s11, s0
	v_lshlrev_b32_e32 v9, 3, v0
	v_mov_b32_e32 v10, s0
	v_add_co_u32_e32 v14, vcc, s1, v9
	v_addc_co_u32_e32 v15, vcc, 0, v10, vcc
	s_movk_i32 s0, 0x210
	v_mov_b32_e32 v11, 0
	v_cmp_lt_u32_e32 vcc, s0, v0
	v_mov_b32_e32 v12, 0
	s_mov_b32 s0, 0
	v_mov_b32_e32 v9, v11
	v_cndmask_b32_e64 v19, 0, 1, vcc
	s_brev_b32 s1, 1
	v_mov_b32_e32 v10, v12
	s_branch .LBB438_8
.LBB438_7:                              ;   in Loop: Header=BB438_8 Depth=1
	s_or_b64 exec, exec, s[4:5]
	s_add_i32 s15, s15, 1
	s_cmp_lt_i32 s15, s7
	s_cbranch_scc0 .LBB438_10
.LBB438_8:                              ; =>This Inner Loop Header: Depth=1
	v_add_u32_e32 v16, s15, v19
	v_cmp_gt_i32_e32 vcc, s7, v16
	s_and_saveexec_b64 s[4:5], vcc
	s_cbranch_execz .LBB438_7
; %bb.9:                                ;   in Loop: Header=BB438_8 Depth=1
	v_ashrrev_i32_e32 v17, 31, v16
	v_lshlrev_b64 v[16:17], 2, v[16:17]
	v_mov_b32_e32 v20, s9
	v_add_co_u32_e32 v16, vcc, s8, v16
	v_addc_co_u32_e32 v17, vcc, v20, v17, vcc
	global_load_dword v16, v[16:17], off
	v_mov_b32_e32 v20, s3
	global_load_dwordx2 v[24:25], v[14:15], off
	s_waitcnt vmcnt(1)
	v_subrev_u32_e32 v16, s14, v16
	v_mad_u64_u32 v[16:17], s[10:11], v16, 23, v[13:14]
	v_ashrrev_i32_e32 v17, 31, v16
	v_lshlrev_b64 v[16:17], 4, v[16:17]
	v_add_co_u32_e32 v16, vcc, s2, v16
	v_addc_co_u32_e32 v17, vcc, v20, v17, vcc
	global_load_dwordx4 v[20:23], v[16:17], off
	v_add_co_u32_e32 v14, vcc, 0x1088, v14
	v_addc_co_u32_e32 v15, vcc, 0, v15, vcc
	s_waitcnt vmcnt(0)
	v_fma_f64 v[9:10], v[24:25], v[20:21], v[9:10]
	v_fma_f64 v[11:12], v[20:21], 0, v[11:12]
	;; [unrolled: 1-line block ×4, first 2 shown]
	s_branch .LBB438_7
.LBB438_10:
	v_lshlrev_b32_e32 v17, 4, v0
	s_and_b64 vcc, exec, s[16:17]
	ds_write_b128 v17, v[9:12]
	s_waitcnt lgkmcnt(0)
	s_barrier
	s_cbranch_vccz .LBB438_22
; %bb.11:
	v_cmp_gt_u16_e32 vcc, 7, v18
	s_and_saveexec_b64 s[0:1], vcc
	s_cbranch_execz .LBB438_13
; %bb.12:
	ds_read_b128 v[13:16], v17 offset:256
	ds_read_b128 v[19:22], v17
	s_waitcnt lgkmcnt(0)
	v_add_f64 v[13:14], v[13:14], v[19:20]
	v_add_f64 v[15:16], v[15:16], v[21:22]
	ds_write_b128 v17, v[13:16]
.LBB438_13:
	s_or_b64 exec, exec, s[0:1]
	v_cmp_gt_u16_e32 vcc, 8, v18
	s_waitcnt lgkmcnt(0)
	s_barrier
	s_and_saveexec_b64 s[0:1], vcc
	s_cbranch_execz .LBB438_15
; %bb.14:
	ds_read_b128 v[13:16], v17 offset:128
	ds_read_b128 v[19:22], v17
	s_waitcnt lgkmcnt(0)
	v_add_f64 v[13:14], v[13:14], v[19:20]
	v_add_f64 v[15:16], v[15:16], v[21:22]
	ds_write_b128 v17, v[13:16]
.LBB438_15:
	s_or_b64 exec, exec, s[0:1]
	v_cmp_gt_u16_e32 vcc, 4, v18
	s_waitcnt lgkmcnt(0)
	s_barrier
	;; [unrolled: 14-line block ×3, first 2 shown]
	s_and_saveexec_b64 s[0:1], vcc
	s_cbranch_execz .LBB438_19
; %bb.18:
	ds_read_b128 v[13:16], v17
	ds_read_b128 v[18:21], v17 offset:32
	s_waitcnt lgkmcnt(0)
	v_add_f64 v[13:14], v[18:19], v[13:14]
	v_add_f64 v[15:16], v[20:21], v[15:16]
	ds_write_b128 v17, v[13:16]
.LBB438_19:
	s_or_b64 exec, exec, s[0:1]
	v_mov_b32_e32 v16, v12
	v_mov_b32_e32 v14, v10
	v_cmp_gt_u32_e32 vcc, 23, v0
	v_mov_b32_e32 v15, v11
	v_mov_b32_e32 v13, v9
	s_waitcnt lgkmcnt(0)
	s_barrier
	s_and_saveexec_b64 s[0:1], vcc
	s_cbranch_execz .LBB438_21
; %bb.20:
	s_movk_i32 s2, 0x160
	v_mad_u32_u24 v18, v0, s2, v17
	ds_read_b128 v[13:16], v18
	ds_read_b128 v[18:21], v18 offset:16
	s_waitcnt lgkmcnt(0)
	v_add_f64 v[13:14], v[18:19], v[13:14]
	v_add_f64 v[15:16], v[20:21], v[15:16]
.LBB438_21:
	s_or_b64 exec, exec, s[0:1]
	s_branch .LBB438_34
.LBB438_22:
                                        ; implicit-def: $vgpr15_vgpr16
                                        ; implicit-def: $vgpr13_vgpr14
	s_cbranch_execz .LBB438_34
; %bb.23:
	s_movk_i32 s0, 0xa1
	v_cmp_gt_u32_e32 vcc, s0, v0
	s_and_saveexec_b64 s[0:1], vcc
	s_cbranch_execz .LBB438_25
; %bb.24:
	ds_read_b128 v[13:16], v17 offset:5888
	ds_read_b128 v[18:21], v17
	s_waitcnt lgkmcnt(0)
	v_add_f64 v[13:14], v[13:14], v[18:19]
	v_add_f64 v[15:16], v[15:16], v[20:21]
	ds_write_b128 v17, v[13:16]
.LBB438_25:
	s_or_b64 exec, exec, s[0:1]
	s_movk_i32 s0, 0xb8
	v_cmp_gt_u32_e32 vcc, s0, v0
	s_waitcnt lgkmcnt(0)
	s_barrier
	s_and_saveexec_b64 s[0:1], vcc
	s_cbranch_execz .LBB438_27
; %bb.26:
	ds_read_b128 v[13:16], v17 offset:2944
	ds_read_b128 v[18:21], v17
	s_waitcnt lgkmcnt(0)
	v_add_f64 v[13:14], v[13:14], v[18:19]
	v_add_f64 v[15:16], v[15:16], v[20:21]
	ds_write_b128 v17, v[13:16]
.LBB438_27:
	s_or_b64 exec, exec, s[0:1]
	s_movk_i32 s0, 0x5c
	v_cmp_gt_u32_e32 vcc, s0, v0
	s_waitcnt lgkmcnt(0)
	s_barrier
	s_and_saveexec_b64 s[0:1], vcc
	s_cbranch_execz .LBB438_29
; %bb.28:
	ds_read_b128 v[13:16], v17 offset:1472
	ds_read_b128 v[18:21], v17
	s_waitcnt lgkmcnt(0)
	v_add_f64 v[13:14], v[13:14], v[18:19]
	v_add_f64 v[15:16], v[15:16], v[20:21]
	ds_write_b128 v17, v[13:16]
.LBB438_29:
	s_or_b64 exec, exec, s[0:1]
	v_cmp_gt_u32_e32 vcc, 46, v0
	s_waitcnt lgkmcnt(0)
	s_barrier
	s_and_saveexec_b64 s[0:1], vcc
	s_cbranch_execz .LBB438_31
; %bb.30:
	ds_read_b128 v[13:16], v17 offset:736
	ds_read_b128 v[18:21], v17
	s_waitcnt lgkmcnt(0)
	v_add_f64 v[13:14], v[13:14], v[18:19]
	v_add_f64 v[15:16], v[15:16], v[20:21]
	ds_write_b128 v17, v[13:16]
.LBB438_31:
	s_or_b64 exec, exec, s[0:1]
	v_cmp_gt_u32_e32 vcc, 23, v0
	s_waitcnt lgkmcnt(0)
	s_and_saveexec_b64 s[0:1], vcc
	s_cbranch_execz .LBB438_33
; %bb.32:
	ds_read_b128 v[9:12], v17 offset:368
	ds_read_b128 v[13:16], v17
	s_waitcnt lgkmcnt(0)
	v_add_f64 v[9:10], v[9:10], v[13:14]
	v_add_f64 v[11:12], v[11:12], v[15:16]
.LBB438_33:
	s_or_b64 exec, exec, s[0:1]
	v_mov_b32_e32 v16, v12
	v_mov_b32_e32 v14, v10
	;; [unrolled: 1-line block ×4, first 2 shown]
.LBB438_34:
	v_cmp_gt_u32_e32 vcc, 23, v0
	s_and_b64 exec, exec, vcc
	s_cbranch_execz .LBB438_39
; %bb.35:
	v_mul_f64 v[9:10], v[15:16], -v[7:8]
	v_mul_f64 v[11:12], v[5:6], v[15:16]
	v_cmp_eq_f64_e32 vcc, 0, v[1:2]
	v_cmp_eq_f64_e64 s[0:1], 0, v[3:4]
	v_fma_f64 v[5:6], v[5:6], v[13:14], v[9:10]
	v_fma_f64 v[7:8], v[7:8], v[13:14], v[11:12]
	s_and_b64 s[0:1], vcc, s[0:1]
	s_and_saveexec_b64 s[2:3], s[0:1]
	s_xor_b64 s[0:1], exec, s[2:3]
	s_cbranch_execz .LBB438_37
; %bb.36:
	v_mad_u64_u32 v[0:1], s[2:3], s6, 23, v[0:1]
	v_mov_b32_e32 v1, 0
	v_mov_b32_e32 v2, s13
	v_lshlrev_b64 v[0:1], 4, v[0:1]
	v_add_co_u32_e32 v0, vcc, s12, v0
	v_addc_co_u32_e32 v1, vcc, v2, v1, vcc
	global_store_dwordx4 v[0:1], v[5:8], off
                                        ; implicit-def: $vgpr0
                                        ; implicit-def: $vgpr1_vgpr2
                                        ; implicit-def: $vgpr5_vgpr6
.LBB438_37:
	s_andn2_saveexec_b64 s[0:1], s[0:1]
	s_cbranch_execz .LBB438_39
; %bb.38:
	v_mad_u64_u32 v[9:10], s[0:1], s6, 23, v[0:1]
	v_mov_b32_e32 v10, 0
	v_mov_b32_e32 v0, s13
	v_lshlrev_b64 v[9:10], 4, v[9:10]
	v_add_co_u32_e32 v13, vcc, s12, v9
	v_addc_co_u32_e32 v14, vcc, v0, v10, vcc
	global_load_dwordx4 v[9:12], v[13:14], off
	s_waitcnt vmcnt(0)
	v_fma_f64 v[5:6], v[1:2], v[9:10], v[5:6]
	v_fma_f64 v[7:8], v[3:4], v[9:10], v[7:8]
	v_fma_f64 v[3:4], -v[3:4], v[11:12], v[5:6]
	v_fma_f64 v[5:6], v[1:2], v[11:12], v[7:8]
	global_store_dwordx4 v[13:14], v[3:6], off
.LBB438_39:
	s_endpgm
	.section	.rodata,"a",@progbits
	.p2align	6, 0x0
	.amdhsa_kernel _ZN9rocsparseL20bsrxmvn_17_32_kernelILj23E21rocsparse_complex_numIdEiidS2_S2_EEvT2_20rocsparse_direction_NS_24const_host_device_scalarIT0_EES3_PKS3_PKT1_SC_S9_PKT3_PKT4_S7_PT5_21rocsparse_index_base_b
		.amdhsa_group_segment_fixed_size 8464
		.amdhsa_private_segment_fixed_size 0
		.amdhsa_kernarg_size 112
		.amdhsa_user_sgpr_count 6
		.amdhsa_user_sgpr_private_segment_buffer 1
		.amdhsa_user_sgpr_dispatch_ptr 0
		.amdhsa_user_sgpr_queue_ptr 0
		.amdhsa_user_sgpr_kernarg_segment_ptr 1
		.amdhsa_user_sgpr_dispatch_id 0
		.amdhsa_user_sgpr_flat_scratch_init 0
		.amdhsa_user_sgpr_private_segment_size 0
		.amdhsa_uses_dynamic_stack 0
		.amdhsa_system_sgpr_private_segment_wavefront_offset 0
		.amdhsa_system_sgpr_workgroup_id_x 1
		.amdhsa_system_sgpr_workgroup_id_y 0
		.amdhsa_system_sgpr_workgroup_id_z 0
		.amdhsa_system_sgpr_workgroup_info 0
		.amdhsa_system_vgpr_workitem_id 0
		.amdhsa_next_free_vgpr 26
		.amdhsa_next_free_sgpr 61
		.amdhsa_reserve_vcc 1
		.amdhsa_reserve_flat_scratch 0
		.amdhsa_float_round_mode_32 0
		.amdhsa_float_round_mode_16_64 0
		.amdhsa_float_denorm_mode_32 3
		.amdhsa_float_denorm_mode_16_64 3
		.amdhsa_dx10_clamp 1
		.amdhsa_ieee_mode 1
		.amdhsa_fp16_overflow 0
		.amdhsa_exception_fp_ieee_invalid_op 0
		.amdhsa_exception_fp_denorm_src 0
		.amdhsa_exception_fp_ieee_div_zero 0
		.amdhsa_exception_fp_ieee_overflow 0
		.amdhsa_exception_fp_ieee_underflow 0
		.amdhsa_exception_fp_ieee_inexact 0
		.amdhsa_exception_int_div_zero 0
	.end_amdhsa_kernel
	.section	.text._ZN9rocsparseL20bsrxmvn_17_32_kernelILj23E21rocsparse_complex_numIdEiidS2_S2_EEvT2_20rocsparse_direction_NS_24const_host_device_scalarIT0_EES3_PKS3_PKT1_SC_S9_PKT3_PKT4_S7_PT5_21rocsparse_index_base_b,"axG",@progbits,_ZN9rocsparseL20bsrxmvn_17_32_kernelILj23E21rocsparse_complex_numIdEiidS2_S2_EEvT2_20rocsparse_direction_NS_24const_host_device_scalarIT0_EES3_PKS3_PKT1_SC_S9_PKT3_PKT4_S7_PT5_21rocsparse_index_base_b,comdat
.Lfunc_end438:
	.size	_ZN9rocsparseL20bsrxmvn_17_32_kernelILj23E21rocsparse_complex_numIdEiidS2_S2_EEvT2_20rocsparse_direction_NS_24const_host_device_scalarIT0_EES3_PKS3_PKT1_SC_S9_PKT3_PKT4_S7_PT5_21rocsparse_index_base_b, .Lfunc_end438-_ZN9rocsparseL20bsrxmvn_17_32_kernelILj23E21rocsparse_complex_numIdEiidS2_S2_EEvT2_20rocsparse_direction_NS_24const_host_device_scalarIT0_EES3_PKS3_PKT1_SC_S9_PKT3_PKT4_S7_PT5_21rocsparse_index_base_b
                                        ; -- End function
	.set _ZN9rocsparseL20bsrxmvn_17_32_kernelILj23E21rocsparse_complex_numIdEiidS2_S2_EEvT2_20rocsparse_direction_NS_24const_host_device_scalarIT0_EES3_PKS3_PKT1_SC_S9_PKT3_PKT4_S7_PT5_21rocsparse_index_base_b.num_vgpr, 26
	.set _ZN9rocsparseL20bsrxmvn_17_32_kernelILj23E21rocsparse_complex_numIdEiidS2_S2_EEvT2_20rocsparse_direction_NS_24const_host_device_scalarIT0_EES3_PKS3_PKT1_SC_S9_PKT3_PKT4_S7_PT5_21rocsparse_index_base_b.num_agpr, 0
	.set _ZN9rocsparseL20bsrxmvn_17_32_kernelILj23E21rocsparse_complex_numIdEiidS2_S2_EEvT2_20rocsparse_direction_NS_24const_host_device_scalarIT0_EES3_PKS3_PKT1_SC_S9_PKT3_PKT4_S7_PT5_21rocsparse_index_base_b.numbered_sgpr, 18
	.set _ZN9rocsparseL20bsrxmvn_17_32_kernelILj23E21rocsparse_complex_numIdEiidS2_S2_EEvT2_20rocsparse_direction_NS_24const_host_device_scalarIT0_EES3_PKS3_PKT1_SC_S9_PKT3_PKT4_S7_PT5_21rocsparse_index_base_b.num_named_barrier, 0
	.set _ZN9rocsparseL20bsrxmvn_17_32_kernelILj23E21rocsparse_complex_numIdEiidS2_S2_EEvT2_20rocsparse_direction_NS_24const_host_device_scalarIT0_EES3_PKS3_PKT1_SC_S9_PKT3_PKT4_S7_PT5_21rocsparse_index_base_b.private_seg_size, 0
	.set _ZN9rocsparseL20bsrxmvn_17_32_kernelILj23E21rocsparse_complex_numIdEiidS2_S2_EEvT2_20rocsparse_direction_NS_24const_host_device_scalarIT0_EES3_PKS3_PKT1_SC_S9_PKT3_PKT4_S7_PT5_21rocsparse_index_base_b.uses_vcc, 1
	.set _ZN9rocsparseL20bsrxmvn_17_32_kernelILj23E21rocsparse_complex_numIdEiidS2_S2_EEvT2_20rocsparse_direction_NS_24const_host_device_scalarIT0_EES3_PKS3_PKT1_SC_S9_PKT3_PKT4_S7_PT5_21rocsparse_index_base_b.uses_flat_scratch, 0
	.set _ZN9rocsparseL20bsrxmvn_17_32_kernelILj23E21rocsparse_complex_numIdEiidS2_S2_EEvT2_20rocsparse_direction_NS_24const_host_device_scalarIT0_EES3_PKS3_PKT1_SC_S9_PKT3_PKT4_S7_PT5_21rocsparse_index_base_b.has_dyn_sized_stack, 0
	.set _ZN9rocsparseL20bsrxmvn_17_32_kernelILj23E21rocsparse_complex_numIdEiidS2_S2_EEvT2_20rocsparse_direction_NS_24const_host_device_scalarIT0_EES3_PKS3_PKT1_SC_S9_PKT3_PKT4_S7_PT5_21rocsparse_index_base_b.has_recursion, 0
	.set _ZN9rocsparseL20bsrxmvn_17_32_kernelILj23E21rocsparse_complex_numIdEiidS2_S2_EEvT2_20rocsparse_direction_NS_24const_host_device_scalarIT0_EES3_PKS3_PKT1_SC_S9_PKT3_PKT4_S7_PT5_21rocsparse_index_base_b.has_indirect_call, 0
	.section	.AMDGPU.csdata,"",@progbits
; Kernel info:
; codeLenInByte = 1652
; TotalNumSgprs: 22
; NumVgprs: 26
; ScratchSize: 0
; MemoryBound: 0
; FloatMode: 240
; IeeeMode: 1
; LDSByteSize: 8464 bytes/workgroup (compile time only)
; SGPRBlocks: 8
; VGPRBlocks: 6
; NumSGPRsForWavesPerEU: 65
; NumVGPRsForWavesPerEU: 26
; Occupancy: 9
; WaveLimiterHint : 1
; COMPUTE_PGM_RSRC2:SCRATCH_EN: 0
; COMPUTE_PGM_RSRC2:USER_SGPR: 6
; COMPUTE_PGM_RSRC2:TRAP_HANDLER: 0
; COMPUTE_PGM_RSRC2:TGID_X_EN: 1
; COMPUTE_PGM_RSRC2:TGID_Y_EN: 0
; COMPUTE_PGM_RSRC2:TGID_Z_EN: 0
; COMPUTE_PGM_RSRC2:TIDIG_COMP_CNT: 0
	.section	.text._ZN9rocsparseL20bsrxmvn_17_32_kernelILj24E21rocsparse_complex_numIdEiidS2_S2_EEvT2_20rocsparse_direction_NS_24const_host_device_scalarIT0_EES3_PKS3_PKT1_SC_S9_PKT3_PKT4_S7_PT5_21rocsparse_index_base_b,"axG",@progbits,_ZN9rocsparseL20bsrxmvn_17_32_kernelILj24E21rocsparse_complex_numIdEiidS2_S2_EEvT2_20rocsparse_direction_NS_24const_host_device_scalarIT0_EES3_PKS3_PKT1_SC_S9_PKT3_PKT4_S7_PT5_21rocsparse_index_base_b,comdat
	.globl	_ZN9rocsparseL20bsrxmvn_17_32_kernelILj24E21rocsparse_complex_numIdEiidS2_S2_EEvT2_20rocsparse_direction_NS_24const_host_device_scalarIT0_EES3_PKS3_PKT1_SC_S9_PKT3_PKT4_S7_PT5_21rocsparse_index_base_b ; -- Begin function _ZN9rocsparseL20bsrxmvn_17_32_kernelILj24E21rocsparse_complex_numIdEiidS2_S2_EEvT2_20rocsparse_direction_NS_24const_host_device_scalarIT0_EES3_PKS3_PKT1_SC_S9_PKT3_PKT4_S7_PT5_21rocsparse_index_base_b
	.p2align	8
	.type	_ZN9rocsparseL20bsrxmvn_17_32_kernelILj24E21rocsparse_complex_numIdEiidS2_S2_EEvT2_20rocsparse_direction_NS_24const_host_device_scalarIT0_EES3_PKS3_PKT1_SC_S9_PKT3_PKT4_S7_PT5_21rocsparse_index_base_b,@function
_ZN9rocsparseL20bsrxmvn_17_32_kernelILj24E21rocsparse_complex_numIdEiidS2_S2_EEvT2_20rocsparse_direction_NS_24const_host_device_scalarIT0_EES3_PKS3_PKT1_SC_S9_PKT3_PKT4_S7_PT5_21rocsparse_index_base_b: ; @_ZN9rocsparseL20bsrxmvn_17_32_kernelILj24E21rocsparse_complex_numIdEiidS2_S2_EEvT2_20rocsparse_direction_NS_24const_host_device_scalarIT0_EES3_PKS3_PKT1_SC_S9_PKT3_PKT4_S7_PT5_21rocsparse_index_base_b
; %bb.0:
	s_load_dwordx2 s[0:1], s[4:5], 0x8
	s_load_dwordx2 s[14:15], s[4:5], 0x68
	s_add_u32 s7, s4, 8
	s_addc_u32 s8, s5, 0
	s_add_u32 s9, s4, 0x50
	s_addc_u32 s10, s5, 0
	s_waitcnt lgkmcnt(0)
	s_bitcmp1_b32 s15, 0
	s_cselect_b32 s1, s8, s1
	s_cselect_b32 s0, s7, s0
	v_mov_b32_e32 v1, s0
	v_mov_b32_e32 v2, s1
	flat_load_dwordx4 v[5:8], v[1:2]
	s_load_dwordx2 s[2:3], s[4:5], 0x50
	s_waitcnt lgkmcnt(0)
	s_cselect_b32 s0, s10, s3
	s_cselect_b32 s1, s9, s2
	v_mov_b32_e32 v1, s1
	v_mov_b32_e32 v2, s0
	flat_load_dwordx4 v[1:4], v[1:2]
	s_waitcnt vmcnt(0)
	v_cmp_eq_f64_e32 vcc, 0, v[5:6]
	v_cmp_eq_f64_e64 s[0:1], 0, v[7:8]
	s_and_b64 s[8:9], vcc, s[0:1]
	s_mov_b64 s[0:1], -1
	s_and_saveexec_b64 s[2:3], s[8:9]
	s_cbranch_execz .LBB439_2
; %bb.1:
	s_waitcnt lgkmcnt(0)
	v_cmp_neq_f64_e32 vcc, 1.0, v[1:2]
	v_cmp_neq_f64_e64 s[0:1], 0, v[3:4]
	s_or_b64 s[0:1], vcc, s[0:1]
	s_orn2_b64 s[0:1], s[0:1], exec
.LBB439_2:
	s_or_b64 exec, exec, s[2:3]
	s_and_saveexec_b64 s[2:3], s[0:1]
	s_cbranch_execz .LBB439_39
; %bb.3:
	s_load_dwordx4 s[0:3], s[4:5], 0x20
	s_load_dwordx2 s[8:9], s[4:5], 0x30
	s_waitcnt lgkmcnt(0)
	s_cmp_eq_u64 s[0:1], 0
	s_cbranch_scc1 .LBB439_5
; %bb.4:
	s_ashr_i32 s7, s6, 31
	s_lshl_b64 s[6:7], s[6:7], 2
	s_add_u32 s0, s0, s6
	s_addc_u32 s1, s1, s7
	s_load_dword s0, s[0:1], 0x0
	s_waitcnt lgkmcnt(0)
	s_sub_i32 s6, s0, s14
.LBB439_5:
	s_load_dword s0, s[4:5], 0x4
	s_load_dwordx2 s[12:13], s[4:5], 0x60
	v_mul_u32_u24_e32 v13, 0xaab, v0
	v_mov_b32_e32 v9, 24
	v_mul_lo_u16_sdwa v14, v13, v9 dst_sel:DWORD dst_unused:UNUSED_PAD src0_sel:WORD_1 src1_sel:DWORD
	s_waitcnt lgkmcnt(0)
	s_cmp_eq_u32 s0, 1
	s_cselect_b64 vcc, -1, 0
	s_cmp_lg_u32 s0, 1
	s_cselect_b64 s[16:17], -1, 0
	s_ashr_i32 s7, s6, 31
	s_lshl_b64 s[0:1], s[6:7], 2
	s_add_u32 s2, s2, s0
	s_addc_u32 s3, s3, s1
	s_load_dword s15, s[2:3], 0x0
	s_add_u32 s2, s2, 4
	s_addc_u32 s3, s3, 0
	s_add_u32 s0, s8, s0
	s_addc_u32 s1, s9, s1
	s_cmp_eq_u64 s[8:9], 0
	s_cselect_b32 s1, s3, s1
	s_cselect_b32 s0, s2, s0
	s_load_dword s0, s[0:1], 0x0
	v_mov_b32_e32 v11, 0
	v_mov_b32_e32 v9, 0
	;; [unrolled: 1-line block ×4, first 2 shown]
	s_waitcnt lgkmcnt(0)
	s_cmp_ge_i32 s15, s0
	v_sub_u16_e32 v18, v0, v14
	s_cbranch_scc1 .LBB439_10
; %bb.6:
	s_load_dwordx2 s[2:3], s[4:5], 0x48
	s_load_dwordx4 s[8:11], s[4:5], 0x38
	s_sub_i32 s7, s0, s14
	s_mov_b32 s0, 0xffff
	s_movk_i32 s1, 0x240
	v_and_b32_sdwa v9, s0, v13 dst_sel:DWORD dst_unused:UNUSED_PAD src0_sel:DWORD src1_sel:WORD_1
	v_subrev_u32_e32 v10, 24, v9
	v_cmp_gt_u32_e64 s[0:1], s1, v0
	s_sub_i32 s15, s15, s14
	v_cndmask_b32_e64 v9, v10, v9, s[0:1]
	s_mul_i32 s1, s15, 0x1200
	s_mul_hi_i32 s0, s15, 0x1200
	s_waitcnt lgkmcnt(0)
	s_add_u32 s1, s10, s1
	v_cndmask_b32_e32 v13, v18, v9, vcc
	s_addc_u32 s0, s11, s0
	v_lshlrev_b32_e32 v9, 3, v0
	v_mov_b32_e32 v10, s0
	v_add_co_u32_e32 v14, vcc, s1, v9
	v_addc_co_u32_e32 v15, vcc, 0, v10, vcc
	s_movk_i32 s0, 0x23f
	v_mov_b32_e32 v11, 0
	v_cmp_lt_u32_e32 vcc, s0, v0
	v_mov_b32_e32 v12, 0
	s_mov_b32 s0, 0
	v_mov_b32_e32 v9, v11
	v_cndmask_b32_e64 v19, 0, 1, vcc
	s_brev_b32 s1, 1
	v_mov_b32_e32 v10, v12
	s_branch .LBB439_8
.LBB439_7:                              ;   in Loop: Header=BB439_8 Depth=1
	s_or_b64 exec, exec, s[4:5]
	s_add_i32 s15, s15, 1
	s_cmp_lt_i32 s15, s7
	s_cbranch_scc0 .LBB439_10
.LBB439_8:                              ; =>This Inner Loop Header: Depth=1
	v_add_u32_e32 v16, s15, v19
	v_cmp_gt_i32_e32 vcc, s7, v16
	s_and_saveexec_b64 s[4:5], vcc
	s_cbranch_execz .LBB439_7
; %bb.9:                                ;   in Loop: Header=BB439_8 Depth=1
	v_ashrrev_i32_e32 v17, 31, v16
	v_lshlrev_b64 v[16:17], 2, v[16:17]
	v_mov_b32_e32 v20, s9
	v_add_co_u32_e32 v16, vcc, s8, v16
	v_addc_co_u32_e32 v17, vcc, v20, v17, vcc
	global_load_dword v16, v[16:17], off
	v_mov_b32_e32 v20, s3
	global_load_dwordx2 v[24:25], v[14:15], off
	s_waitcnt vmcnt(1)
	v_subrev_u32_e32 v16, s14, v16
	v_mad_u64_u32 v[16:17], s[10:11], v16, 24, v[13:14]
	v_ashrrev_i32_e32 v17, 31, v16
	v_lshlrev_b64 v[16:17], 4, v[16:17]
	v_add_co_u32_e32 v16, vcc, s2, v16
	v_addc_co_u32_e32 v17, vcc, v20, v17, vcc
	global_load_dwordx4 v[20:23], v[16:17], off
	v_add_co_u32_e32 v14, vcc, 0x1200, v14
	v_addc_co_u32_e32 v15, vcc, 0, v15, vcc
	s_waitcnt vmcnt(0)
	v_fma_f64 v[9:10], v[24:25], v[20:21], v[9:10]
	v_fma_f64 v[11:12], v[20:21], 0, v[11:12]
	;; [unrolled: 1-line block ×4, first 2 shown]
	s_branch .LBB439_7
.LBB439_10:
	v_lshlrev_b32_e32 v17, 4, v0
	s_and_b64 vcc, exec, s[16:17]
	ds_write_b128 v17, v[9:12]
	s_waitcnt lgkmcnt(0)
	s_barrier
	s_cbranch_vccz .LBB439_22
; %bb.11:
	v_cmp_gt_u16_e32 vcc, 8, v18
	s_and_saveexec_b64 s[0:1], vcc
	s_cbranch_execz .LBB439_13
; %bb.12:
	ds_read_b128 v[13:16], v17 offset:256
	ds_read_b128 v[19:22], v17
	s_waitcnt lgkmcnt(0)
	v_add_f64 v[13:14], v[13:14], v[19:20]
	v_add_f64 v[15:16], v[15:16], v[21:22]
	ds_write_b128 v17, v[13:16]
.LBB439_13:
	s_or_b64 exec, exec, s[0:1]
	s_waitcnt lgkmcnt(0)
	s_barrier
	s_and_saveexec_b64 s[0:1], vcc
	s_cbranch_execz .LBB439_15
; %bb.14:
	ds_read_b128 v[13:16], v17 offset:128
	ds_read_b128 v[19:22], v17
	s_waitcnt lgkmcnt(0)
	v_add_f64 v[13:14], v[13:14], v[19:20]
	v_add_f64 v[15:16], v[15:16], v[21:22]
	ds_write_b128 v17, v[13:16]
.LBB439_15:
	s_or_b64 exec, exec, s[0:1]
	v_cmp_gt_u16_e32 vcc, 4, v18
	s_waitcnt lgkmcnt(0)
	s_barrier
	s_and_saveexec_b64 s[0:1], vcc
	s_cbranch_execz .LBB439_17
; %bb.16:
	ds_read_b128 v[13:16], v17 offset:64
	ds_read_b128 v[19:22], v17
	s_waitcnt lgkmcnt(0)
	v_add_f64 v[13:14], v[13:14], v[19:20]
	v_add_f64 v[15:16], v[15:16], v[21:22]
	ds_write_b128 v17, v[13:16]
.LBB439_17:
	s_or_b64 exec, exec, s[0:1]
	v_cmp_gt_u16_e32 vcc, 2, v18
	s_waitcnt lgkmcnt(0)
	s_barrier
	s_and_saveexec_b64 s[0:1], vcc
	s_cbranch_execz .LBB439_19
; %bb.18:
	ds_read_b128 v[13:16], v17
	ds_read_b128 v[18:21], v17 offset:32
	s_waitcnt lgkmcnt(0)
	v_add_f64 v[13:14], v[18:19], v[13:14]
	v_add_f64 v[15:16], v[20:21], v[15:16]
	ds_write_b128 v17, v[13:16]
.LBB439_19:
	s_or_b64 exec, exec, s[0:1]
	v_mov_b32_e32 v16, v12
	v_mov_b32_e32 v14, v10
	v_cmp_gt_u32_e32 vcc, 24, v0
	v_mov_b32_e32 v15, v11
	v_mov_b32_e32 v13, v9
	s_waitcnt lgkmcnt(0)
	s_barrier
	s_and_saveexec_b64 s[0:1], vcc
	s_cbranch_execz .LBB439_21
; %bb.20:
	s_movk_i32 s2, 0x170
	v_mad_u32_u24 v18, v0, s2, v17
	ds_read_b128 v[13:16], v18
	ds_read_b128 v[18:21], v18 offset:16
	s_waitcnt lgkmcnt(0)
	v_add_f64 v[13:14], v[18:19], v[13:14]
	v_add_f64 v[15:16], v[20:21], v[15:16]
.LBB439_21:
	s_or_b64 exec, exec, s[0:1]
	s_branch .LBB439_34
.LBB439_22:
                                        ; implicit-def: $vgpr15_vgpr16
                                        ; implicit-def: $vgpr13_vgpr14
	s_cbranch_execz .LBB439_34
; %bb.23:
	s_movk_i32 s0, 0xc0
	v_cmp_gt_u32_e32 vcc, s0, v0
	s_and_saveexec_b64 s[0:1], vcc
	s_cbranch_execz .LBB439_25
; %bb.24:
	ds_read_b128 v[13:16], v17 offset:6144
	ds_read_b128 v[18:21], v17
	s_waitcnt lgkmcnt(0)
	v_add_f64 v[13:14], v[13:14], v[18:19]
	v_add_f64 v[15:16], v[15:16], v[20:21]
	ds_write_b128 v17, v[13:16]
.LBB439_25:
	s_or_b64 exec, exec, s[0:1]
	s_waitcnt lgkmcnt(0)
	s_barrier
	s_and_saveexec_b64 s[0:1], vcc
	s_cbranch_execz .LBB439_27
; %bb.26:
	ds_read_b128 v[13:16], v17 offset:3072
	ds_read_b128 v[18:21], v17
	s_waitcnt lgkmcnt(0)
	v_add_f64 v[13:14], v[13:14], v[18:19]
	v_add_f64 v[15:16], v[15:16], v[20:21]
	ds_write_b128 v17, v[13:16]
.LBB439_27:
	s_or_b64 exec, exec, s[0:1]
	s_movk_i32 s0, 0x60
	v_cmp_gt_u32_e32 vcc, s0, v0
	s_waitcnt lgkmcnt(0)
	s_barrier
	s_and_saveexec_b64 s[0:1], vcc
	s_cbranch_execz .LBB439_29
; %bb.28:
	ds_read_b128 v[13:16], v17 offset:1536
	ds_read_b128 v[18:21], v17
	s_waitcnt lgkmcnt(0)
	v_add_f64 v[13:14], v[13:14], v[18:19]
	v_add_f64 v[15:16], v[15:16], v[20:21]
	ds_write_b128 v17, v[13:16]
.LBB439_29:
	s_or_b64 exec, exec, s[0:1]
	v_cmp_gt_u32_e32 vcc, 48, v0
	s_waitcnt lgkmcnt(0)
	s_barrier
	s_and_saveexec_b64 s[0:1], vcc
	s_cbranch_execz .LBB439_31
; %bb.30:
	ds_read_b128 v[13:16], v17 offset:768
	ds_read_b128 v[18:21], v17
	s_waitcnt lgkmcnt(0)
	v_add_f64 v[13:14], v[13:14], v[18:19]
	v_add_f64 v[15:16], v[15:16], v[20:21]
	ds_write_b128 v17, v[13:16]
.LBB439_31:
	s_or_b64 exec, exec, s[0:1]
	v_cmp_gt_u32_e32 vcc, 24, v0
	s_waitcnt lgkmcnt(0)
	s_and_saveexec_b64 s[0:1], vcc
	s_cbranch_execz .LBB439_33
; %bb.32:
	ds_read_b128 v[9:12], v17 offset:384
	ds_read_b128 v[13:16], v17
	s_waitcnt lgkmcnt(0)
	v_add_f64 v[9:10], v[9:10], v[13:14]
	v_add_f64 v[11:12], v[11:12], v[15:16]
.LBB439_33:
	s_or_b64 exec, exec, s[0:1]
	v_mov_b32_e32 v16, v12
	v_mov_b32_e32 v14, v10
	;; [unrolled: 1-line block ×4, first 2 shown]
.LBB439_34:
	v_cmp_gt_u32_e32 vcc, 24, v0
	s_and_b64 exec, exec, vcc
	s_cbranch_execz .LBB439_39
; %bb.35:
	v_mul_f64 v[9:10], v[15:16], -v[7:8]
	v_mul_f64 v[11:12], v[5:6], v[15:16]
	v_cmp_eq_f64_e32 vcc, 0, v[1:2]
	v_cmp_eq_f64_e64 s[0:1], 0, v[3:4]
	v_fma_f64 v[5:6], v[5:6], v[13:14], v[9:10]
	v_fma_f64 v[7:8], v[7:8], v[13:14], v[11:12]
	s_and_b64 s[0:1], vcc, s[0:1]
	s_and_saveexec_b64 s[2:3], s[0:1]
	s_xor_b64 s[0:1], exec, s[2:3]
	s_cbranch_execz .LBB439_37
; %bb.36:
	v_mad_u64_u32 v[0:1], s[2:3], s6, 24, v[0:1]
	v_mov_b32_e32 v1, 0
	v_mov_b32_e32 v2, s13
	v_lshlrev_b64 v[0:1], 4, v[0:1]
	v_add_co_u32_e32 v0, vcc, s12, v0
	v_addc_co_u32_e32 v1, vcc, v2, v1, vcc
	global_store_dwordx4 v[0:1], v[5:8], off
                                        ; implicit-def: $vgpr0
                                        ; implicit-def: $vgpr1_vgpr2
                                        ; implicit-def: $vgpr5_vgpr6
.LBB439_37:
	s_andn2_saveexec_b64 s[0:1], s[0:1]
	s_cbranch_execz .LBB439_39
; %bb.38:
	v_mad_u64_u32 v[9:10], s[0:1], s6, 24, v[0:1]
	v_mov_b32_e32 v10, 0
	v_mov_b32_e32 v0, s13
	v_lshlrev_b64 v[9:10], 4, v[9:10]
	v_add_co_u32_e32 v13, vcc, s12, v9
	v_addc_co_u32_e32 v14, vcc, v0, v10, vcc
	global_load_dwordx4 v[9:12], v[13:14], off
	s_waitcnt vmcnt(0)
	v_fma_f64 v[5:6], v[1:2], v[9:10], v[5:6]
	v_fma_f64 v[7:8], v[3:4], v[9:10], v[7:8]
	v_fma_f64 v[3:4], -v[3:4], v[11:12], v[5:6]
	v_fma_f64 v[5:6], v[1:2], v[11:12], v[7:8]
	global_store_dwordx4 v[13:14], v[3:6], off
.LBB439_39:
	s_endpgm
	.section	.rodata,"a",@progbits
	.p2align	6, 0x0
	.amdhsa_kernel _ZN9rocsparseL20bsrxmvn_17_32_kernelILj24E21rocsparse_complex_numIdEiidS2_S2_EEvT2_20rocsparse_direction_NS_24const_host_device_scalarIT0_EES3_PKS3_PKT1_SC_S9_PKT3_PKT4_S7_PT5_21rocsparse_index_base_b
		.amdhsa_group_segment_fixed_size 9216
		.amdhsa_private_segment_fixed_size 0
		.amdhsa_kernarg_size 112
		.amdhsa_user_sgpr_count 6
		.amdhsa_user_sgpr_private_segment_buffer 1
		.amdhsa_user_sgpr_dispatch_ptr 0
		.amdhsa_user_sgpr_queue_ptr 0
		.amdhsa_user_sgpr_kernarg_segment_ptr 1
		.amdhsa_user_sgpr_dispatch_id 0
		.amdhsa_user_sgpr_flat_scratch_init 0
		.amdhsa_user_sgpr_private_segment_size 0
		.amdhsa_uses_dynamic_stack 0
		.amdhsa_system_sgpr_private_segment_wavefront_offset 0
		.amdhsa_system_sgpr_workgroup_id_x 1
		.amdhsa_system_sgpr_workgroup_id_y 0
		.amdhsa_system_sgpr_workgroup_id_z 0
		.amdhsa_system_sgpr_workgroup_info 0
		.amdhsa_system_vgpr_workitem_id 0
		.amdhsa_next_free_vgpr 26
		.amdhsa_next_free_sgpr 61
		.amdhsa_reserve_vcc 1
		.amdhsa_reserve_flat_scratch 0
		.amdhsa_float_round_mode_32 0
		.amdhsa_float_round_mode_16_64 0
		.amdhsa_float_denorm_mode_32 3
		.amdhsa_float_denorm_mode_16_64 3
		.amdhsa_dx10_clamp 1
		.amdhsa_ieee_mode 1
		.amdhsa_fp16_overflow 0
		.amdhsa_exception_fp_ieee_invalid_op 0
		.amdhsa_exception_fp_denorm_src 0
		.amdhsa_exception_fp_ieee_div_zero 0
		.amdhsa_exception_fp_ieee_overflow 0
		.amdhsa_exception_fp_ieee_underflow 0
		.amdhsa_exception_fp_ieee_inexact 0
		.amdhsa_exception_int_div_zero 0
	.end_amdhsa_kernel
	.section	.text._ZN9rocsparseL20bsrxmvn_17_32_kernelILj24E21rocsparse_complex_numIdEiidS2_S2_EEvT2_20rocsparse_direction_NS_24const_host_device_scalarIT0_EES3_PKS3_PKT1_SC_S9_PKT3_PKT4_S7_PT5_21rocsparse_index_base_b,"axG",@progbits,_ZN9rocsparseL20bsrxmvn_17_32_kernelILj24E21rocsparse_complex_numIdEiidS2_S2_EEvT2_20rocsparse_direction_NS_24const_host_device_scalarIT0_EES3_PKS3_PKT1_SC_S9_PKT3_PKT4_S7_PT5_21rocsparse_index_base_b,comdat
.Lfunc_end439:
	.size	_ZN9rocsparseL20bsrxmvn_17_32_kernelILj24E21rocsparse_complex_numIdEiidS2_S2_EEvT2_20rocsparse_direction_NS_24const_host_device_scalarIT0_EES3_PKS3_PKT1_SC_S9_PKT3_PKT4_S7_PT5_21rocsparse_index_base_b, .Lfunc_end439-_ZN9rocsparseL20bsrxmvn_17_32_kernelILj24E21rocsparse_complex_numIdEiidS2_S2_EEvT2_20rocsparse_direction_NS_24const_host_device_scalarIT0_EES3_PKS3_PKT1_SC_S9_PKT3_PKT4_S7_PT5_21rocsparse_index_base_b
                                        ; -- End function
	.set _ZN9rocsparseL20bsrxmvn_17_32_kernelILj24E21rocsparse_complex_numIdEiidS2_S2_EEvT2_20rocsparse_direction_NS_24const_host_device_scalarIT0_EES3_PKS3_PKT1_SC_S9_PKT3_PKT4_S7_PT5_21rocsparse_index_base_b.num_vgpr, 26
	.set _ZN9rocsparseL20bsrxmvn_17_32_kernelILj24E21rocsparse_complex_numIdEiidS2_S2_EEvT2_20rocsparse_direction_NS_24const_host_device_scalarIT0_EES3_PKS3_PKT1_SC_S9_PKT3_PKT4_S7_PT5_21rocsparse_index_base_b.num_agpr, 0
	.set _ZN9rocsparseL20bsrxmvn_17_32_kernelILj24E21rocsparse_complex_numIdEiidS2_S2_EEvT2_20rocsparse_direction_NS_24const_host_device_scalarIT0_EES3_PKS3_PKT1_SC_S9_PKT3_PKT4_S7_PT5_21rocsparse_index_base_b.numbered_sgpr, 18
	.set _ZN9rocsparseL20bsrxmvn_17_32_kernelILj24E21rocsparse_complex_numIdEiidS2_S2_EEvT2_20rocsparse_direction_NS_24const_host_device_scalarIT0_EES3_PKS3_PKT1_SC_S9_PKT3_PKT4_S7_PT5_21rocsparse_index_base_b.num_named_barrier, 0
	.set _ZN9rocsparseL20bsrxmvn_17_32_kernelILj24E21rocsparse_complex_numIdEiidS2_S2_EEvT2_20rocsparse_direction_NS_24const_host_device_scalarIT0_EES3_PKS3_PKT1_SC_S9_PKT3_PKT4_S7_PT5_21rocsparse_index_base_b.private_seg_size, 0
	.set _ZN9rocsparseL20bsrxmvn_17_32_kernelILj24E21rocsparse_complex_numIdEiidS2_S2_EEvT2_20rocsparse_direction_NS_24const_host_device_scalarIT0_EES3_PKS3_PKT1_SC_S9_PKT3_PKT4_S7_PT5_21rocsparse_index_base_b.uses_vcc, 1
	.set _ZN9rocsparseL20bsrxmvn_17_32_kernelILj24E21rocsparse_complex_numIdEiidS2_S2_EEvT2_20rocsparse_direction_NS_24const_host_device_scalarIT0_EES3_PKS3_PKT1_SC_S9_PKT3_PKT4_S7_PT5_21rocsparse_index_base_b.uses_flat_scratch, 0
	.set _ZN9rocsparseL20bsrxmvn_17_32_kernelILj24E21rocsparse_complex_numIdEiidS2_S2_EEvT2_20rocsparse_direction_NS_24const_host_device_scalarIT0_EES3_PKS3_PKT1_SC_S9_PKT3_PKT4_S7_PT5_21rocsparse_index_base_b.has_dyn_sized_stack, 0
	.set _ZN9rocsparseL20bsrxmvn_17_32_kernelILj24E21rocsparse_complex_numIdEiidS2_S2_EEvT2_20rocsparse_direction_NS_24const_host_device_scalarIT0_EES3_PKS3_PKT1_SC_S9_PKT3_PKT4_S7_PT5_21rocsparse_index_base_b.has_recursion, 0
	.set _ZN9rocsparseL20bsrxmvn_17_32_kernelILj24E21rocsparse_complex_numIdEiidS2_S2_EEvT2_20rocsparse_direction_NS_24const_host_device_scalarIT0_EES3_PKS3_PKT1_SC_S9_PKT3_PKT4_S7_PT5_21rocsparse_index_base_b.has_indirect_call, 0
	.section	.AMDGPU.csdata,"",@progbits
; Kernel info:
; codeLenInByte = 1640
; TotalNumSgprs: 22
; NumVgprs: 26
; ScratchSize: 0
; MemoryBound: 0
; FloatMode: 240
; IeeeMode: 1
; LDSByteSize: 9216 bytes/workgroup (compile time only)
; SGPRBlocks: 8
; VGPRBlocks: 6
; NumSGPRsForWavesPerEU: 65
; NumVGPRsForWavesPerEU: 26
; Occupancy: 9
; WaveLimiterHint : 1
; COMPUTE_PGM_RSRC2:SCRATCH_EN: 0
; COMPUTE_PGM_RSRC2:USER_SGPR: 6
; COMPUTE_PGM_RSRC2:TRAP_HANDLER: 0
; COMPUTE_PGM_RSRC2:TGID_X_EN: 1
; COMPUTE_PGM_RSRC2:TGID_Y_EN: 0
; COMPUTE_PGM_RSRC2:TGID_Z_EN: 0
; COMPUTE_PGM_RSRC2:TIDIG_COMP_CNT: 0
	.section	.text._ZN9rocsparseL20bsrxmvn_17_32_kernelILj25E21rocsparse_complex_numIdEiidS2_S2_EEvT2_20rocsparse_direction_NS_24const_host_device_scalarIT0_EES3_PKS3_PKT1_SC_S9_PKT3_PKT4_S7_PT5_21rocsparse_index_base_b,"axG",@progbits,_ZN9rocsparseL20bsrxmvn_17_32_kernelILj25E21rocsparse_complex_numIdEiidS2_S2_EEvT2_20rocsparse_direction_NS_24const_host_device_scalarIT0_EES3_PKS3_PKT1_SC_S9_PKT3_PKT4_S7_PT5_21rocsparse_index_base_b,comdat
	.globl	_ZN9rocsparseL20bsrxmvn_17_32_kernelILj25E21rocsparse_complex_numIdEiidS2_S2_EEvT2_20rocsparse_direction_NS_24const_host_device_scalarIT0_EES3_PKS3_PKT1_SC_S9_PKT3_PKT4_S7_PT5_21rocsparse_index_base_b ; -- Begin function _ZN9rocsparseL20bsrxmvn_17_32_kernelILj25E21rocsparse_complex_numIdEiidS2_S2_EEvT2_20rocsparse_direction_NS_24const_host_device_scalarIT0_EES3_PKS3_PKT1_SC_S9_PKT3_PKT4_S7_PT5_21rocsparse_index_base_b
	.p2align	8
	.type	_ZN9rocsparseL20bsrxmvn_17_32_kernelILj25E21rocsparse_complex_numIdEiidS2_S2_EEvT2_20rocsparse_direction_NS_24const_host_device_scalarIT0_EES3_PKS3_PKT1_SC_S9_PKT3_PKT4_S7_PT5_21rocsparse_index_base_b,@function
_ZN9rocsparseL20bsrxmvn_17_32_kernelILj25E21rocsparse_complex_numIdEiidS2_S2_EEvT2_20rocsparse_direction_NS_24const_host_device_scalarIT0_EES3_PKS3_PKT1_SC_S9_PKT3_PKT4_S7_PT5_21rocsparse_index_base_b: ; @_ZN9rocsparseL20bsrxmvn_17_32_kernelILj25E21rocsparse_complex_numIdEiidS2_S2_EEvT2_20rocsparse_direction_NS_24const_host_device_scalarIT0_EES3_PKS3_PKT1_SC_S9_PKT3_PKT4_S7_PT5_21rocsparse_index_base_b
; %bb.0:
	s_load_dwordx2 s[0:1], s[4:5], 0x8
	s_load_dwordx2 s[14:15], s[4:5], 0x68
	s_add_u32 s7, s4, 8
	s_addc_u32 s8, s5, 0
	s_add_u32 s9, s4, 0x50
	s_addc_u32 s10, s5, 0
	s_waitcnt lgkmcnt(0)
	s_bitcmp1_b32 s15, 0
	s_cselect_b32 s1, s8, s1
	s_cselect_b32 s0, s7, s0
	v_mov_b32_e32 v1, s0
	v_mov_b32_e32 v2, s1
	flat_load_dwordx4 v[5:8], v[1:2]
	s_load_dwordx2 s[2:3], s[4:5], 0x50
	s_waitcnt lgkmcnt(0)
	s_cselect_b32 s0, s10, s3
	s_cselect_b32 s1, s9, s2
	v_mov_b32_e32 v1, s1
	v_mov_b32_e32 v2, s0
	flat_load_dwordx4 v[1:4], v[1:2]
	s_waitcnt vmcnt(0)
	v_cmp_eq_f64_e32 vcc, 0, v[5:6]
	v_cmp_eq_f64_e64 s[0:1], 0, v[7:8]
	s_and_b64 s[8:9], vcc, s[0:1]
	s_mov_b64 s[0:1], -1
	s_and_saveexec_b64 s[2:3], s[8:9]
	s_cbranch_execz .LBB440_2
; %bb.1:
	s_waitcnt lgkmcnt(0)
	v_cmp_neq_f64_e32 vcc, 1.0, v[1:2]
	v_cmp_neq_f64_e64 s[0:1], 0, v[3:4]
	s_or_b64 s[0:1], vcc, s[0:1]
	s_orn2_b64 s[0:1], s[0:1], exec
.LBB440_2:
	s_or_b64 exec, exec, s[2:3]
	s_and_saveexec_b64 s[2:3], s[0:1]
	s_cbranch_execz .LBB440_39
; %bb.3:
	s_load_dwordx4 s[0:3], s[4:5], 0x20
	s_load_dwordx2 s[8:9], s[4:5], 0x30
	s_waitcnt lgkmcnt(0)
	s_cmp_eq_u64 s[0:1], 0
	s_cbranch_scc1 .LBB440_5
; %bb.4:
	s_ashr_i32 s7, s6, 31
	s_lshl_b64 s[6:7], s[6:7], 2
	s_add_u32 s0, s0, s6
	s_addc_u32 s1, s1, s7
	s_load_dword s0, s[0:1], 0x0
	s_waitcnt lgkmcnt(0)
	s_sub_i32 s6, s0, s14
.LBB440_5:
	s_load_dword s0, s[4:5], 0x4
	s_load_dwordx2 s[12:13], s[4:5], 0x60
	v_mul_u32_u24_e32 v13, 0xa3e, v0
	v_mov_b32_e32 v9, 25
	v_mul_lo_u16_sdwa v14, v13, v9 dst_sel:DWORD dst_unused:UNUSED_PAD src0_sel:WORD_1 src1_sel:DWORD
	s_waitcnt lgkmcnt(0)
	s_cmp_eq_u32 s0, 1
	s_cselect_b64 vcc, -1, 0
	s_cmp_lg_u32 s0, 1
	s_cselect_b64 s[16:17], -1, 0
	s_ashr_i32 s7, s6, 31
	s_lshl_b64 s[0:1], s[6:7], 2
	s_add_u32 s2, s2, s0
	s_addc_u32 s3, s3, s1
	s_load_dword s15, s[2:3], 0x0
	s_add_u32 s2, s2, 4
	s_addc_u32 s3, s3, 0
	s_add_u32 s0, s8, s0
	s_addc_u32 s1, s9, s1
	s_cmp_eq_u64 s[8:9], 0
	s_cselect_b32 s1, s3, s1
	s_cselect_b32 s0, s2, s0
	s_load_dword s0, s[0:1], 0x0
	v_mov_b32_e32 v11, 0
	v_mov_b32_e32 v9, 0
	;; [unrolled: 1-line block ×4, first 2 shown]
	s_waitcnt lgkmcnt(0)
	s_cmp_ge_i32 s15, s0
	v_sub_u16_e32 v18, v0, v14
	s_cbranch_scc1 .LBB440_10
; %bb.6:
	s_load_dwordx2 s[2:3], s[4:5], 0x48
	s_load_dwordx4 s[8:11], s[4:5], 0x38
	s_sub_i32 s7, s0, s14
	s_mov_b32 s0, 0xffff
	s_movk_i32 s1, 0x271
	v_and_b32_sdwa v9, s0, v13 dst_sel:DWORD dst_unused:UNUSED_PAD src0_sel:DWORD src1_sel:WORD_1
	v_subrev_u32_e32 v10, 25, v9
	v_cmp_gt_u32_e64 s[0:1], s1, v0
	s_sub_i32 s15, s15, s14
	v_cndmask_b32_e64 v9, v10, v9, s[0:1]
	s_mul_i32 s1, s15, 0x1388
	s_mul_hi_i32 s0, s15, 0x1388
	s_waitcnt lgkmcnt(0)
	s_add_u32 s1, s10, s1
	v_cndmask_b32_e32 v13, v18, v9, vcc
	s_addc_u32 s0, s11, s0
	v_lshlrev_b32_e32 v9, 3, v0
	v_mov_b32_e32 v10, s0
	v_add_co_u32_e32 v14, vcc, s1, v9
	v_addc_co_u32_e32 v15, vcc, 0, v10, vcc
	s_movk_i32 s0, 0x270
	v_mov_b32_e32 v11, 0
	v_cmp_lt_u32_e32 vcc, s0, v0
	v_mov_b32_e32 v12, 0
	s_mov_b32 s0, 0
	v_mov_b32_e32 v9, v11
	v_cndmask_b32_e64 v19, 0, 1, vcc
	s_brev_b32 s1, 1
	v_mov_b32_e32 v10, v12
	s_branch .LBB440_8
.LBB440_7:                              ;   in Loop: Header=BB440_8 Depth=1
	s_or_b64 exec, exec, s[4:5]
	s_add_i32 s15, s15, 1
	s_cmp_lt_i32 s15, s7
	s_cbranch_scc0 .LBB440_10
.LBB440_8:                              ; =>This Inner Loop Header: Depth=1
	v_add_u32_e32 v16, s15, v19
	v_cmp_gt_i32_e32 vcc, s7, v16
	s_and_saveexec_b64 s[4:5], vcc
	s_cbranch_execz .LBB440_7
; %bb.9:                                ;   in Loop: Header=BB440_8 Depth=1
	v_ashrrev_i32_e32 v17, 31, v16
	v_lshlrev_b64 v[16:17], 2, v[16:17]
	v_mov_b32_e32 v20, s9
	v_add_co_u32_e32 v16, vcc, s8, v16
	v_addc_co_u32_e32 v17, vcc, v20, v17, vcc
	global_load_dword v16, v[16:17], off
	v_mov_b32_e32 v20, s3
	global_load_dwordx2 v[24:25], v[14:15], off
	s_waitcnt vmcnt(1)
	v_subrev_u32_e32 v16, s14, v16
	v_mad_u64_u32 v[16:17], s[10:11], v16, 25, v[13:14]
	v_ashrrev_i32_e32 v17, 31, v16
	v_lshlrev_b64 v[16:17], 4, v[16:17]
	v_add_co_u32_e32 v16, vcc, s2, v16
	v_addc_co_u32_e32 v17, vcc, v20, v17, vcc
	global_load_dwordx4 v[20:23], v[16:17], off
	v_add_co_u32_e32 v14, vcc, 0x1388, v14
	v_addc_co_u32_e32 v15, vcc, 0, v15, vcc
	s_waitcnt vmcnt(0)
	v_fma_f64 v[9:10], v[24:25], v[20:21], v[9:10]
	v_fma_f64 v[11:12], v[20:21], 0, v[11:12]
	;; [unrolled: 1-line block ×4, first 2 shown]
	s_branch .LBB440_7
.LBB440_10:
	v_lshlrev_b32_e32 v17, 4, v0
	s_and_b64 vcc, exec, s[16:17]
	ds_write_b128 v17, v[9:12]
	s_waitcnt lgkmcnt(0)
	s_barrier
	s_cbranch_vccz .LBB440_22
; %bb.11:
	v_cmp_gt_u16_e32 vcc, 9, v18
	s_and_saveexec_b64 s[0:1], vcc
	s_cbranch_execz .LBB440_13
; %bb.12:
	ds_read_b128 v[13:16], v17 offset:256
	ds_read_b128 v[19:22], v17
	s_waitcnt lgkmcnt(0)
	v_add_f64 v[13:14], v[13:14], v[19:20]
	v_add_f64 v[15:16], v[15:16], v[21:22]
	ds_write_b128 v17, v[13:16]
.LBB440_13:
	s_or_b64 exec, exec, s[0:1]
	v_cmp_gt_u16_e32 vcc, 8, v18
	s_waitcnt lgkmcnt(0)
	s_barrier
	s_and_saveexec_b64 s[0:1], vcc
	s_cbranch_execz .LBB440_15
; %bb.14:
	ds_read_b128 v[13:16], v17 offset:128
	ds_read_b128 v[19:22], v17
	s_waitcnt lgkmcnt(0)
	v_add_f64 v[13:14], v[13:14], v[19:20]
	v_add_f64 v[15:16], v[15:16], v[21:22]
	ds_write_b128 v17, v[13:16]
.LBB440_15:
	s_or_b64 exec, exec, s[0:1]
	v_cmp_gt_u16_e32 vcc, 4, v18
	s_waitcnt lgkmcnt(0)
	s_barrier
	;; [unrolled: 14-line block ×3, first 2 shown]
	s_and_saveexec_b64 s[0:1], vcc
	s_cbranch_execz .LBB440_19
; %bb.18:
	ds_read_b128 v[13:16], v17
	ds_read_b128 v[18:21], v17 offset:32
	s_waitcnt lgkmcnt(0)
	v_add_f64 v[13:14], v[18:19], v[13:14]
	v_add_f64 v[15:16], v[20:21], v[15:16]
	ds_write_b128 v17, v[13:16]
.LBB440_19:
	s_or_b64 exec, exec, s[0:1]
	v_mov_b32_e32 v16, v12
	v_mov_b32_e32 v14, v10
	v_cmp_gt_u32_e32 vcc, 25, v0
	v_mov_b32_e32 v15, v11
	v_mov_b32_e32 v13, v9
	s_waitcnt lgkmcnt(0)
	s_barrier
	s_and_saveexec_b64 s[0:1], vcc
	s_cbranch_execz .LBB440_21
; %bb.20:
	s_movk_i32 s2, 0x180
	v_mad_u32_u24 v18, v0, s2, v17
	ds_read_b128 v[13:16], v18
	ds_read_b128 v[18:21], v18 offset:16
	s_waitcnt lgkmcnt(0)
	v_add_f64 v[13:14], v[18:19], v[13:14]
	v_add_f64 v[15:16], v[20:21], v[15:16]
.LBB440_21:
	s_or_b64 exec, exec, s[0:1]
	s_branch .LBB440_34
.LBB440_22:
                                        ; implicit-def: $vgpr15_vgpr16
                                        ; implicit-def: $vgpr13_vgpr14
	s_cbranch_execz .LBB440_34
; %bb.23:
	s_movk_i32 s0, 0xe1
	v_cmp_gt_u32_e32 vcc, s0, v0
	s_and_saveexec_b64 s[0:1], vcc
	s_cbranch_execz .LBB440_25
; %bb.24:
	ds_read_b128 v[13:16], v17 offset:6400
	ds_read_b128 v[18:21], v17
	s_waitcnt lgkmcnt(0)
	v_add_f64 v[13:14], v[13:14], v[18:19]
	v_add_f64 v[15:16], v[15:16], v[20:21]
	ds_write_b128 v17, v[13:16]
.LBB440_25:
	s_or_b64 exec, exec, s[0:1]
	s_movk_i32 s0, 0xc8
	v_cmp_gt_u32_e32 vcc, s0, v0
	s_waitcnt lgkmcnt(0)
	s_barrier
	s_and_saveexec_b64 s[0:1], vcc
	s_cbranch_execz .LBB440_27
; %bb.26:
	ds_read_b128 v[13:16], v17 offset:3200
	ds_read_b128 v[18:21], v17
	s_waitcnt lgkmcnt(0)
	v_add_f64 v[13:14], v[13:14], v[18:19]
	v_add_f64 v[15:16], v[15:16], v[20:21]
	ds_write_b128 v17, v[13:16]
.LBB440_27:
	s_or_b64 exec, exec, s[0:1]
	s_movk_i32 s0, 0x64
	v_cmp_gt_u32_e32 vcc, s0, v0
	s_waitcnt lgkmcnt(0)
	s_barrier
	s_and_saveexec_b64 s[0:1], vcc
	s_cbranch_execz .LBB440_29
; %bb.28:
	ds_read_b128 v[13:16], v17 offset:1600
	ds_read_b128 v[18:21], v17
	s_waitcnt lgkmcnt(0)
	v_add_f64 v[13:14], v[13:14], v[18:19]
	v_add_f64 v[15:16], v[15:16], v[20:21]
	ds_write_b128 v17, v[13:16]
.LBB440_29:
	s_or_b64 exec, exec, s[0:1]
	v_cmp_gt_u32_e32 vcc, 50, v0
	s_waitcnt lgkmcnt(0)
	s_barrier
	s_and_saveexec_b64 s[0:1], vcc
	s_cbranch_execz .LBB440_31
; %bb.30:
	ds_read_b128 v[13:16], v17 offset:800
	ds_read_b128 v[18:21], v17
	s_waitcnt lgkmcnt(0)
	v_add_f64 v[13:14], v[13:14], v[18:19]
	v_add_f64 v[15:16], v[15:16], v[20:21]
	ds_write_b128 v17, v[13:16]
.LBB440_31:
	s_or_b64 exec, exec, s[0:1]
	v_cmp_gt_u32_e32 vcc, 25, v0
	s_waitcnt lgkmcnt(0)
	s_and_saveexec_b64 s[0:1], vcc
	s_cbranch_execz .LBB440_33
; %bb.32:
	ds_read_b128 v[9:12], v17 offset:400
	ds_read_b128 v[13:16], v17
	s_waitcnt lgkmcnt(0)
	v_add_f64 v[9:10], v[9:10], v[13:14]
	v_add_f64 v[11:12], v[11:12], v[15:16]
.LBB440_33:
	s_or_b64 exec, exec, s[0:1]
	v_mov_b32_e32 v16, v12
	v_mov_b32_e32 v14, v10
	;; [unrolled: 1-line block ×4, first 2 shown]
.LBB440_34:
	v_cmp_gt_u32_e32 vcc, 25, v0
	s_and_b64 exec, exec, vcc
	s_cbranch_execz .LBB440_39
; %bb.35:
	v_mul_f64 v[9:10], v[15:16], -v[7:8]
	v_mul_f64 v[11:12], v[5:6], v[15:16]
	v_cmp_eq_f64_e32 vcc, 0, v[1:2]
	v_cmp_eq_f64_e64 s[0:1], 0, v[3:4]
	v_fma_f64 v[5:6], v[5:6], v[13:14], v[9:10]
	v_fma_f64 v[7:8], v[7:8], v[13:14], v[11:12]
	s_and_b64 s[0:1], vcc, s[0:1]
	s_and_saveexec_b64 s[2:3], s[0:1]
	s_xor_b64 s[0:1], exec, s[2:3]
	s_cbranch_execz .LBB440_37
; %bb.36:
	v_mad_u64_u32 v[0:1], s[2:3], s6, 25, v[0:1]
	v_mov_b32_e32 v1, 0
	v_mov_b32_e32 v2, s13
	v_lshlrev_b64 v[0:1], 4, v[0:1]
	v_add_co_u32_e32 v0, vcc, s12, v0
	v_addc_co_u32_e32 v1, vcc, v2, v1, vcc
	global_store_dwordx4 v[0:1], v[5:8], off
                                        ; implicit-def: $vgpr0
                                        ; implicit-def: $vgpr1_vgpr2
                                        ; implicit-def: $vgpr5_vgpr6
.LBB440_37:
	s_andn2_saveexec_b64 s[0:1], s[0:1]
	s_cbranch_execz .LBB440_39
; %bb.38:
	v_mad_u64_u32 v[9:10], s[0:1], s6, 25, v[0:1]
	v_mov_b32_e32 v10, 0
	v_mov_b32_e32 v0, s13
	v_lshlrev_b64 v[9:10], 4, v[9:10]
	v_add_co_u32_e32 v13, vcc, s12, v9
	v_addc_co_u32_e32 v14, vcc, v0, v10, vcc
	global_load_dwordx4 v[9:12], v[13:14], off
	s_waitcnt vmcnt(0)
	v_fma_f64 v[5:6], v[1:2], v[9:10], v[5:6]
	v_fma_f64 v[7:8], v[3:4], v[9:10], v[7:8]
	v_fma_f64 v[3:4], -v[3:4], v[11:12], v[5:6]
	v_fma_f64 v[5:6], v[1:2], v[11:12], v[7:8]
	global_store_dwordx4 v[13:14], v[3:6], off
.LBB440_39:
	s_endpgm
	.section	.rodata,"a",@progbits
	.p2align	6, 0x0
	.amdhsa_kernel _ZN9rocsparseL20bsrxmvn_17_32_kernelILj25E21rocsparse_complex_numIdEiidS2_S2_EEvT2_20rocsparse_direction_NS_24const_host_device_scalarIT0_EES3_PKS3_PKT1_SC_S9_PKT3_PKT4_S7_PT5_21rocsparse_index_base_b
		.amdhsa_group_segment_fixed_size 10000
		.amdhsa_private_segment_fixed_size 0
		.amdhsa_kernarg_size 112
		.amdhsa_user_sgpr_count 6
		.amdhsa_user_sgpr_private_segment_buffer 1
		.amdhsa_user_sgpr_dispatch_ptr 0
		.amdhsa_user_sgpr_queue_ptr 0
		.amdhsa_user_sgpr_kernarg_segment_ptr 1
		.amdhsa_user_sgpr_dispatch_id 0
		.amdhsa_user_sgpr_flat_scratch_init 0
		.amdhsa_user_sgpr_private_segment_size 0
		.amdhsa_uses_dynamic_stack 0
		.amdhsa_system_sgpr_private_segment_wavefront_offset 0
		.amdhsa_system_sgpr_workgroup_id_x 1
		.amdhsa_system_sgpr_workgroup_id_y 0
		.amdhsa_system_sgpr_workgroup_id_z 0
		.amdhsa_system_sgpr_workgroup_info 0
		.amdhsa_system_vgpr_workitem_id 0
		.amdhsa_next_free_vgpr 26
		.amdhsa_next_free_sgpr 18
		.amdhsa_reserve_vcc 1
		.amdhsa_reserve_flat_scratch 0
		.amdhsa_float_round_mode_32 0
		.amdhsa_float_round_mode_16_64 0
		.amdhsa_float_denorm_mode_32 3
		.amdhsa_float_denorm_mode_16_64 3
		.amdhsa_dx10_clamp 1
		.amdhsa_ieee_mode 1
		.amdhsa_fp16_overflow 0
		.amdhsa_exception_fp_ieee_invalid_op 0
		.amdhsa_exception_fp_denorm_src 0
		.amdhsa_exception_fp_ieee_div_zero 0
		.amdhsa_exception_fp_ieee_overflow 0
		.amdhsa_exception_fp_ieee_underflow 0
		.amdhsa_exception_fp_ieee_inexact 0
		.amdhsa_exception_int_div_zero 0
	.end_amdhsa_kernel
	.section	.text._ZN9rocsparseL20bsrxmvn_17_32_kernelILj25E21rocsparse_complex_numIdEiidS2_S2_EEvT2_20rocsparse_direction_NS_24const_host_device_scalarIT0_EES3_PKS3_PKT1_SC_S9_PKT3_PKT4_S7_PT5_21rocsparse_index_base_b,"axG",@progbits,_ZN9rocsparseL20bsrxmvn_17_32_kernelILj25E21rocsparse_complex_numIdEiidS2_S2_EEvT2_20rocsparse_direction_NS_24const_host_device_scalarIT0_EES3_PKS3_PKT1_SC_S9_PKT3_PKT4_S7_PT5_21rocsparse_index_base_b,comdat
.Lfunc_end440:
	.size	_ZN9rocsparseL20bsrxmvn_17_32_kernelILj25E21rocsparse_complex_numIdEiidS2_S2_EEvT2_20rocsparse_direction_NS_24const_host_device_scalarIT0_EES3_PKS3_PKT1_SC_S9_PKT3_PKT4_S7_PT5_21rocsparse_index_base_b, .Lfunc_end440-_ZN9rocsparseL20bsrxmvn_17_32_kernelILj25E21rocsparse_complex_numIdEiidS2_S2_EEvT2_20rocsparse_direction_NS_24const_host_device_scalarIT0_EES3_PKS3_PKT1_SC_S9_PKT3_PKT4_S7_PT5_21rocsparse_index_base_b
                                        ; -- End function
	.set _ZN9rocsparseL20bsrxmvn_17_32_kernelILj25E21rocsparse_complex_numIdEiidS2_S2_EEvT2_20rocsparse_direction_NS_24const_host_device_scalarIT0_EES3_PKS3_PKT1_SC_S9_PKT3_PKT4_S7_PT5_21rocsparse_index_base_b.num_vgpr, 26
	.set _ZN9rocsparseL20bsrxmvn_17_32_kernelILj25E21rocsparse_complex_numIdEiidS2_S2_EEvT2_20rocsparse_direction_NS_24const_host_device_scalarIT0_EES3_PKS3_PKT1_SC_S9_PKT3_PKT4_S7_PT5_21rocsparse_index_base_b.num_agpr, 0
	.set _ZN9rocsparseL20bsrxmvn_17_32_kernelILj25E21rocsparse_complex_numIdEiidS2_S2_EEvT2_20rocsparse_direction_NS_24const_host_device_scalarIT0_EES3_PKS3_PKT1_SC_S9_PKT3_PKT4_S7_PT5_21rocsparse_index_base_b.numbered_sgpr, 18
	.set _ZN9rocsparseL20bsrxmvn_17_32_kernelILj25E21rocsparse_complex_numIdEiidS2_S2_EEvT2_20rocsparse_direction_NS_24const_host_device_scalarIT0_EES3_PKS3_PKT1_SC_S9_PKT3_PKT4_S7_PT5_21rocsparse_index_base_b.num_named_barrier, 0
	.set _ZN9rocsparseL20bsrxmvn_17_32_kernelILj25E21rocsparse_complex_numIdEiidS2_S2_EEvT2_20rocsparse_direction_NS_24const_host_device_scalarIT0_EES3_PKS3_PKT1_SC_S9_PKT3_PKT4_S7_PT5_21rocsparse_index_base_b.private_seg_size, 0
	.set _ZN9rocsparseL20bsrxmvn_17_32_kernelILj25E21rocsparse_complex_numIdEiidS2_S2_EEvT2_20rocsparse_direction_NS_24const_host_device_scalarIT0_EES3_PKS3_PKT1_SC_S9_PKT3_PKT4_S7_PT5_21rocsparse_index_base_b.uses_vcc, 1
	.set _ZN9rocsparseL20bsrxmvn_17_32_kernelILj25E21rocsparse_complex_numIdEiidS2_S2_EEvT2_20rocsparse_direction_NS_24const_host_device_scalarIT0_EES3_PKS3_PKT1_SC_S9_PKT3_PKT4_S7_PT5_21rocsparse_index_base_b.uses_flat_scratch, 0
	.set _ZN9rocsparseL20bsrxmvn_17_32_kernelILj25E21rocsparse_complex_numIdEiidS2_S2_EEvT2_20rocsparse_direction_NS_24const_host_device_scalarIT0_EES3_PKS3_PKT1_SC_S9_PKT3_PKT4_S7_PT5_21rocsparse_index_base_b.has_dyn_sized_stack, 0
	.set _ZN9rocsparseL20bsrxmvn_17_32_kernelILj25E21rocsparse_complex_numIdEiidS2_S2_EEvT2_20rocsparse_direction_NS_24const_host_device_scalarIT0_EES3_PKS3_PKT1_SC_S9_PKT3_PKT4_S7_PT5_21rocsparse_index_base_b.has_recursion, 0
	.set _ZN9rocsparseL20bsrxmvn_17_32_kernelILj25E21rocsparse_complex_numIdEiidS2_S2_EEvT2_20rocsparse_direction_NS_24const_host_device_scalarIT0_EES3_PKS3_PKT1_SC_S9_PKT3_PKT4_S7_PT5_21rocsparse_index_base_b.has_indirect_call, 0
	.section	.AMDGPU.csdata,"",@progbits
; Kernel info:
; codeLenInByte = 1652
; TotalNumSgprs: 22
; NumVgprs: 26
; ScratchSize: 0
; MemoryBound: 0
; FloatMode: 240
; IeeeMode: 1
; LDSByteSize: 10000 bytes/workgroup (compile time only)
; SGPRBlocks: 2
; VGPRBlocks: 6
; NumSGPRsForWavesPerEU: 22
; NumVGPRsForWavesPerEU: 26
; Occupancy: 9
; WaveLimiterHint : 1
; COMPUTE_PGM_RSRC2:SCRATCH_EN: 0
; COMPUTE_PGM_RSRC2:USER_SGPR: 6
; COMPUTE_PGM_RSRC2:TRAP_HANDLER: 0
; COMPUTE_PGM_RSRC2:TGID_X_EN: 1
; COMPUTE_PGM_RSRC2:TGID_Y_EN: 0
; COMPUTE_PGM_RSRC2:TGID_Z_EN: 0
; COMPUTE_PGM_RSRC2:TIDIG_COMP_CNT: 0
	.section	.text._ZN9rocsparseL20bsrxmvn_17_32_kernelILj26E21rocsparse_complex_numIdEiidS2_S2_EEvT2_20rocsparse_direction_NS_24const_host_device_scalarIT0_EES3_PKS3_PKT1_SC_S9_PKT3_PKT4_S7_PT5_21rocsparse_index_base_b,"axG",@progbits,_ZN9rocsparseL20bsrxmvn_17_32_kernelILj26E21rocsparse_complex_numIdEiidS2_S2_EEvT2_20rocsparse_direction_NS_24const_host_device_scalarIT0_EES3_PKS3_PKT1_SC_S9_PKT3_PKT4_S7_PT5_21rocsparse_index_base_b,comdat
	.globl	_ZN9rocsparseL20bsrxmvn_17_32_kernelILj26E21rocsparse_complex_numIdEiidS2_S2_EEvT2_20rocsparse_direction_NS_24const_host_device_scalarIT0_EES3_PKS3_PKT1_SC_S9_PKT3_PKT4_S7_PT5_21rocsparse_index_base_b ; -- Begin function _ZN9rocsparseL20bsrxmvn_17_32_kernelILj26E21rocsparse_complex_numIdEiidS2_S2_EEvT2_20rocsparse_direction_NS_24const_host_device_scalarIT0_EES3_PKS3_PKT1_SC_S9_PKT3_PKT4_S7_PT5_21rocsparse_index_base_b
	.p2align	8
	.type	_ZN9rocsparseL20bsrxmvn_17_32_kernelILj26E21rocsparse_complex_numIdEiidS2_S2_EEvT2_20rocsparse_direction_NS_24const_host_device_scalarIT0_EES3_PKS3_PKT1_SC_S9_PKT3_PKT4_S7_PT5_21rocsparse_index_base_b,@function
_ZN9rocsparseL20bsrxmvn_17_32_kernelILj26E21rocsparse_complex_numIdEiidS2_S2_EEvT2_20rocsparse_direction_NS_24const_host_device_scalarIT0_EES3_PKS3_PKT1_SC_S9_PKT3_PKT4_S7_PT5_21rocsparse_index_base_b: ; @_ZN9rocsparseL20bsrxmvn_17_32_kernelILj26E21rocsparse_complex_numIdEiidS2_S2_EEvT2_20rocsparse_direction_NS_24const_host_device_scalarIT0_EES3_PKS3_PKT1_SC_S9_PKT3_PKT4_S7_PT5_21rocsparse_index_base_b
; %bb.0:
	s_load_dwordx2 s[0:1], s[4:5], 0x8
	s_load_dwordx2 s[14:15], s[4:5], 0x68
	s_add_u32 s7, s4, 8
	s_addc_u32 s8, s5, 0
	s_add_u32 s9, s4, 0x50
	s_addc_u32 s10, s5, 0
	s_waitcnt lgkmcnt(0)
	s_bitcmp1_b32 s15, 0
	s_cselect_b32 s1, s8, s1
	s_cselect_b32 s0, s7, s0
	v_mov_b32_e32 v1, s0
	v_mov_b32_e32 v2, s1
	flat_load_dwordx4 v[5:8], v[1:2]
	s_load_dwordx2 s[2:3], s[4:5], 0x50
	s_waitcnt lgkmcnt(0)
	s_cselect_b32 s0, s10, s3
	s_cselect_b32 s1, s9, s2
	v_mov_b32_e32 v1, s1
	v_mov_b32_e32 v2, s0
	flat_load_dwordx4 v[1:4], v[1:2]
	s_waitcnt vmcnt(0)
	v_cmp_eq_f64_e32 vcc, 0, v[5:6]
	v_cmp_eq_f64_e64 s[0:1], 0, v[7:8]
	s_and_b64 s[8:9], vcc, s[0:1]
	s_mov_b64 s[0:1], -1
	s_and_saveexec_b64 s[2:3], s[8:9]
	s_cbranch_execz .LBB441_2
; %bb.1:
	s_waitcnt lgkmcnt(0)
	v_cmp_neq_f64_e32 vcc, 1.0, v[1:2]
	v_cmp_neq_f64_e64 s[0:1], 0, v[3:4]
	s_or_b64 s[0:1], vcc, s[0:1]
	s_orn2_b64 s[0:1], s[0:1], exec
.LBB441_2:
	s_or_b64 exec, exec, s[2:3]
	s_and_saveexec_b64 s[2:3], s[0:1]
	s_cbranch_execz .LBB441_39
; %bb.3:
	s_load_dwordx4 s[0:3], s[4:5], 0x20
	s_load_dwordx2 s[8:9], s[4:5], 0x30
	s_waitcnt lgkmcnt(0)
	s_cmp_eq_u64 s[0:1], 0
	s_cbranch_scc1 .LBB441_5
; %bb.4:
	s_ashr_i32 s7, s6, 31
	s_lshl_b64 s[6:7], s[6:7], 2
	s_add_u32 s0, s0, s6
	s_addc_u32 s1, s1, s7
	s_load_dword s0, s[0:1], 0x0
	s_waitcnt lgkmcnt(0)
	s_sub_i32 s6, s0, s14
.LBB441_5:
	s_load_dword s0, s[4:5], 0x4
	s_load_dwordx2 s[12:13], s[4:5], 0x60
	v_mul_u32_u24_e32 v13, 0x9d9, v0
	v_mov_b32_e32 v9, 26
	v_mul_lo_u16_sdwa v14, v13, v9 dst_sel:DWORD dst_unused:UNUSED_PAD src0_sel:WORD_1 src1_sel:DWORD
	s_waitcnt lgkmcnt(0)
	s_cmp_eq_u32 s0, 1
	s_cselect_b64 vcc, -1, 0
	s_cmp_lg_u32 s0, 1
	s_cselect_b64 s[16:17], -1, 0
	s_ashr_i32 s7, s6, 31
	s_lshl_b64 s[0:1], s[6:7], 2
	s_add_u32 s2, s2, s0
	s_addc_u32 s3, s3, s1
	s_load_dword s15, s[2:3], 0x0
	s_add_u32 s2, s2, 4
	s_addc_u32 s3, s3, 0
	s_add_u32 s0, s8, s0
	s_addc_u32 s1, s9, s1
	s_cmp_eq_u64 s[8:9], 0
	s_cselect_b32 s1, s3, s1
	s_cselect_b32 s0, s2, s0
	s_load_dword s0, s[0:1], 0x0
	v_mov_b32_e32 v11, 0
	v_mov_b32_e32 v9, 0
	;; [unrolled: 1-line block ×4, first 2 shown]
	s_waitcnt lgkmcnt(0)
	s_cmp_ge_i32 s15, s0
	v_sub_u16_e32 v18, v0, v14
	s_cbranch_scc1 .LBB441_10
; %bb.6:
	s_load_dwordx2 s[2:3], s[4:5], 0x48
	s_load_dwordx4 s[8:11], s[4:5], 0x38
	s_sub_i32 s7, s0, s14
	s_mov_b32 s0, 0xffff
	s_movk_i32 s1, 0x2a4
	v_and_b32_sdwa v9, s0, v13 dst_sel:DWORD dst_unused:UNUSED_PAD src0_sel:DWORD src1_sel:WORD_1
	v_subrev_u32_e32 v10, 26, v9
	v_cmp_gt_u32_e64 s[0:1], s1, v0
	s_sub_i32 s15, s15, s14
	v_cndmask_b32_e64 v9, v10, v9, s[0:1]
	s_mul_i32 s1, s15, 0x1520
	s_mul_hi_i32 s0, s15, 0x1520
	s_waitcnt lgkmcnt(0)
	s_add_u32 s1, s10, s1
	v_cndmask_b32_e32 v13, v18, v9, vcc
	s_addc_u32 s0, s11, s0
	v_lshlrev_b32_e32 v9, 3, v0
	v_mov_b32_e32 v10, s0
	v_add_co_u32_e32 v14, vcc, s1, v9
	v_addc_co_u32_e32 v15, vcc, 0, v10, vcc
	s_movk_i32 s0, 0x2a3
	v_mov_b32_e32 v11, 0
	v_cmp_lt_u32_e32 vcc, s0, v0
	v_mov_b32_e32 v12, 0
	s_mov_b32 s0, 0
	v_mov_b32_e32 v9, v11
	v_cndmask_b32_e64 v19, 0, 1, vcc
	s_brev_b32 s1, 1
	v_mov_b32_e32 v10, v12
	s_branch .LBB441_8
.LBB441_7:                              ;   in Loop: Header=BB441_8 Depth=1
	s_or_b64 exec, exec, s[4:5]
	s_add_i32 s15, s15, 1
	s_cmp_lt_i32 s15, s7
	s_cbranch_scc0 .LBB441_10
.LBB441_8:                              ; =>This Inner Loop Header: Depth=1
	v_add_u32_e32 v16, s15, v19
	v_cmp_gt_i32_e32 vcc, s7, v16
	s_and_saveexec_b64 s[4:5], vcc
	s_cbranch_execz .LBB441_7
; %bb.9:                                ;   in Loop: Header=BB441_8 Depth=1
	v_ashrrev_i32_e32 v17, 31, v16
	v_lshlrev_b64 v[16:17], 2, v[16:17]
	v_mov_b32_e32 v20, s9
	v_add_co_u32_e32 v16, vcc, s8, v16
	v_addc_co_u32_e32 v17, vcc, v20, v17, vcc
	global_load_dword v16, v[16:17], off
	v_mov_b32_e32 v20, s3
	global_load_dwordx2 v[24:25], v[14:15], off
	s_waitcnt vmcnt(1)
	v_subrev_u32_e32 v16, s14, v16
	v_mad_u64_u32 v[16:17], s[10:11], v16, 26, v[13:14]
	v_ashrrev_i32_e32 v17, 31, v16
	v_lshlrev_b64 v[16:17], 4, v[16:17]
	v_add_co_u32_e32 v16, vcc, s2, v16
	v_addc_co_u32_e32 v17, vcc, v20, v17, vcc
	global_load_dwordx4 v[20:23], v[16:17], off
	v_add_co_u32_e32 v14, vcc, 0x1520, v14
	v_addc_co_u32_e32 v15, vcc, 0, v15, vcc
	s_waitcnt vmcnt(0)
	v_fma_f64 v[9:10], v[24:25], v[20:21], v[9:10]
	v_fma_f64 v[11:12], v[20:21], 0, v[11:12]
	v_fma_f64 v[9:10], v[22:23], s[0:1], v[9:10]
	v_fma_f64 v[11:12], v[24:25], v[22:23], v[11:12]
	s_branch .LBB441_7
.LBB441_10:
	v_lshlrev_b32_e32 v17, 4, v0
	s_and_b64 vcc, exec, s[16:17]
	ds_write_b128 v17, v[9:12]
	s_waitcnt lgkmcnt(0)
	s_barrier
	s_cbranch_vccz .LBB441_22
; %bb.11:
	v_cmp_gt_u16_e32 vcc, 10, v18
	s_and_saveexec_b64 s[0:1], vcc
	s_cbranch_execz .LBB441_13
; %bb.12:
	ds_read_b128 v[13:16], v17 offset:256
	ds_read_b128 v[19:22], v17
	s_waitcnt lgkmcnt(0)
	v_add_f64 v[13:14], v[13:14], v[19:20]
	v_add_f64 v[15:16], v[15:16], v[21:22]
	ds_write_b128 v17, v[13:16]
.LBB441_13:
	s_or_b64 exec, exec, s[0:1]
	v_cmp_gt_u16_e32 vcc, 8, v18
	s_waitcnt lgkmcnt(0)
	s_barrier
	s_and_saveexec_b64 s[0:1], vcc
	s_cbranch_execz .LBB441_15
; %bb.14:
	ds_read_b128 v[13:16], v17 offset:128
	ds_read_b128 v[19:22], v17
	s_waitcnt lgkmcnt(0)
	v_add_f64 v[13:14], v[13:14], v[19:20]
	v_add_f64 v[15:16], v[15:16], v[21:22]
	ds_write_b128 v17, v[13:16]
.LBB441_15:
	s_or_b64 exec, exec, s[0:1]
	v_cmp_gt_u16_e32 vcc, 4, v18
	s_waitcnt lgkmcnt(0)
	s_barrier
	;; [unrolled: 14-line block ×3, first 2 shown]
	s_and_saveexec_b64 s[0:1], vcc
	s_cbranch_execz .LBB441_19
; %bb.18:
	ds_read_b128 v[13:16], v17
	ds_read_b128 v[18:21], v17 offset:32
	s_waitcnt lgkmcnt(0)
	v_add_f64 v[13:14], v[18:19], v[13:14]
	v_add_f64 v[15:16], v[20:21], v[15:16]
	ds_write_b128 v17, v[13:16]
.LBB441_19:
	s_or_b64 exec, exec, s[0:1]
	v_mov_b32_e32 v16, v12
	v_mov_b32_e32 v14, v10
	v_cmp_gt_u32_e32 vcc, 26, v0
	v_mov_b32_e32 v15, v11
	v_mov_b32_e32 v13, v9
	s_waitcnt lgkmcnt(0)
	s_barrier
	s_and_saveexec_b64 s[0:1], vcc
	s_cbranch_execz .LBB441_21
; %bb.20:
	s_movk_i32 s2, 0x190
	v_mad_u32_u24 v18, v0, s2, v17
	ds_read_b128 v[13:16], v18
	ds_read_b128 v[18:21], v18 offset:16
	s_waitcnt lgkmcnt(0)
	v_add_f64 v[13:14], v[18:19], v[13:14]
	v_add_f64 v[15:16], v[20:21], v[15:16]
.LBB441_21:
	s_or_b64 exec, exec, s[0:1]
	s_branch .LBB441_34
.LBB441_22:
                                        ; implicit-def: $vgpr15_vgpr16
                                        ; implicit-def: $vgpr13_vgpr14
	s_cbranch_execz .LBB441_34
; %bb.23:
	s_movk_i32 s0, 0x104
	v_cmp_gt_u32_e32 vcc, s0, v0
	s_and_saveexec_b64 s[0:1], vcc
	s_cbranch_execz .LBB441_25
; %bb.24:
	ds_read_b128 v[13:16], v17 offset:6656
	ds_read_b128 v[18:21], v17
	s_waitcnt lgkmcnt(0)
	v_add_f64 v[13:14], v[13:14], v[18:19]
	v_add_f64 v[15:16], v[15:16], v[20:21]
	ds_write_b128 v17, v[13:16]
.LBB441_25:
	s_or_b64 exec, exec, s[0:1]
	s_movk_i32 s0, 0xd0
	v_cmp_gt_u32_e32 vcc, s0, v0
	s_waitcnt lgkmcnt(0)
	s_barrier
	s_and_saveexec_b64 s[0:1], vcc
	s_cbranch_execz .LBB441_27
; %bb.26:
	ds_read_b128 v[13:16], v17 offset:3328
	ds_read_b128 v[18:21], v17
	s_waitcnt lgkmcnt(0)
	v_add_f64 v[13:14], v[13:14], v[18:19]
	v_add_f64 v[15:16], v[15:16], v[20:21]
	ds_write_b128 v17, v[13:16]
.LBB441_27:
	s_or_b64 exec, exec, s[0:1]
	s_movk_i32 s0, 0x68
	v_cmp_gt_u32_e32 vcc, s0, v0
	s_waitcnt lgkmcnt(0)
	s_barrier
	s_and_saveexec_b64 s[0:1], vcc
	s_cbranch_execz .LBB441_29
; %bb.28:
	ds_read_b128 v[13:16], v17 offset:1664
	ds_read_b128 v[18:21], v17
	s_waitcnt lgkmcnt(0)
	v_add_f64 v[13:14], v[13:14], v[18:19]
	v_add_f64 v[15:16], v[15:16], v[20:21]
	ds_write_b128 v17, v[13:16]
.LBB441_29:
	s_or_b64 exec, exec, s[0:1]
	v_cmp_gt_u32_e32 vcc, 52, v0
	s_waitcnt lgkmcnt(0)
	s_barrier
	s_and_saveexec_b64 s[0:1], vcc
	s_cbranch_execz .LBB441_31
; %bb.30:
	ds_read_b128 v[13:16], v17 offset:832
	ds_read_b128 v[18:21], v17
	s_waitcnt lgkmcnt(0)
	v_add_f64 v[13:14], v[13:14], v[18:19]
	v_add_f64 v[15:16], v[15:16], v[20:21]
	ds_write_b128 v17, v[13:16]
.LBB441_31:
	s_or_b64 exec, exec, s[0:1]
	v_cmp_gt_u32_e32 vcc, 26, v0
	s_waitcnt lgkmcnt(0)
	s_and_saveexec_b64 s[0:1], vcc
	s_cbranch_execz .LBB441_33
; %bb.32:
	ds_read_b128 v[9:12], v17 offset:416
	ds_read_b128 v[13:16], v17
	s_waitcnt lgkmcnt(0)
	v_add_f64 v[9:10], v[9:10], v[13:14]
	v_add_f64 v[11:12], v[11:12], v[15:16]
.LBB441_33:
	s_or_b64 exec, exec, s[0:1]
	v_mov_b32_e32 v16, v12
	v_mov_b32_e32 v14, v10
	;; [unrolled: 1-line block ×4, first 2 shown]
.LBB441_34:
	v_cmp_gt_u32_e32 vcc, 26, v0
	s_and_b64 exec, exec, vcc
	s_cbranch_execz .LBB441_39
; %bb.35:
	v_mul_f64 v[9:10], v[15:16], -v[7:8]
	v_mul_f64 v[11:12], v[5:6], v[15:16]
	v_cmp_eq_f64_e32 vcc, 0, v[1:2]
	v_cmp_eq_f64_e64 s[0:1], 0, v[3:4]
	v_fma_f64 v[5:6], v[5:6], v[13:14], v[9:10]
	v_fma_f64 v[7:8], v[7:8], v[13:14], v[11:12]
	s_and_b64 s[0:1], vcc, s[0:1]
	s_and_saveexec_b64 s[2:3], s[0:1]
	s_xor_b64 s[0:1], exec, s[2:3]
	s_cbranch_execz .LBB441_37
; %bb.36:
	v_mad_u64_u32 v[0:1], s[2:3], s6, 26, v[0:1]
	v_mov_b32_e32 v1, 0
	v_mov_b32_e32 v2, s13
	v_lshlrev_b64 v[0:1], 4, v[0:1]
	v_add_co_u32_e32 v0, vcc, s12, v0
	v_addc_co_u32_e32 v1, vcc, v2, v1, vcc
	global_store_dwordx4 v[0:1], v[5:8], off
                                        ; implicit-def: $vgpr0
                                        ; implicit-def: $vgpr1_vgpr2
                                        ; implicit-def: $vgpr5_vgpr6
.LBB441_37:
	s_andn2_saveexec_b64 s[0:1], s[0:1]
	s_cbranch_execz .LBB441_39
; %bb.38:
	v_mad_u64_u32 v[9:10], s[0:1], s6, 26, v[0:1]
	v_mov_b32_e32 v10, 0
	v_mov_b32_e32 v0, s13
	v_lshlrev_b64 v[9:10], 4, v[9:10]
	v_add_co_u32_e32 v13, vcc, s12, v9
	v_addc_co_u32_e32 v14, vcc, v0, v10, vcc
	global_load_dwordx4 v[9:12], v[13:14], off
	s_waitcnt vmcnt(0)
	v_fma_f64 v[5:6], v[1:2], v[9:10], v[5:6]
	v_fma_f64 v[7:8], v[3:4], v[9:10], v[7:8]
	v_fma_f64 v[3:4], -v[3:4], v[11:12], v[5:6]
	v_fma_f64 v[5:6], v[1:2], v[11:12], v[7:8]
	global_store_dwordx4 v[13:14], v[3:6], off
.LBB441_39:
	s_endpgm
	.section	.rodata,"a",@progbits
	.p2align	6, 0x0
	.amdhsa_kernel _ZN9rocsparseL20bsrxmvn_17_32_kernelILj26E21rocsparse_complex_numIdEiidS2_S2_EEvT2_20rocsparse_direction_NS_24const_host_device_scalarIT0_EES3_PKS3_PKT1_SC_S9_PKT3_PKT4_S7_PT5_21rocsparse_index_base_b
		.amdhsa_group_segment_fixed_size 10816
		.amdhsa_private_segment_fixed_size 0
		.amdhsa_kernarg_size 112
		.amdhsa_user_sgpr_count 6
		.amdhsa_user_sgpr_private_segment_buffer 1
		.amdhsa_user_sgpr_dispatch_ptr 0
		.amdhsa_user_sgpr_queue_ptr 0
		.amdhsa_user_sgpr_kernarg_segment_ptr 1
		.amdhsa_user_sgpr_dispatch_id 0
		.amdhsa_user_sgpr_flat_scratch_init 0
		.amdhsa_user_sgpr_private_segment_size 0
		.amdhsa_uses_dynamic_stack 0
		.amdhsa_system_sgpr_private_segment_wavefront_offset 0
		.amdhsa_system_sgpr_workgroup_id_x 1
		.amdhsa_system_sgpr_workgroup_id_y 0
		.amdhsa_system_sgpr_workgroup_id_z 0
		.amdhsa_system_sgpr_workgroup_info 0
		.amdhsa_system_vgpr_workitem_id 0
		.amdhsa_next_free_vgpr 26
		.amdhsa_next_free_sgpr 61
		.amdhsa_reserve_vcc 1
		.amdhsa_reserve_flat_scratch 0
		.amdhsa_float_round_mode_32 0
		.amdhsa_float_round_mode_16_64 0
		.amdhsa_float_denorm_mode_32 3
		.amdhsa_float_denorm_mode_16_64 3
		.amdhsa_dx10_clamp 1
		.amdhsa_ieee_mode 1
		.amdhsa_fp16_overflow 0
		.amdhsa_exception_fp_ieee_invalid_op 0
		.amdhsa_exception_fp_denorm_src 0
		.amdhsa_exception_fp_ieee_div_zero 0
		.amdhsa_exception_fp_ieee_overflow 0
		.amdhsa_exception_fp_ieee_underflow 0
		.amdhsa_exception_fp_ieee_inexact 0
		.amdhsa_exception_int_div_zero 0
	.end_amdhsa_kernel
	.section	.text._ZN9rocsparseL20bsrxmvn_17_32_kernelILj26E21rocsparse_complex_numIdEiidS2_S2_EEvT2_20rocsparse_direction_NS_24const_host_device_scalarIT0_EES3_PKS3_PKT1_SC_S9_PKT3_PKT4_S7_PT5_21rocsparse_index_base_b,"axG",@progbits,_ZN9rocsparseL20bsrxmvn_17_32_kernelILj26E21rocsparse_complex_numIdEiidS2_S2_EEvT2_20rocsparse_direction_NS_24const_host_device_scalarIT0_EES3_PKS3_PKT1_SC_S9_PKT3_PKT4_S7_PT5_21rocsparse_index_base_b,comdat
.Lfunc_end441:
	.size	_ZN9rocsparseL20bsrxmvn_17_32_kernelILj26E21rocsparse_complex_numIdEiidS2_S2_EEvT2_20rocsparse_direction_NS_24const_host_device_scalarIT0_EES3_PKS3_PKT1_SC_S9_PKT3_PKT4_S7_PT5_21rocsparse_index_base_b, .Lfunc_end441-_ZN9rocsparseL20bsrxmvn_17_32_kernelILj26E21rocsparse_complex_numIdEiidS2_S2_EEvT2_20rocsparse_direction_NS_24const_host_device_scalarIT0_EES3_PKS3_PKT1_SC_S9_PKT3_PKT4_S7_PT5_21rocsparse_index_base_b
                                        ; -- End function
	.set _ZN9rocsparseL20bsrxmvn_17_32_kernelILj26E21rocsparse_complex_numIdEiidS2_S2_EEvT2_20rocsparse_direction_NS_24const_host_device_scalarIT0_EES3_PKS3_PKT1_SC_S9_PKT3_PKT4_S7_PT5_21rocsparse_index_base_b.num_vgpr, 26
	.set _ZN9rocsparseL20bsrxmvn_17_32_kernelILj26E21rocsparse_complex_numIdEiidS2_S2_EEvT2_20rocsparse_direction_NS_24const_host_device_scalarIT0_EES3_PKS3_PKT1_SC_S9_PKT3_PKT4_S7_PT5_21rocsparse_index_base_b.num_agpr, 0
	.set _ZN9rocsparseL20bsrxmvn_17_32_kernelILj26E21rocsparse_complex_numIdEiidS2_S2_EEvT2_20rocsparse_direction_NS_24const_host_device_scalarIT0_EES3_PKS3_PKT1_SC_S9_PKT3_PKT4_S7_PT5_21rocsparse_index_base_b.numbered_sgpr, 18
	.set _ZN9rocsparseL20bsrxmvn_17_32_kernelILj26E21rocsparse_complex_numIdEiidS2_S2_EEvT2_20rocsparse_direction_NS_24const_host_device_scalarIT0_EES3_PKS3_PKT1_SC_S9_PKT3_PKT4_S7_PT5_21rocsparse_index_base_b.num_named_barrier, 0
	.set _ZN9rocsparseL20bsrxmvn_17_32_kernelILj26E21rocsparse_complex_numIdEiidS2_S2_EEvT2_20rocsparse_direction_NS_24const_host_device_scalarIT0_EES3_PKS3_PKT1_SC_S9_PKT3_PKT4_S7_PT5_21rocsparse_index_base_b.private_seg_size, 0
	.set _ZN9rocsparseL20bsrxmvn_17_32_kernelILj26E21rocsparse_complex_numIdEiidS2_S2_EEvT2_20rocsparse_direction_NS_24const_host_device_scalarIT0_EES3_PKS3_PKT1_SC_S9_PKT3_PKT4_S7_PT5_21rocsparse_index_base_b.uses_vcc, 1
	.set _ZN9rocsparseL20bsrxmvn_17_32_kernelILj26E21rocsparse_complex_numIdEiidS2_S2_EEvT2_20rocsparse_direction_NS_24const_host_device_scalarIT0_EES3_PKS3_PKT1_SC_S9_PKT3_PKT4_S7_PT5_21rocsparse_index_base_b.uses_flat_scratch, 0
	.set _ZN9rocsparseL20bsrxmvn_17_32_kernelILj26E21rocsparse_complex_numIdEiidS2_S2_EEvT2_20rocsparse_direction_NS_24const_host_device_scalarIT0_EES3_PKS3_PKT1_SC_S9_PKT3_PKT4_S7_PT5_21rocsparse_index_base_b.has_dyn_sized_stack, 0
	.set _ZN9rocsparseL20bsrxmvn_17_32_kernelILj26E21rocsparse_complex_numIdEiidS2_S2_EEvT2_20rocsparse_direction_NS_24const_host_device_scalarIT0_EES3_PKS3_PKT1_SC_S9_PKT3_PKT4_S7_PT5_21rocsparse_index_base_b.has_recursion, 0
	.set _ZN9rocsparseL20bsrxmvn_17_32_kernelILj26E21rocsparse_complex_numIdEiidS2_S2_EEvT2_20rocsparse_direction_NS_24const_host_device_scalarIT0_EES3_PKS3_PKT1_SC_S9_PKT3_PKT4_S7_PT5_21rocsparse_index_base_b.has_indirect_call, 0
	.section	.AMDGPU.csdata,"",@progbits
; Kernel info:
; codeLenInByte = 1652
; TotalNumSgprs: 22
; NumVgprs: 26
; ScratchSize: 0
; MemoryBound: 0
; FloatMode: 240
; IeeeMode: 1
; LDSByteSize: 10816 bytes/workgroup (compile time only)
; SGPRBlocks: 8
; VGPRBlocks: 6
; NumSGPRsForWavesPerEU: 65
; NumVGPRsForWavesPerEU: 26
; Occupancy: 9
; WaveLimiterHint : 1
; COMPUTE_PGM_RSRC2:SCRATCH_EN: 0
; COMPUTE_PGM_RSRC2:USER_SGPR: 6
; COMPUTE_PGM_RSRC2:TRAP_HANDLER: 0
; COMPUTE_PGM_RSRC2:TGID_X_EN: 1
; COMPUTE_PGM_RSRC2:TGID_Y_EN: 0
; COMPUTE_PGM_RSRC2:TGID_Z_EN: 0
; COMPUTE_PGM_RSRC2:TIDIG_COMP_CNT: 0
	.section	.text._ZN9rocsparseL20bsrxmvn_17_32_kernelILj27E21rocsparse_complex_numIdEiidS2_S2_EEvT2_20rocsparse_direction_NS_24const_host_device_scalarIT0_EES3_PKS3_PKT1_SC_S9_PKT3_PKT4_S7_PT5_21rocsparse_index_base_b,"axG",@progbits,_ZN9rocsparseL20bsrxmvn_17_32_kernelILj27E21rocsparse_complex_numIdEiidS2_S2_EEvT2_20rocsparse_direction_NS_24const_host_device_scalarIT0_EES3_PKS3_PKT1_SC_S9_PKT3_PKT4_S7_PT5_21rocsparse_index_base_b,comdat
	.globl	_ZN9rocsparseL20bsrxmvn_17_32_kernelILj27E21rocsparse_complex_numIdEiidS2_S2_EEvT2_20rocsparse_direction_NS_24const_host_device_scalarIT0_EES3_PKS3_PKT1_SC_S9_PKT3_PKT4_S7_PT5_21rocsparse_index_base_b ; -- Begin function _ZN9rocsparseL20bsrxmvn_17_32_kernelILj27E21rocsparse_complex_numIdEiidS2_S2_EEvT2_20rocsparse_direction_NS_24const_host_device_scalarIT0_EES3_PKS3_PKT1_SC_S9_PKT3_PKT4_S7_PT5_21rocsparse_index_base_b
	.p2align	8
	.type	_ZN9rocsparseL20bsrxmvn_17_32_kernelILj27E21rocsparse_complex_numIdEiidS2_S2_EEvT2_20rocsparse_direction_NS_24const_host_device_scalarIT0_EES3_PKS3_PKT1_SC_S9_PKT3_PKT4_S7_PT5_21rocsparse_index_base_b,@function
_ZN9rocsparseL20bsrxmvn_17_32_kernelILj27E21rocsparse_complex_numIdEiidS2_S2_EEvT2_20rocsparse_direction_NS_24const_host_device_scalarIT0_EES3_PKS3_PKT1_SC_S9_PKT3_PKT4_S7_PT5_21rocsparse_index_base_b: ; @_ZN9rocsparseL20bsrxmvn_17_32_kernelILj27E21rocsparse_complex_numIdEiidS2_S2_EEvT2_20rocsparse_direction_NS_24const_host_device_scalarIT0_EES3_PKS3_PKT1_SC_S9_PKT3_PKT4_S7_PT5_21rocsparse_index_base_b
; %bb.0:
	s_load_dwordx2 s[0:1], s[4:5], 0x8
	s_load_dwordx2 s[14:15], s[4:5], 0x68
	s_add_u32 s7, s4, 8
	s_addc_u32 s8, s5, 0
	s_add_u32 s9, s4, 0x50
	s_addc_u32 s10, s5, 0
	s_waitcnt lgkmcnt(0)
	s_bitcmp1_b32 s15, 0
	s_cselect_b32 s1, s8, s1
	s_cselect_b32 s0, s7, s0
	v_mov_b32_e32 v1, s0
	v_mov_b32_e32 v2, s1
	flat_load_dwordx4 v[5:8], v[1:2]
	s_load_dwordx2 s[2:3], s[4:5], 0x50
	s_waitcnt lgkmcnt(0)
	s_cselect_b32 s0, s10, s3
	s_cselect_b32 s1, s9, s2
	v_mov_b32_e32 v1, s1
	v_mov_b32_e32 v2, s0
	flat_load_dwordx4 v[1:4], v[1:2]
	s_waitcnt vmcnt(0)
	v_cmp_eq_f64_e32 vcc, 0, v[5:6]
	v_cmp_eq_f64_e64 s[0:1], 0, v[7:8]
	s_and_b64 s[8:9], vcc, s[0:1]
	s_mov_b64 s[0:1], -1
	s_and_saveexec_b64 s[2:3], s[8:9]
	s_cbranch_execz .LBB442_2
; %bb.1:
	s_waitcnt lgkmcnt(0)
	v_cmp_neq_f64_e32 vcc, 1.0, v[1:2]
	v_cmp_neq_f64_e64 s[0:1], 0, v[3:4]
	s_or_b64 s[0:1], vcc, s[0:1]
	s_orn2_b64 s[0:1], s[0:1], exec
.LBB442_2:
	s_or_b64 exec, exec, s[2:3]
	s_and_saveexec_b64 s[2:3], s[0:1]
	s_cbranch_execz .LBB442_39
; %bb.3:
	s_load_dwordx4 s[0:3], s[4:5], 0x20
	s_load_dwordx2 s[8:9], s[4:5], 0x30
	s_waitcnt lgkmcnt(0)
	s_cmp_eq_u64 s[0:1], 0
	s_cbranch_scc1 .LBB442_5
; %bb.4:
	s_ashr_i32 s7, s6, 31
	s_lshl_b64 s[6:7], s[6:7], 2
	s_add_u32 s0, s0, s6
	s_addc_u32 s1, s1, s7
	s_load_dword s0, s[0:1], 0x0
	s_waitcnt lgkmcnt(0)
	s_sub_i32 s6, s0, s14
.LBB442_5:
	s_load_dword s0, s[4:5], 0x4
	s_load_dwordx2 s[12:13], s[4:5], 0x60
	v_mul_u32_u24_e32 v13, 0x97c, v0
	v_mov_b32_e32 v9, 27
	v_mul_lo_u16_sdwa v14, v13, v9 dst_sel:DWORD dst_unused:UNUSED_PAD src0_sel:WORD_1 src1_sel:DWORD
	s_waitcnt lgkmcnt(0)
	s_cmp_eq_u32 s0, 1
	s_cselect_b64 vcc, -1, 0
	s_cmp_lg_u32 s0, 1
	s_cselect_b64 s[16:17], -1, 0
	s_ashr_i32 s7, s6, 31
	s_lshl_b64 s[0:1], s[6:7], 2
	s_add_u32 s2, s2, s0
	s_addc_u32 s3, s3, s1
	s_load_dword s15, s[2:3], 0x0
	s_add_u32 s2, s2, 4
	s_addc_u32 s3, s3, 0
	s_add_u32 s0, s8, s0
	s_addc_u32 s1, s9, s1
	s_cmp_eq_u64 s[8:9], 0
	s_cselect_b32 s1, s3, s1
	s_cselect_b32 s0, s2, s0
	s_load_dword s0, s[0:1], 0x0
	v_mov_b32_e32 v11, 0
	v_mov_b32_e32 v9, 0
	v_mov_b32_e32 v12, 0
	v_mov_b32_e32 v10, 0
	s_waitcnt lgkmcnt(0)
	s_cmp_ge_i32 s15, s0
	v_sub_u16_e32 v18, v0, v14
	s_cbranch_scc1 .LBB442_10
; %bb.6:
	s_load_dwordx2 s[2:3], s[4:5], 0x48
	s_load_dwordx4 s[8:11], s[4:5], 0x38
	s_sub_i32 s7, s0, s14
	s_mov_b32 s0, 0xffff
	s_movk_i32 s1, 0x2d9
	v_and_b32_sdwa v9, s0, v13 dst_sel:DWORD dst_unused:UNUSED_PAD src0_sel:DWORD src1_sel:WORD_1
	v_subrev_u32_e32 v10, 27, v9
	v_cmp_gt_u32_e64 s[0:1], s1, v0
	s_sub_i32 s15, s15, s14
	v_cndmask_b32_e64 v9, v10, v9, s[0:1]
	s_mul_i32 s1, s15, 0x16c8
	s_mul_hi_i32 s0, s15, 0x16c8
	s_waitcnt lgkmcnt(0)
	s_add_u32 s1, s10, s1
	v_cndmask_b32_e32 v13, v18, v9, vcc
	s_addc_u32 s0, s11, s0
	v_lshlrev_b32_e32 v9, 3, v0
	v_mov_b32_e32 v10, s0
	v_add_co_u32_e32 v14, vcc, s1, v9
	v_addc_co_u32_e32 v15, vcc, 0, v10, vcc
	s_movk_i32 s0, 0x2d8
	v_mov_b32_e32 v11, 0
	v_cmp_lt_u32_e32 vcc, s0, v0
	v_mov_b32_e32 v12, 0
	s_mov_b32 s0, 0
	v_mov_b32_e32 v9, v11
	v_cndmask_b32_e64 v19, 0, 1, vcc
	s_brev_b32 s1, 1
	v_mov_b32_e32 v10, v12
	s_branch .LBB442_8
.LBB442_7:                              ;   in Loop: Header=BB442_8 Depth=1
	s_or_b64 exec, exec, s[4:5]
	s_add_i32 s15, s15, 1
	s_cmp_lt_i32 s15, s7
	s_cbranch_scc0 .LBB442_10
.LBB442_8:                              ; =>This Inner Loop Header: Depth=1
	v_add_u32_e32 v16, s15, v19
	v_cmp_gt_i32_e32 vcc, s7, v16
	s_and_saveexec_b64 s[4:5], vcc
	s_cbranch_execz .LBB442_7
; %bb.9:                                ;   in Loop: Header=BB442_8 Depth=1
	v_ashrrev_i32_e32 v17, 31, v16
	v_lshlrev_b64 v[16:17], 2, v[16:17]
	v_mov_b32_e32 v20, s9
	v_add_co_u32_e32 v16, vcc, s8, v16
	v_addc_co_u32_e32 v17, vcc, v20, v17, vcc
	global_load_dword v16, v[16:17], off
	v_mov_b32_e32 v20, s3
	global_load_dwordx2 v[24:25], v[14:15], off
	s_waitcnt vmcnt(1)
	v_subrev_u32_e32 v16, s14, v16
	v_mad_u64_u32 v[16:17], s[10:11], v16, 27, v[13:14]
	v_ashrrev_i32_e32 v17, 31, v16
	v_lshlrev_b64 v[16:17], 4, v[16:17]
	v_add_co_u32_e32 v16, vcc, s2, v16
	v_addc_co_u32_e32 v17, vcc, v20, v17, vcc
	global_load_dwordx4 v[20:23], v[16:17], off
	v_add_co_u32_e32 v14, vcc, 0x16c8, v14
	v_addc_co_u32_e32 v15, vcc, 0, v15, vcc
	s_waitcnt vmcnt(0)
	v_fma_f64 v[9:10], v[24:25], v[20:21], v[9:10]
	v_fma_f64 v[11:12], v[20:21], 0, v[11:12]
	;; [unrolled: 1-line block ×4, first 2 shown]
	s_branch .LBB442_7
.LBB442_10:
	v_lshlrev_b32_e32 v17, 4, v0
	s_and_b64 vcc, exec, s[16:17]
	ds_write_b128 v17, v[9:12]
	s_waitcnt lgkmcnt(0)
	s_barrier
	s_cbranch_vccz .LBB442_22
; %bb.11:
	v_cmp_gt_u16_e32 vcc, 11, v18
	s_and_saveexec_b64 s[0:1], vcc
	s_cbranch_execz .LBB442_13
; %bb.12:
	ds_read_b128 v[13:16], v17 offset:256
	ds_read_b128 v[19:22], v17
	s_waitcnt lgkmcnt(0)
	v_add_f64 v[13:14], v[13:14], v[19:20]
	v_add_f64 v[15:16], v[15:16], v[21:22]
	ds_write_b128 v17, v[13:16]
.LBB442_13:
	s_or_b64 exec, exec, s[0:1]
	v_cmp_gt_u16_e32 vcc, 8, v18
	s_waitcnt lgkmcnt(0)
	s_barrier
	s_and_saveexec_b64 s[0:1], vcc
	s_cbranch_execz .LBB442_15
; %bb.14:
	ds_read_b128 v[13:16], v17 offset:128
	ds_read_b128 v[19:22], v17
	s_waitcnt lgkmcnt(0)
	v_add_f64 v[13:14], v[13:14], v[19:20]
	v_add_f64 v[15:16], v[15:16], v[21:22]
	ds_write_b128 v17, v[13:16]
.LBB442_15:
	s_or_b64 exec, exec, s[0:1]
	v_cmp_gt_u16_e32 vcc, 4, v18
	s_waitcnt lgkmcnt(0)
	s_barrier
	;; [unrolled: 14-line block ×3, first 2 shown]
	s_and_saveexec_b64 s[0:1], vcc
	s_cbranch_execz .LBB442_19
; %bb.18:
	ds_read_b128 v[13:16], v17
	ds_read_b128 v[18:21], v17 offset:32
	s_waitcnt lgkmcnt(0)
	v_add_f64 v[13:14], v[18:19], v[13:14]
	v_add_f64 v[15:16], v[20:21], v[15:16]
	ds_write_b128 v17, v[13:16]
.LBB442_19:
	s_or_b64 exec, exec, s[0:1]
	v_mov_b32_e32 v16, v12
	v_mov_b32_e32 v14, v10
	v_cmp_gt_u32_e32 vcc, 27, v0
	v_mov_b32_e32 v15, v11
	v_mov_b32_e32 v13, v9
	s_waitcnt lgkmcnt(0)
	s_barrier
	s_and_saveexec_b64 s[0:1], vcc
	s_cbranch_execz .LBB442_21
; %bb.20:
	s_movk_i32 s2, 0x1a0
	v_mad_u32_u24 v18, v0, s2, v17
	ds_read_b128 v[13:16], v18
	ds_read_b128 v[18:21], v18 offset:16
	s_waitcnt lgkmcnt(0)
	v_add_f64 v[13:14], v[18:19], v[13:14]
	v_add_f64 v[15:16], v[20:21], v[15:16]
.LBB442_21:
	s_or_b64 exec, exec, s[0:1]
	s_branch .LBB442_34
.LBB442_22:
                                        ; implicit-def: $vgpr15_vgpr16
                                        ; implicit-def: $vgpr13_vgpr14
	s_cbranch_execz .LBB442_34
; %bb.23:
	s_movk_i32 s0, 0x129
	v_cmp_gt_u32_e32 vcc, s0, v0
	s_and_saveexec_b64 s[0:1], vcc
	s_cbranch_execz .LBB442_25
; %bb.24:
	ds_read_b128 v[13:16], v17 offset:6912
	ds_read_b128 v[18:21], v17
	s_waitcnt lgkmcnt(0)
	v_add_f64 v[13:14], v[13:14], v[18:19]
	v_add_f64 v[15:16], v[15:16], v[20:21]
	ds_write_b128 v17, v[13:16]
.LBB442_25:
	s_or_b64 exec, exec, s[0:1]
	s_movk_i32 s0, 0xd8
	v_cmp_gt_u32_e32 vcc, s0, v0
	s_waitcnt lgkmcnt(0)
	s_barrier
	s_and_saveexec_b64 s[0:1], vcc
	s_cbranch_execz .LBB442_27
; %bb.26:
	ds_read_b128 v[13:16], v17 offset:3456
	ds_read_b128 v[18:21], v17
	s_waitcnt lgkmcnt(0)
	v_add_f64 v[13:14], v[13:14], v[18:19]
	v_add_f64 v[15:16], v[15:16], v[20:21]
	ds_write_b128 v17, v[13:16]
.LBB442_27:
	s_or_b64 exec, exec, s[0:1]
	s_movk_i32 s0, 0x6c
	v_cmp_gt_u32_e32 vcc, s0, v0
	s_waitcnt lgkmcnt(0)
	s_barrier
	s_and_saveexec_b64 s[0:1], vcc
	s_cbranch_execz .LBB442_29
; %bb.28:
	ds_read_b128 v[13:16], v17 offset:1728
	ds_read_b128 v[18:21], v17
	s_waitcnt lgkmcnt(0)
	v_add_f64 v[13:14], v[13:14], v[18:19]
	v_add_f64 v[15:16], v[15:16], v[20:21]
	ds_write_b128 v17, v[13:16]
.LBB442_29:
	s_or_b64 exec, exec, s[0:1]
	v_cmp_gt_u32_e32 vcc, 54, v0
	s_waitcnt lgkmcnt(0)
	s_barrier
	s_and_saveexec_b64 s[0:1], vcc
	s_cbranch_execz .LBB442_31
; %bb.30:
	ds_read_b128 v[13:16], v17 offset:864
	ds_read_b128 v[18:21], v17
	s_waitcnt lgkmcnt(0)
	v_add_f64 v[13:14], v[13:14], v[18:19]
	v_add_f64 v[15:16], v[15:16], v[20:21]
	ds_write_b128 v17, v[13:16]
.LBB442_31:
	s_or_b64 exec, exec, s[0:1]
	v_cmp_gt_u32_e32 vcc, 27, v0
	s_waitcnt lgkmcnt(0)
	s_and_saveexec_b64 s[0:1], vcc
	s_cbranch_execz .LBB442_33
; %bb.32:
	ds_read_b128 v[9:12], v17 offset:432
	ds_read_b128 v[13:16], v17
	s_waitcnt lgkmcnt(0)
	v_add_f64 v[9:10], v[9:10], v[13:14]
	v_add_f64 v[11:12], v[11:12], v[15:16]
.LBB442_33:
	s_or_b64 exec, exec, s[0:1]
	v_mov_b32_e32 v16, v12
	v_mov_b32_e32 v14, v10
	v_mov_b32_e32 v15, v11
	v_mov_b32_e32 v13, v9
.LBB442_34:
	v_cmp_gt_u32_e32 vcc, 27, v0
	s_and_b64 exec, exec, vcc
	s_cbranch_execz .LBB442_39
; %bb.35:
	v_mul_f64 v[9:10], v[15:16], -v[7:8]
	v_mul_f64 v[11:12], v[5:6], v[15:16]
	v_cmp_eq_f64_e32 vcc, 0, v[1:2]
	v_cmp_eq_f64_e64 s[0:1], 0, v[3:4]
	v_fma_f64 v[5:6], v[5:6], v[13:14], v[9:10]
	v_fma_f64 v[7:8], v[7:8], v[13:14], v[11:12]
	s_and_b64 s[0:1], vcc, s[0:1]
	s_and_saveexec_b64 s[2:3], s[0:1]
	s_xor_b64 s[0:1], exec, s[2:3]
	s_cbranch_execz .LBB442_37
; %bb.36:
	v_mad_u64_u32 v[0:1], s[2:3], s6, 27, v[0:1]
	v_mov_b32_e32 v1, 0
	v_mov_b32_e32 v2, s13
	v_lshlrev_b64 v[0:1], 4, v[0:1]
	v_add_co_u32_e32 v0, vcc, s12, v0
	v_addc_co_u32_e32 v1, vcc, v2, v1, vcc
	global_store_dwordx4 v[0:1], v[5:8], off
                                        ; implicit-def: $vgpr0
                                        ; implicit-def: $vgpr1_vgpr2
                                        ; implicit-def: $vgpr5_vgpr6
.LBB442_37:
	s_andn2_saveexec_b64 s[0:1], s[0:1]
	s_cbranch_execz .LBB442_39
; %bb.38:
	v_mad_u64_u32 v[9:10], s[0:1], s6, 27, v[0:1]
	v_mov_b32_e32 v10, 0
	v_mov_b32_e32 v0, s13
	v_lshlrev_b64 v[9:10], 4, v[9:10]
	v_add_co_u32_e32 v13, vcc, s12, v9
	v_addc_co_u32_e32 v14, vcc, v0, v10, vcc
	global_load_dwordx4 v[9:12], v[13:14], off
	s_waitcnt vmcnt(0)
	v_fma_f64 v[5:6], v[1:2], v[9:10], v[5:6]
	v_fma_f64 v[7:8], v[3:4], v[9:10], v[7:8]
	v_fma_f64 v[3:4], -v[3:4], v[11:12], v[5:6]
	v_fma_f64 v[5:6], v[1:2], v[11:12], v[7:8]
	global_store_dwordx4 v[13:14], v[3:6], off
.LBB442_39:
	s_endpgm
	.section	.rodata,"a",@progbits
	.p2align	6, 0x0
	.amdhsa_kernel _ZN9rocsparseL20bsrxmvn_17_32_kernelILj27E21rocsparse_complex_numIdEiidS2_S2_EEvT2_20rocsparse_direction_NS_24const_host_device_scalarIT0_EES3_PKS3_PKT1_SC_S9_PKT3_PKT4_S7_PT5_21rocsparse_index_base_b
		.amdhsa_group_segment_fixed_size 11664
		.amdhsa_private_segment_fixed_size 0
		.amdhsa_kernarg_size 112
		.amdhsa_user_sgpr_count 6
		.amdhsa_user_sgpr_private_segment_buffer 1
		.amdhsa_user_sgpr_dispatch_ptr 0
		.amdhsa_user_sgpr_queue_ptr 0
		.amdhsa_user_sgpr_kernarg_segment_ptr 1
		.amdhsa_user_sgpr_dispatch_id 0
		.amdhsa_user_sgpr_flat_scratch_init 0
		.amdhsa_user_sgpr_private_segment_size 0
		.amdhsa_uses_dynamic_stack 0
		.amdhsa_system_sgpr_private_segment_wavefront_offset 0
		.amdhsa_system_sgpr_workgroup_id_x 1
		.amdhsa_system_sgpr_workgroup_id_y 0
		.amdhsa_system_sgpr_workgroup_id_z 0
		.amdhsa_system_sgpr_workgroup_info 0
		.amdhsa_system_vgpr_workitem_id 0
		.amdhsa_next_free_vgpr 26
		.amdhsa_next_free_sgpr 61
		.amdhsa_reserve_vcc 1
		.amdhsa_reserve_flat_scratch 0
		.amdhsa_float_round_mode_32 0
		.amdhsa_float_round_mode_16_64 0
		.amdhsa_float_denorm_mode_32 3
		.amdhsa_float_denorm_mode_16_64 3
		.amdhsa_dx10_clamp 1
		.amdhsa_ieee_mode 1
		.amdhsa_fp16_overflow 0
		.amdhsa_exception_fp_ieee_invalid_op 0
		.amdhsa_exception_fp_denorm_src 0
		.amdhsa_exception_fp_ieee_div_zero 0
		.amdhsa_exception_fp_ieee_overflow 0
		.amdhsa_exception_fp_ieee_underflow 0
		.amdhsa_exception_fp_ieee_inexact 0
		.amdhsa_exception_int_div_zero 0
	.end_amdhsa_kernel
	.section	.text._ZN9rocsparseL20bsrxmvn_17_32_kernelILj27E21rocsparse_complex_numIdEiidS2_S2_EEvT2_20rocsparse_direction_NS_24const_host_device_scalarIT0_EES3_PKS3_PKT1_SC_S9_PKT3_PKT4_S7_PT5_21rocsparse_index_base_b,"axG",@progbits,_ZN9rocsparseL20bsrxmvn_17_32_kernelILj27E21rocsparse_complex_numIdEiidS2_S2_EEvT2_20rocsparse_direction_NS_24const_host_device_scalarIT0_EES3_PKS3_PKT1_SC_S9_PKT3_PKT4_S7_PT5_21rocsparse_index_base_b,comdat
.Lfunc_end442:
	.size	_ZN9rocsparseL20bsrxmvn_17_32_kernelILj27E21rocsparse_complex_numIdEiidS2_S2_EEvT2_20rocsparse_direction_NS_24const_host_device_scalarIT0_EES3_PKS3_PKT1_SC_S9_PKT3_PKT4_S7_PT5_21rocsparse_index_base_b, .Lfunc_end442-_ZN9rocsparseL20bsrxmvn_17_32_kernelILj27E21rocsparse_complex_numIdEiidS2_S2_EEvT2_20rocsparse_direction_NS_24const_host_device_scalarIT0_EES3_PKS3_PKT1_SC_S9_PKT3_PKT4_S7_PT5_21rocsparse_index_base_b
                                        ; -- End function
	.set _ZN9rocsparseL20bsrxmvn_17_32_kernelILj27E21rocsparse_complex_numIdEiidS2_S2_EEvT2_20rocsparse_direction_NS_24const_host_device_scalarIT0_EES3_PKS3_PKT1_SC_S9_PKT3_PKT4_S7_PT5_21rocsparse_index_base_b.num_vgpr, 26
	.set _ZN9rocsparseL20bsrxmvn_17_32_kernelILj27E21rocsparse_complex_numIdEiidS2_S2_EEvT2_20rocsparse_direction_NS_24const_host_device_scalarIT0_EES3_PKS3_PKT1_SC_S9_PKT3_PKT4_S7_PT5_21rocsparse_index_base_b.num_agpr, 0
	.set _ZN9rocsparseL20bsrxmvn_17_32_kernelILj27E21rocsparse_complex_numIdEiidS2_S2_EEvT2_20rocsparse_direction_NS_24const_host_device_scalarIT0_EES3_PKS3_PKT1_SC_S9_PKT3_PKT4_S7_PT5_21rocsparse_index_base_b.numbered_sgpr, 18
	.set _ZN9rocsparseL20bsrxmvn_17_32_kernelILj27E21rocsparse_complex_numIdEiidS2_S2_EEvT2_20rocsparse_direction_NS_24const_host_device_scalarIT0_EES3_PKS3_PKT1_SC_S9_PKT3_PKT4_S7_PT5_21rocsparse_index_base_b.num_named_barrier, 0
	.set _ZN9rocsparseL20bsrxmvn_17_32_kernelILj27E21rocsparse_complex_numIdEiidS2_S2_EEvT2_20rocsparse_direction_NS_24const_host_device_scalarIT0_EES3_PKS3_PKT1_SC_S9_PKT3_PKT4_S7_PT5_21rocsparse_index_base_b.private_seg_size, 0
	.set _ZN9rocsparseL20bsrxmvn_17_32_kernelILj27E21rocsparse_complex_numIdEiidS2_S2_EEvT2_20rocsparse_direction_NS_24const_host_device_scalarIT0_EES3_PKS3_PKT1_SC_S9_PKT3_PKT4_S7_PT5_21rocsparse_index_base_b.uses_vcc, 1
	.set _ZN9rocsparseL20bsrxmvn_17_32_kernelILj27E21rocsparse_complex_numIdEiidS2_S2_EEvT2_20rocsparse_direction_NS_24const_host_device_scalarIT0_EES3_PKS3_PKT1_SC_S9_PKT3_PKT4_S7_PT5_21rocsparse_index_base_b.uses_flat_scratch, 0
	.set _ZN9rocsparseL20bsrxmvn_17_32_kernelILj27E21rocsparse_complex_numIdEiidS2_S2_EEvT2_20rocsparse_direction_NS_24const_host_device_scalarIT0_EES3_PKS3_PKT1_SC_S9_PKT3_PKT4_S7_PT5_21rocsparse_index_base_b.has_dyn_sized_stack, 0
	.set _ZN9rocsparseL20bsrxmvn_17_32_kernelILj27E21rocsparse_complex_numIdEiidS2_S2_EEvT2_20rocsparse_direction_NS_24const_host_device_scalarIT0_EES3_PKS3_PKT1_SC_S9_PKT3_PKT4_S7_PT5_21rocsparse_index_base_b.has_recursion, 0
	.set _ZN9rocsparseL20bsrxmvn_17_32_kernelILj27E21rocsparse_complex_numIdEiidS2_S2_EEvT2_20rocsparse_direction_NS_24const_host_device_scalarIT0_EES3_PKS3_PKT1_SC_S9_PKT3_PKT4_S7_PT5_21rocsparse_index_base_b.has_indirect_call, 0
	.section	.AMDGPU.csdata,"",@progbits
; Kernel info:
; codeLenInByte = 1652
; TotalNumSgprs: 22
; NumVgprs: 26
; ScratchSize: 0
; MemoryBound: 0
; FloatMode: 240
; IeeeMode: 1
; LDSByteSize: 11664 bytes/workgroup (compile time only)
; SGPRBlocks: 8
; VGPRBlocks: 6
; NumSGPRsForWavesPerEU: 65
; NumVGPRsForWavesPerEU: 26
; Occupancy: 9
; WaveLimiterHint : 1
; COMPUTE_PGM_RSRC2:SCRATCH_EN: 0
; COMPUTE_PGM_RSRC2:USER_SGPR: 6
; COMPUTE_PGM_RSRC2:TRAP_HANDLER: 0
; COMPUTE_PGM_RSRC2:TGID_X_EN: 1
; COMPUTE_PGM_RSRC2:TGID_Y_EN: 0
; COMPUTE_PGM_RSRC2:TGID_Z_EN: 0
; COMPUTE_PGM_RSRC2:TIDIG_COMP_CNT: 0
	.section	.text._ZN9rocsparseL20bsrxmvn_17_32_kernelILj28E21rocsparse_complex_numIdEiidS2_S2_EEvT2_20rocsparse_direction_NS_24const_host_device_scalarIT0_EES3_PKS3_PKT1_SC_S9_PKT3_PKT4_S7_PT5_21rocsparse_index_base_b,"axG",@progbits,_ZN9rocsparseL20bsrxmvn_17_32_kernelILj28E21rocsparse_complex_numIdEiidS2_S2_EEvT2_20rocsparse_direction_NS_24const_host_device_scalarIT0_EES3_PKS3_PKT1_SC_S9_PKT3_PKT4_S7_PT5_21rocsparse_index_base_b,comdat
	.globl	_ZN9rocsparseL20bsrxmvn_17_32_kernelILj28E21rocsparse_complex_numIdEiidS2_S2_EEvT2_20rocsparse_direction_NS_24const_host_device_scalarIT0_EES3_PKS3_PKT1_SC_S9_PKT3_PKT4_S7_PT5_21rocsparse_index_base_b ; -- Begin function _ZN9rocsparseL20bsrxmvn_17_32_kernelILj28E21rocsparse_complex_numIdEiidS2_S2_EEvT2_20rocsparse_direction_NS_24const_host_device_scalarIT0_EES3_PKS3_PKT1_SC_S9_PKT3_PKT4_S7_PT5_21rocsparse_index_base_b
	.p2align	8
	.type	_ZN9rocsparseL20bsrxmvn_17_32_kernelILj28E21rocsparse_complex_numIdEiidS2_S2_EEvT2_20rocsparse_direction_NS_24const_host_device_scalarIT0_EES3_PKS3_PKT1_SC_S9_PKT3_PKT4_S7_PT5_21rocsparse_index_base_b,@function
_ZN9rocsparseL20bsrxmvn_17_32_kernelILj28E21rocsparse_complex_numIdEiidS2_S2_EEvT2_20rocsparse_direction_NS_24const_host_device_scalarIT0_EES3_PKS3_PKT1_SC_S9_PKT3_PKT4_S7_PT5_21rocsparse_index_base_b: ; @_ZN9rocsparseL20bsrxmvn_17_32_kernelILj28E21rocsparse_complex_numIdEiidS2_S2_EEvT2_20rocsparse_direction_NS_24const_host_device_scalarIT0_EES3_PKS3_PKT1_SC_S9_PKT3_PKT4_S7_PT5_21rocsparse_index_base_b
; %bb.0:
	s_load_dwordx2 s[0:1], s[4:5], 0x8
	s_load_dwordx2 s[14:15], s[4:5], 0x68
	s_add_u32 s7, s4, 8
	s_addc_u32 s8, s5, 0
	s_add_u32 s9, s4, 0x50
	s_addc_u32 s10, s5, 0
	s_waitcnt lgkmcnt(0)
	s_bitcmp1_b32 s15, 0
	s_cselect_b32 s1, s8, s1
	s_cselect_b32 s0, s7, s0
	v_mov_b32_e32 v1, s0
	v_mov_b32_e32 v2, s1
	flat_load_dwordx4 v[5:8], v[1:2]
	s_load_dwordx2 s[2:3], s[4:5], 0x50
	s_waitcnt lgkmcnt(0)
	s_cselect_b32 s0, s10, s3
	s_cselect_b32 s1, s9, s2
	v_mov_b32_e32 v1, s1
	v_mov_b32_e32 v2, s0
	flat_load_dwordx4 v[1:4], v[1:2]
	s_waitcnt vmcnt(0)
	v_cmp_eq_f64_e32 vcc, 0, v[5:6]
	v_cmp_eq_f64_e64 s[0:1], 0, v[7:8]
	s_and_b64 s[8:9], vcc, s[0:1]
	s_mov_b64 s[0:1], -1
	s_and_saveexec_b64 s[2:3], s[8:9]
	s_cbranch_execz .LBB443_2
; %bb.1:
	s_waitcnt lgkmcnt(0)
	v_cmp_neq_f64_e32 vcc, 1.0, v[1:2]
	v_cmp_neq_f64_e64 s[0:1], 0, v[3:4]
	s_or_b64 s[0:1], vcc, s[0:1]
	s_orn2_b64 s[0:1], s[0:1], exec
.LBB443_2:
	s_or_b64 exec, exec, s[2:3]
	s_and_saveexec_b64 s[2:3], s[0:1]
	s_cbranch_execz .LBB443_39
; %bb.3:
	s_load_dwordx4 s[0:3], s[4:5], 0x20
	s_load_dwordx2 s[8:9], s[4:5], 0x30
	s_waitcnt lgkmcnt(0)
	s_cmp_eq_u64 s[0:1], 0
	s_cbranch_scc1 .LBB443_5
; %bb.4:
	s_ashr_i32 s7, s6, 31
	s_lshl_b64 s[6:7], s[6:7], 2
	s_add_u32 s0, s0, s6
	s_addc_u32 s1, s1, s7
	s_load_dword s0, s[0:1], 0x0
	s_waitcnt lgkmcnt(0)
	s_sub_i32 s6, s0, s14
.LBB443_5:
	s_load_dword s0, s[4:5], 0x4
	s_load_dwordx2 s[12:13], s[4:5], 0x60
	v_mul_u32_u24_e32 v13, 0x925, v0
	v_mov_b32_e32 v9, 28
	v_mul_lo_u16_sdwa v14, v13, v9 dst_sel:DWORD dst_unused:UNUSED_PAD src0_sel:WORD_1 src1_sel:DWORD
	s_waitcnt lgkmcnt(0)
	s_cmp_eq_u32 s0, 1
	s_cselect_b64 vcc, -1, 0
	s_cmp_lg_u32 s0, 1
	s_cselect_b64 s[16:17], -1, 0
	s_ashr_i32 s7, s6, 31
	s_lshl_b64 s[0:1], s[6:7], 2
	s_add_u32 s2, s2, s0
	s_addc_u32 s3, s3, s1
	s_load_dword s15, s[2:3], 0x0
	s_add_u32 s2, s2, 4
	s_addc_u32 s3, s3, 0
	s_add_u32 s0, s8, s0
	s_addc_u32 s1, s9, s1
	s_cmp_eq_u64 s[8:9], 0
	s_cselect_b32 s1, s3, s1
	s_cselect_b32 s0, s2, s0
	s_load_dword s0, s[0:1], 0x0
	v_mov_b32_e32 v11, 0
	v_mov_b32_e32 v9, 0
	;; [unrolled: 1-line block ×4, first 2 shown]
	s_waitcnt lgkmcnt(0)
	s_cmp_ge_i32 s15, s0
	v_sub_u16_e32 v18, v0, v14
	s_cbranch_scc1 .LBB443_10
; %bb.6:
	s_load_dwordx2 s[2:3], s[4:5], 0x48
	s_load_dwordx4 s[8:11], s[4:5], 0x38
	s_sub_i32 s7, s0, s14
	s_mov_b32 s0, 0xffff
	s_movk_i32 s1, 0x310
	v_and_b32_sdwa v9, s0, v13 dst_sel:DWORD dst_unused:UNUSED_PAD src0_sel:DWORD src1_sel:WORD_1
	v_subrev_u32_e32 v10, 28, v9
	v_cmp_gt_u32_e64 s[0:1], s1, v0
	s_sub_i32 s15, s15, s14
	v_cndmask_b32_e64 v9, v10, v9, s[0:1]
	s_mul_i32 s1, s15, 0x1880
	s_mul_hi_i32 s0, s15, 0x1880
	s_waitcnt lgkmcnt(0)
	s_add_u32 s1, s10, s1
	v_cndmask_b32_e32 v13, v18, v9, vcc
	s_addc_u32 s0, s11, s0
	v_lshlrev_b32_e32 v9, 3, v0
	v_mov_b32_e32 v10, s0
	v_add_co_u32_e32 v14, vcc, s1, v9
	v_addc_co_u32_e32 v15, vcc, 0, v10, vcc
	s_movk_i32 s0, 0x30f
	v_mov_b32_e32 v11, 0
	v_cmp_lt_u32_e32 vcc, s0, v0
	v_mov_b32_e32 v12, 0
	s_mov_b32 s0, 0
	v_mov_b32_e32 v9, v11
	v_cndmask_b32_e64 v19, 0, 1, vcc
	s_brev_b32 s1, 1
	v_mov_b32_e32 v10, v12
	s_branch .LBB443_8
.LBB443_7:                              ;   in Loop: Header=BB443_8 Depth=1
	s_or_b64 exec, exec, s[4:5]
	s_add_i32 s15, s15, 1
	s_cmp_lt_i32 s15, s7
	s_cbranch_scc0 .LBB443_10
.LBB443_8:                              ; =>This Inner Loop Header: Depth=1
	v_add_u32_e32 v16, s15, v19
	v_cmp_gt_i32_e32 vcc, s7, v16
	s_and_saveexec_b64 s[4:5], vcc
	s_cbranch_execz .LBB443_7
; %bb.9:                                ;   in Loop: Header=BB443_8 Depth=1
	v_ashrrev_i32_e32 v17, 31, v16
	v_lshlrev_b64 v[16:17], 2, v[16:17]
	v_mov_b32_e32 v20, s9
	v_add_co_u32_e32 v16, vcc, s8, v16
	v_addc_co_u32_e32 v17, vcc, v20, v17, vcc
	global_load_dword v16, v[16:17], off
	v_mov_b32_e32 v20, s3
	global_load_dwordx2 v[24:25], v[14:15], off
	s_waitcnt vmcnt(1)
	v_subrev_u32_e32 v16, s14, v16
	v_mad_u64_u32 v[16:17], s[10:11], v16, 28, v[13:14]
	v_ashrrev_i32_e32 v17, 31, v16
	v_lshlrev_b64 v[16:17], 4, v[16:17]
	v_add_co_u32_e32 v16, vcc, s2, v16
	v_addc_co_u32_e32 v17, vcc, v20, v17, vcc
	global_load_dwordx4 v[20:23], v[16:17], off
	v_add_co_u32_e32 v14, vcc, 0x1880, v14
	v_addc_co_u32_e32 v15, vcc, 0, v15, vcc
	s_waitcnt vmcnt(0)
	v_fma_f64 v[9:10], v[24:25], v[20:21], v[9:10]
	v_fma_f64 v[11:12], v[20:21], 0, v[11:12]
	;; [unrolled: 1-line block ×4, first 2 shown]
	s_branch .LBB443_7
.LBB443_10:
	v_lshlrev_b32_e32 v17, 4, v0
	s_and_b64 vcc, exec, s[16:17]
	ds_write_b128 v17, v[9:12]
	s_waitcnt lgkmcnt(0)
	s_barrier
	s_cbranch_vccz .LBB443_22
; %bb.11:
	v_cmp_gt_u16_e32 vcc, 12, v18
	s_and_saveexec_b64 s[0:1], vcc
	s_cbranch_execz .LBB443_13
; %bb.12:
	ds_read_b128 v[13:16], v17 offset:256
	ds_read_b128 v[19:22], v17
	s_waitcnt lgkmcnt(0)
	v_add_f64 v[13:14], v[13:14], v[19:20]
	v_add_f64 v[15:16], v[15:16], v[21:22]
	ds_write_b128 v17, v[13:16]
.LBB443_13:
	s_or_b64 exec, exec, s[0:1]
	v_cmp_gt_u16_e32 vcc, 8, v18
	s_waitcnt lgkmcnt(0)
	s_barrier
	s_and_saveexec_b64 s[0:1], vcc
	s_cbranch_execz .LBB443_15
; %bb.14:
	ds_read_b128 v[13:16], v17 offset:128
	ds_read_b128 v[19:22], v17
	s_waitcnt lgkmcnt(0)
	v_add_f64 v[13:14], v[13:14], v[19:20]
	v_add_f64 v[15:16], v[15:16], v[21:22]
	ds_write_b128 v17, v[13:16]
.LBB443_15:
	s_or_b64 exec, exec, s[0:1]
	v_cmp_gt_u16_e32 vcc, 4, v18
	s_waitcnt lgkmcnt(0)
	s_barrier
	s_and_saveexec_b64 s[0:1], vcc
	s_cbranch_execz .LBB443_17
; %bb.16:
	ds_read_b128 v[13:16], v17 offset:64
	ds_read_b128 v[19:22], v17
	s_waitcnt lgkmcnt(0)
	v_add_f64 v[13:14], v[13:14], v[19:20]
	v_add_f64 v[15:16], v[15:16], v[21:22]
	ds_write_b128 v17, v[13:16]
.LBB443_17:
	s_or_b64 exec, exec, s[0:1]
	v_cmp_gt_u16_e32 vcc, 2, v18
	s_waitcnt lgkmcnt(0)
	s_barrier
	s_and_saveexec_b64 s[0:1], vcc
	s_cbranch_execz .LBB443_19
; %bb.18:
	ds_read_b128 v[13:16], v17
	ds_read_b128 v[18:21], v17 offset:32
	s_waitcnt lgkmcnt(0)
	v_add_f64 v[13:14], v[18:19], v[13:14]
	v_add_f64 v[15:16], v[20:21], v[15:16]
	ds_write_b128 v17, v[13:16]
.LBB443_19:
	s_or_b64 exec, exec, s[0:1]
	v_mov_b32_e32 v16, v12
	v_mov_b32_e32 v14, v10
	v_cmp_gt_u32_e32 vcc, 28, v0
	v_mov_b32_e32 v15, v11
	v_mov_b32_e32 v13, v9
	s_waitcnt lgkmcnt(0)
	s_barrier
	s_and_saveexec_b64 s[0:1], vcc
	s_cbranch_execz .LBB443_21
; %bb.20:
	s_movk_i32 s2, 0x1b0
	v_mad_u32_u24 v18, v0, s2, v17
	ds_read_b128 v[13:16], v18
	ds_read_b128 v[18:21], v18 offset:16
	s_waitcnt lgkmcnt(0)
	v_add_f64 v[13:14], v[18:19], v[13:14]
	v_add_f64 v[15:16], v[20:21], v[15:16]
.LBB443_21:
	s_or_b64 exec, exec, s[0:1]
	s_branch .LBB443_34
.LBB443_22:
                                        ; implicit-def: $vgpr15_vgpr16
                                        ; implicit-def: $vgpr13_vgpr14
	s_cbranch_execz .LBB443_34
; %bb.23:
	s_movk_i32 s0, 0x150
	v_cmp_gt_u32_e32 vcc, s0, v0
	s_and_saveexec_b64 s[0:1], vcc
	s_cbranch_execz .LBB443_25
; %bb.24:
	ds_read_b128 v[13:16], v17 offset:7168
	ds_read_b128 v[18:21], v17
	s_waitcnt lgkmcnt(0)
	v_add_f64 v[13:14], v[13:14], v[18:19]
	v_add_f64 v[15:16], v[15:16], v[20:21]
	ds_write_b128 v17, v[13:16]
.LBB443_25:
	s_or_b64 exec, exec, s[0:1]
	s_movk_i32 s0, 0xe0
	v_cmp_gt_u32_e32 vcc, s0, v0
	s_waitcnt lgkmcnt(0)
	s_barrier
	s_and_saveexec_b64 s[0:1], vcc
	s_cbranch_execz .LBB443_27
; %bb.26:
	ds_read_b128 v[13:16], v17 offset:3584
	ds_read_b128 v[18:21], v17
	s_waitcnt lgkmcnt(0)
	v_add_f64 v[13:14], v[13:14], v[18:19]
	v_add_f64 v[15:16], v[15:16], v[20:21]
	ds_write_b128 v17, v[13:16]
.LBB443_27:
	s_or_b64 exec, exec, s[0:1]
	s_movk_i32 s0, 0x70
	v_cmp_gt_u32_e32 vcc, s0, v0
	s_waitcnt lgkmcnt(0)
	s_barrier
	s_and_saveexec_b64 s[0:1], vcc
	s_cbranch_execz .LBB443_29
; %bb.28:
	ds_read_b128 v[13:16], v17 offset:1792
	ds_read_b128 v[18:21], v17
	s_waitcnt lgkmcnt(0)
	v_add_f64 v[13:14], v[13:14], v[18:19]
	v_add_f64 v[15:16], v[15:16], v[20:21]
	ds_write_b128 v17, v[13:16]
.LBB443_29:
	s_or_b64 exec, exec, s[0:1]
	v_cmp_gt_u32_e32 vcc, 56, v0
	s_waitcnt lgkmcnt(0)
	s_barrier
	s_and_saveexec_b64 s[0:1], vcc
	s_cbranch_execz .LBB443_31
; %bb.30:
	ds_read_b128 v[13:16], v17 offset:896
	ds_read_b128 v[18:21], v17
	s_waitcnt lgkmcnt(0)
	v_add_f64 v[13:14], v[13:14], v[18:19]
	v_add_f64 v[15:16], v[15:16], v[20:21]
	ds_write_b128 v17, v[13:16]
.LBB443_31:
	s_or_b64 exec, exec, s[0:1]
	v_cmp_gt_u32_e32 vcc, 28, v0
	s_waitcnt lgkmcnt(0)
	s_and_saveexec_b64 s[0:1], vcc
	s_cbranch_execz .LBB443_33
; %bb.32:
	ds_read_b128 v[9:12], v17 offset:448
	ds_read_b128 v[13:16], v17
	s_waitcnt lgkmcnt(0)
	v_add_f64 v[9:10], v[9:10], v[13:14]
	v_add_f64 v[11:12], v[11:12], v[15:16]
.LBB443_33:
	s_or_b64 exec, exec, s[0:1]
	v_mov_b32_e32 v16, v12
	v_mov_b32_e32 v14, v10
	;; [unrolled: 1-line block ×4, first 2 shown]
.LBB443_34:
	v_cmp_gt_u32_e32 vcc, 28, v0
	s_and_b64 exec, exec, vcc
	s_cbranch_execz .LBB443_39
; %bb.35:
	v_mul_f64 v[9:10], v[15:16], -v[7:8]
	v_mul_f64 v[11:12], v[5:6], v[15:16]
	v_cmp_eq_f64_e32 vcc, 0, v[1:2]
	v_cmp_eq_f64_e64 s[0:1], 0, v[3:4]
	v_fma_f64 v[5:6], v[5:6], v[13:14], v[9:10]
	v_fma_f64 v[7:8], v[7:8], v[13:14], v[11:12]
	s_and_b64 s[0:1], vcc, s[0:1]
	s_and_saveexec_b64 s[2:3], s[0:1]
	s_xor_b64 s[0:1], exec, s[2:3]
	s_cbranch_execz .LBB443_37
; %bb.36:
	v_mad_u64_u32 v[0:1], s[2:3], s6, 28, v[0:1]
	v_mov_b32_e32 v1, 0
	v_mov_b32_e32 v2, s13
	v_lshlrev_b64 v[0:1], 4, v[0:1]
	v_add_co_u32_e32 v0, vcc, s12, v0
	v_addc_co_u32_e32 v1, vcc, v2, v1, vcc
	global_store_dwordx4 v[0:1], v[5:8], off
                                        ; implicit-def: $vgpr0
                                        ; implicit-def: $vgpr1_vgpr2
                                        ; implicit-def: $vgpr5_vgpr6
.LBB443_37:
	s_andn2_saveexec_b64 s[0:1], s[0:1]
	s_cbranch_execz .LBB443_39
; %bb.38:
	v_mad_u64_u32 v[9:10], s[0:1], s6, 28, v[0:1]
	v_mov_b32_e32 v10, 0
	v_mov_b32_e32 v0, s13
	v_lshlrev_b64 v[9:10], 4, v[9:10]
	v_add_co_u32_e32 v13, vcc, s12, v9
	v_addc_co_u32_e32 v14, vcc, v0, v10, vcc
	global_load_dwordx4 v[9:12], v[13:14], off
	s_waitcnt vmcnt(0)
	v_fma_f64 v[5:6], v[1:2], v[9:10], v[5:6]
	v_fma_f64 v[7:8], v[3:4], v[9:10], v[7:8]
	v_fma_f64 v[3:4], -v[3:4], v[11:12], v[5:6]
	v_fma_f64 v[5:6], v[1:2], v[11:12], v[7:8]
	global_store_dwordx4 v[13:14], v[3:6], off
.LBB443_39:
	s_endpgm
	.section	.rodata,"a",@progbits
	.p2align	6, 0x0
	.amdhsa_kernel _ZN9rocsparseL20bsrxmvn_17_32_kernelILj28E21rocsparse_complex_numIdEiidS2_S2_EEvT2_20rocsparse_direction_NS_24const_host_device_scalarIT0_EES3_PKS3_PKT1_SC_S9_PKT3_PKT4_S7_PT5_21rocsparse_index_base_b
		.amdhsa_group_segment_fixed_size 12544
		.amdhsa_private_segment_fixed_size 0
		.amdhsa_kernarg_size 112
		.amdhsa_user_sgpr_count 6
		.amdhsa_user_sgpr_private_segment_buffer 1
		.amdhsa_user_sgpr_dispatch_ptr 0
		.amdhsa_user_sgpr_queue_ptr 0
		.amdhsa_user_sgpr_kernarg_segment_ptr 1
		.amdhsa_user_sgpr_dispatch_id 0
		.amdhsa_user_sgpr_flat_scratch_init 0
		.amdhsa_user_sgpr_private_segment_size 0
		.amdhsa_uses_dynamic_stack 0
		.amdhsa_system_sgpr_private_segment_wavefront_offset 0
		.amdhsa_system_sgpr_workgroup_id_x 1
		.amdhsa_system_sgpr_workgroup_id_y 0
		.amdhsa_system_sgpr_workgroup_id_z 0
		.amdhsa_system_sgpr_workgroup_info 0
		.amdhsa_system_vgpr_workitem_id 0
		.amdhsa_next_free_vgpr 26
		.amdhsa_next_free_sgpr 18
		.amdhsa_reserve_vcc 1
		.amdhsa_reserve_flat_scratch 0
		.amdhsa_float_round_mode_32 0
		.amdhsa_float_round_mode_16_64 0
		.amdhsa_float_denorm_mode_32 3
		.amdhsa_float_denorm_mode_16_64 3
		.amdhsa_dx10_clamp 1
		.amdhsa_ieee_mode 1
		.amdhsa_fp16_overflow 0
		.amdhsa_exception_fp_ieee_invalid_op 0
		.amdhsa_exception_fp_denorm_src 0
		.amdhsa_exception_fp_ieee_div_zero 0
		.amdhsa_exception_fp_ieee_overflow 0
		.amdhsa_exception_fp_ieee_underflow 0
		.amdhsa_exception_fp_ieee_inexact 0
		.amdhsa_exception_int_div_zero 0
	.end_amdhsa_kernel
	.section	.text._ZN9rocsparseL20bsrxmvn_17_32_kernelILj28E21rocsparse_complex_numIdEiidS2_S2_EEvT2_20rocsparse_direction_NS_24const_host_device_scalarIT0_EES3_PKS3_PKT1_SC_S9_PKT3_PKT4_S7_PT5_21rocsparse_index_base_b,"axG",@progbits,_ZN9rocsparseL20bsrxmvn_17_32_kernelILj28E21rocsparse_complex_numIdEiidS2_S2_EEvT2_20rocsparse_direction_NS_24const_host_device_scalarIT0_EES3_PKS3_PKT1_SC_S9_PKT3_PKT4_S7_PT5_21rocsparse_index_base_b,comdat
.Lfunc_end443:
	.size	_ZN9rocsparseL20bsrxmvn_17_32_kernelILj28E21rocsparse_complex_numIdEiidS2_S2_EEvT2_20rocsparse_direction_NS_24const_host_device_scalarIT0_EES3_PKS3_PKT1_SC_S9_PKT3_PKT4_S7_PT5_21rocsparse_index_base_b, .Lfunc_end443-_ZN9rocsparseL20bsrxmvn_17_32_kernelILj28E21rocsparse_complex_numIdEiidS2_S2_EEvT2_20rocsparse_direction_NS_24const_host_device_scalarIT0_EES3_PKS3_PKT1_SC_S9_PKT3_PKT4_S7_PT5_21rocsparse_index_base_b
                                        ; -- End function
	.set _ZN9rocsparseL20bsrxmvn_17_32_kernelILj28E21rocsparse_complex_numIdEiidS2_S2_EEvT2_20rocsparse_direction_NS_24const_host_device_scalarIT0_EES3_PKS3_PKT1_SC_S9_PKT3_PKT4_S7_PT5_21rocsparse_index_base_b.num_vgpr, 26
	.set _ZN9rocsparseL20bsrxmvn_17_32_kernelILj28E21rocsparse_complex_numIdEiidS2_S2_EEvT2_20rocsparse_direction_NS_24const_host_device_scalarIT0_EES3_PKS3_PKT1_SC_S9_PKT3_PKT4_S7_PT5_21rocsparse_index_base_b.num_agpr, 0
	.set _ZN9rocsparseL20bsrxmvn_17_32_kernelILj28E21rocsparse_complex_numIdEiidS2_S2_EEvT2_20rocsparse_direction_NS_24const_host_device_scalarIT0_EES3_PKS3_PKT1_SC_S9_PKT3_PKT4_S7_PT5_21rocsparse_index_base_b.numbered_sgpr, 18
	.set _ZN9rocsparseL20bsrxmvn_17_32_kernelILj28E21rocsparse_complex_numIdEiidS2_S2_EEvT2_20rocsparse_direction_NS_24const_host_device_scalarIT0_EES3_PKS3_PKT1_SC_S9_PKT3_PKT4_S7_PT5_21rocsparse_index_base_b.num_named_barrier, 0
	.set _ZN9rocsparseL20bsrxmvn_17_32_kernelILj28E21rocsparse_complex_numIdEiidS2_S2_EEvT2_20rocsparse_direction_NS_24const_host_device_scalarIT0_EES3_PKS3_PKT1_SC_S9_PKT3_PKT4_S7_PT5_21rocsparse_index_base_b.private_seg_size, 0
	.set _ZN9rocsparseL20bsrxmvn_17_32_kernelILj28E21rocsparse_complex_numIdEiidS2_S2_EEvT2_20rocsparse_direction_NS_24const_host_device_scalarIT0_EES3_PKS3_PKT1_SC_S9_PKT3_PKT4_S7_PT5_21rocsparse_index_base_b.uses_vcc, 1
	.set _ZN9rocsparseL20bsrxmvn_17_32_kernelILj28E21rocsparse_complex_numIdEiidS2_S2_EEvT2_20rocsparse_direction_NS_24const_host_device_scalarIT0_EES3_PKS3_PKT1_SC_S9_PKT3_PKT4_S7_PT5_21rocsparse_index_base_b.uses_flat_scratch, 0
	.set _ZN9rocsparseL20bsrxmvn_17_32_kernelILj28E21rocsparse_complex_numIdEiidS2_S2_EEvT2_20rocsparse_direction_NS_24const_host_device_scalarIT0_EES3_PKS3_PKT1_SC_S9_PKT3_PKT4_S7_PT5_21rocsparse_index_base_b.has_dyn_sized_stack, 0
	.set _ZN9rocsparseL20bsrxmvn_17_32_kernelILj28E21rocsparse_complex_numIdEiidS2_S2_EEvT2_20rocsparse_direction_NS_24const_host_device_scalarIT0_EES3_PKS3_PKT1_SC_S9_PKT3_PKT4_S7_PT5_21rocsparse_index_base_b.has_recursion, 0
	.set _ZN9rocsparseL20bsrxmvn_17_32_kernelILj28E21rocsparse_complex_numIdEiidS2_S2_EEvT2_20rocsparse_direction_NS_24const_host_device_scalarIT0_EES3_PKS3_PKT1_SC_S9_PKT3_PKT4_S7_PT5_21rocsparse_index_base_b.has_indirect_call, 0
	.section	.AMDGPU.csdata,"",@progbits
; Kernel info:
; codeLenInByte = 1652
; TotalNumSgprs: 22
; NumVgprs: 26
; ScratchSize: 0
; MemoryBound: 0
; FloatMode: 240
; IeeeMode: 1
; LDSByteSize: 12544 bytes/workgroup (compile time only)
; SGPRBlocks: 2
; VGPRBlocks: 6
; NumSGPRsForWavesPerEU: 22
; NumVGPRsForWavesPerEU: 26
; Occupancy: 9
; WaveLimiterHint : 1
; COMPUTE_PGM_RSRC2:SCRATCH_EN: 0
; COMPUTE_PGM_RSRC2:USER_SGPR: 6
; COMPUTE_PGM_RSRC2:TRAP_HANDLER: 0
; COMPUTE_PGM_RSRC2:TGID_X_EN: 1
; COMPUTE_PGM_RSRC2:TGID_Y_EN: 0
; COMPUTE_PGM_RSRC2:TGID_Z_EN: 0
; COMPUTE_PGM_RSRC2:TIDIG_COMP_CNT: 0
	.section	.text._ZN9rocsparseL20bsrxmvn_17_32_kernelILj29E21rocsparse_complex_numIdEiidS2_S2_EEvT2_20rocsparse_direction_NS_24const_host_device_scalarIT0_EES3_PKS3_PKT1_SC_S9_PKT3_PKT4_S7_PT5_21rocsparse_index_base_b,"axG",@progbits,_ZN9rocsparseL20bsrxmvn_17_32_kernelILj29E21rocsparse_complex_numIdEiidS2_S2_EEvT2_20rocsparse_direction_NS_24const_host_device_scalarIT0_EES3_PKS3_PKT1_SC_S9_PKT3_PKT4_S7_PT5_21rocsparse_index_base_b,comdat
	.globl	_ZN9rocsparseL20bsrxmvn_17_32_kernelILj29E21rocsparse_complex_numIdEiidS2_S2_EEvT2_20rocsparse_direction_NS_24const_host_device_scalarIT0_EES3_PKS3_PKT1_SC_S9_PKT3_PKT4_S7_PT5_21rocsparse_index_base_b ; -- Begin function _ZN9rocsparseL20bsrxmvn_17_32_kernelILj29E21rocsparse_complex_numIdEiidS2_S2_EEvT2_20rocsparse_direction_NS_24const_host_device_scalarIT0_EES3_PKS3_PKT1_SC_S9_PKT3_PKT4_S7_PT5_21rocsparse_index_base_b
	.p2align	8
	.type	_ZN9rocsparseL20bsrxmvn_17_32_kernelILj29E21rocsparse_complex_numIdEiidS2_S2_EEvT2_20rocsparse_direction_NS_24const_host_device_scalarIT0_EES3_PKS3_PKT1_SC_S9_PKT3_PKT4_S7_PT5_21rocsparse_index_base_b,@function
_ZN9rocsparseL20bsrxmvn_17_32_kernelILj29E21rocsparse_complex_numIdEiidS2_S2_EEvT2_20rocsparse_direction_NS_24const_host_device_scalarIT0_EES3_PKS3_PKT1_SC_S9_PKT3_PKT4_S7_PT5_21rocsparse_index_base_b: ; @_ZN9rocsparseL20bsrxmvn_17_32_kernelILj29E21rocsparse_complex_numIdEiidS2_S2_EEvT2_20rocsparse_direction_NS_24const_host_device_scalarIT0_EES3_PKS3_PKT1_SC_S9_PKT3_PKT4_S7_PT5_21rocsparse_index_base_b
; %bb.0:
	s_load_dwordx2 s[0:1], s[4:5], 0x8
	s_load_dwordx2 s[14:15], s[4:5], 0x68
	s_add_u32 s7, s4, 8
	s_addc_u32 s8, s5, 0
	s_add_u32 s9, s4, 0x50
	s_addc_u32 s10, s5, 0
	s_waitcnt lgkmcnt(0)
	s_bitcmp1_b32 s15, 0
	s_cselect_b32 s1, s8, s1
	s_cselect_b32 s0, s7, s0
	v_mov_b32_e32 v1, s0
	v_mov_b32_e32 v2, s1
	flat_load_dwordx4 v[5:8], v[1:2]
	s_load_dwordx2 s[2:3], s[4:5], 0x50
	s_waitcnt lgkmcnt(0)
	s_cselect_b32 s0, s10, s3
	s_cselect_b32 s1, s9, s2
	v_mov_b32_e32 v1, s1
	v_mov_b32_e32 v2, s0
	flat_load_dwordx4 v[1:4], v[1:2]
	s_waitcnt vmcnt(0)
	v_cmp_eq_f64_e32 vcc, 0, v[5:6]
	v_cmp_eq_f64_e64 s[0:1], 0, v[7:8]
	s_and_b64 s[8:9], vcc, s[0:1]
	s_mov_b64 s[0:1], -1
	s_and_saveexec_b64 s[2:3], s[8:9]
	s_cbranch_execz .LBB444_2
; %bb.1:
	s_waitcnt lgkmcnt(0)
	v_cmp_neq_f64_e32 vcc, 1.0, v[1:2]
	v_cmp_neq_f64_e64 s[0:1], 0, v[3:4]
	s_or_b64 s[0:1], vcc, s[0:1]
	s_orn2_b64 s[0:1], s[0:1], exec
.LBB444_2:
	s_or_b64 exec, exec, s[2:3]
	s_and_saveexec_b64 s[2:3], s[0:1]
	s_cbranch_execz .LBB444_39
; %bb.3:
	s_load_dwordx4 s[0:3], s[4:5], 0x20
	s_load_dwordx2 s[8:9], s[4:5], 0x30
	s_waitcnt lgkmcnt(0)
	s_cmp_eq_u64 s[0:1], 0
	s_cbranch_scc1 .LBB444_5
; %bb.4:
	s_ashr_i32 s7, s6, 31
	s_lshl_b64 s[6:7], s[6:7], 2
	s_add_u32 s0, s0, s6
	s_addc_u32 s1, s1, s7
	s_load_dword s0, s[0:1], 0x0
	s_waitcnt lgkmcnt(0)
	s_sub_i32 s6, s0, s14
.LBB444_5:
	s_load_dword s0, s[4:5], 0x4
	s_load_dwordx2 s[12:13], s[4:5], 0x60
	v_mul_u32_u24_e32 v13, 0x8d4, v0
	v_mov_b32_e32 v9, 29
	v_mul_lo_u16_sdwa v14, v13, v9 dst_sel:DWORD dst_unused:UNUSED_PAD src0_sel:WORD_1 src1_sel:DWORD
	s_waitcnt lgkmcnt(0)
	s_cmp_eq_u32 s0, 1
	s_cselect_b64 vcc, -1, 0
	s_cmp_lg_u32 s0, 1
	s_cselect_b64 s[16:17], -1, 0
	s_ashr_i32 s7, s6, 31
	s_lshl_b64 s[0:1], s[6:7], 2
	s_add_u32 s2, s2, s0
	s_addc_u32 s3, s3, s1
	s_load_dword s15, s[2:3], 0x0
	s_add_u32 s2, s2, 4
	s_addc_u32 s3, s3, 0
	s_add_u32 s0, s8, s0
	s_addc_u32 s1, s9, s1
	s_cmp_eq_u64 s[8:9], 0
	s_cselect_b32 s1, s3, s1
	s_cselect_b32 s0, s2, s0
	s_load_dword s0, s[0:1], 0x0
	v_mov_b32_e32 v11, 0
	v_mov_b32_e32 v9, 0
	;; [unrolled: 1-line block ×4, first 2 shown]
	s_waitcnt lgkmcnt(0)
	s_cmp_ge_i32 s15, s0
	v_sub_u16_e32 v18, v0, v14
	s_cbranch_scc1 .LBB444_10
; %bb.6:
	s_load_dwordx2 s[2:3], s[4:5], 0x48
	s_load_dwordx4 s[8:11], s[4:5], 0x38
	s_sub_i32 s7, s0, s14
	s_mov_b32 s0, 0xffff
	s_movk_i32 s1, 0x349
	v_and_b32_sdwa v9, s0, v13 dst_sel:DWORD dst_unused:UNUSED_PAD src0_sel:DWORD src1_sel:WORD_1
	v_subrev_u32_e32 v10, 29, v9
	v_cmp_gt_u32_e64 s[0:1], s1, v0
	s_sub_i32 s15, s15, s14
	v_cndmask_b32_e64 v9, v10, v9, s[0:1]
	s_mul_i32 s1, s15, 0x1a48
	s_mul_hi_i32 s0, s15, 0x1a48
	s_waitcnt lgkmcnt(0)
	s_add_u32 s1, s10, s1
	v_cndmask_b32_e32 v13, v18, v9, vcc
	s_addc_u32 s0, s11, s0
	v_lshlrev_b32_e32 v9, 3, v0
	v_mov_b32_e32 v10, s0
	v_add_co_u32_e32 v14, vcc, s1, v9
	v_addc_co_u32_e32 v15, vcc, 0, v10, vcc
	s_movk_i32 s0, 0x348
	v_mov_b32_e32 v11, 0
	v_cmp_lt_u32_e32 vcc, s0, v0
	v_mov_b32_e32 v12, 0
	s_mov_b32 s0, 0
	v_mov_b32_e32 v9, v11
	v_cndmask_b32_e64 v19, 0, 1, vcc
	s_brev_b32 s1, 1
	v_mov_b32_e32 v10, v12
	s_branch .LBB444_8
.LBB444_7:                              ;   in Loop: Header=BB444_8 Depth=1
	s_or_b64 exec, exec, s[4:5]
	s_add_i32 s15, s15, 1
	s_cmp_lt_i32 s15, s7
	s_cbranch_scc0 .LBB444_10
.LBB444_8:                              ; =>This Inner Loop Header: Depth=1
	v_add_u32_e32 v16, s15, v19
	v_cmp_gt_i32_e32 vcc, s7, v16
	s_and_saveexec_b64 s[4:5], vcc
	s_cbranch_execz .LBB444_7
; %bb.9:                                ;   in Loop: Header=BB444_8 Depth=1
	v_ashrrev_i32_e32 v17, 31, v16
	v_lshlrev_b64 v[16:17], 2, v[16:17]
	v_mov_b32_e32 v20, s9
	v_add_co_u32_e32 v16, vcc, s8, v16
	v_addc_co_u32_e32 v17, vcc, v20, v17, vcc
	global_load_dword v16, v[16:17], off
	v_mov_b32_e32 v20, s3
	global_load_dwordx2 v[24:25], v[14:15], off
	s_waitcnt vmcnt(1)
	v_subrev_u32_e32 v16, s14, v16
	v_mad_u64_u32 v[16:17], s[10:11], v16, 29, v[13:14]
	v_ashrrev_i32_e32 v17, 31, v16
	v_lshlrev_b64 v[16:17], 4, v[16:17]
	v_add_co_u32_e32 v16, vcc, s2, v16
	v_addc_co_u32_e32 v17, vcc, v20, v17, vcc
	global_load_dwordx4 v[20:23], v[16:17], off
	v_add_co_u32_e32 v14, vcc, 0x1a48, v14
	v_addc_co_u32_e32 v15, vcc, 0, v15, vcc
	s_waitcnt vmcnt(0)
	v_fma_f64 v[9:10], v[24:25], v[20:21], v[9:10]
	v_fma_f64 v[11:12], v[20:21], 0, v[11:12]
	;; [unrolled: 1-line block ×4, first 2 shown]
	s_branch .LBB444_7
.LBB444_10:
	v_lshlrev_b32_e32 v17, 4, v0
	s_and_b64 vcc, exec, s[16:17]
	ds_write_b128 v17, v[9:12]
	s_waitcnt lgkmcnt(0)
	s_barrier
	s_cbranch_vccz .LBB444_22
; %bb.11:
	v_cmp_gt_u16_e32 vcc, 13, v18
	s_and_saveexec_b64 s[0:1], vcc
	s_cbranch_execz .LBB444_13
; %bb.12:
	ds_read_b128 v[13:16], v17 offset:256
	ds_read_b128 v[19:22], v17
	s_waitcnt lgkmcnt(0)
	v_add_f64 v[13:14], v[13:14], v[19:20]
	v_add_f64 v[15:16], v[15:16], v[21:22]
	ds_write_b128 v17, v[13:16]
.LBB444_13:
	s_or_b64 exec, exec, s[0:1]
	v_cmp_gt_u16_e32 vcc, 8, v18
	s_waitcnt lgkmcnt(0)
	s_barrier
	s_and_saveexec_b64 s[0:1], vcc
	s_cbranch_execz .LBB444_15
; %bb.14:
	ds_read_b128 v[13:16], v17 offset:128
	ds_read_b128 v[19:22], v17
	s_waitcnt lgkmcnt(0)
	v_add_f64 v[13:14], v[13:14], v[19:20]
	v_add_f64 v[15:16], v[15:16], v[21:22]
	ds_write_b128 v17, v[13:16]
.LBB444_15:
	s_or_b64 exec, exec, s[0:1]
	v_cmp_gt_u16_e32 vcc, 4, v18
	s_waitcnt lgkmcnt(0)
	s_barrier
	;; [unrolled: 14-line block ×3, first 2 shown]
	s_and_saveexec_b64 s[0:1], vcc
	s_cbranch_execz .LBB444_19
; %bb.18:
	ds_read_b128 v[13:16], v17
	ds_read_b128 v[18:21], v17 offset:32
	s_waitcnt lgkmcnt(0)
	v_add_f64 v[13:14], v[18:19], v[13:14]
	v_add_f64 v[15:16], v[20:21], v[15:16]
	ds_write_b128 v17, v[13:16]
.LBB444_19:
	s_or_b64 exec, exec, s[0:1]
	v_mov_b32_e32 v16, v12
	v_mov_b32_e32 v14, v10
	v_cmp_gt_u32_e32 vcc, 29, v0
	v_mov_b32_e32 v15, v11
	v_mov_b32_e32 v13, v9
	s_waitcnt lgkmcnt(0)
	s_barrier
	s_and_saveexec_b64 s[0:1], vcc
	s_cbranch_execz .LBB444_21
; %bb.20:
	s_movk_i32 s2, 0x1c0
	v_mad_u32_u24 v18, v0, s2, v17
	ds_read_b128 v[13:16], v18
	ds_read_b128 v[18:21], v18 offset:16
	s_waitcnt lgkmcnt(0)
	v_add_f64 v[13:14], v[18:19], v[13:14]
	v_add_f64 v[15:16], v[20:21], v[15:16]
.LBB444_21:
	s_or_b64 exec, exec, s[0:1]
	s_branch .LBB444_34
.LBB444_22:
                                        ; implicit-def: $vgpr15_vgpr16
                                        ; implicit-def: $vgpr13_vgpr14
	s_cbranch_execz .LBB444_34
; %bb.23:
	s_movk_i32 s0, 0x179
	v_cmp_gt_u32_e32 vcc, s0, v0
	s_and_saveexec_b64 s[0:1], vcc
	s_cbranch_execz .LBB444_25
; %bb.24:
	ds_read_b128 v[13:16], v17 offset:7424
	ds_read_b128 v[18:21], v17
	s_waitcnt lgkmcnt(0)
	v_add_f64 v[13:14], v[13:14], v[18:19]
	v_add_f64 v[15:16], v[15:16], v[20:21]
	ds_write_b128 v17, v[13:16]
.LBB444_25:
	s_or_b64 exec, exec, s[0:1]
	s_movk_i32 s0, 0xe8
	v_cmp_gt_u32_e32 vcc, s0, v0
	s_waitcnt lgkmcnt(0)
	s_barrier
	s_and_saveexec_b64 s[0:1], vcc
	s_cbranch_execz .LBB444_27
; %bb.26:
	ds_read_b128 v[13:16], v17 offset:3712
	ds_read_b128 v[18:21], v17
	s_waitcnt lgkmcnt(0)
	v_add_f64 v[13:14], v[13:14], v[18:19]
	v_add_f64 v[15:16], v[15:16], v[20:21]
	ds_write_b128 v17, v[13:16]
.LBB444_27:
	s_or_b64 exec, exec, s[0:1]
	s_movk_i32 s0, 0x74
	v_cmp_gt_u32_e32 vcc, s0, v0
	s_waitcnt lgkmcnt(0)
	s_barrier
	s_and_saveexec_b64 s[0:1], vcc
	s_cbranch_execz .LBB444_29
; %bb.28:
	ds_read_b128 v[13:16], v17 offset:1856
	ds_read_b128 v[18:21], v17
	s_waitcnt lgkmcnt(0)
	v_add_f64 v[13:14], v[13:14], v[18:19]
	v_add_f64 v[15:16], v[15:16], v[20:21]
	ds_write_b128 v17, v[13:16]
.LBB444_29:
	s_or_b64 exec, exec, s[0:1]
	v_cmp_gt_u32_e32 vcc, 58, v0
	s_waitcnt lgkmcnt(0)
	s_barrier
	s_and_saveexec_b64 s[0:1], vcc
	s_cbranch_execz .LBB444_31
; %bb.30:
	ds_read_b128 v[13:16], v17 offset:928
	ds_read_b128 v[18:21], v17
	s_waitcnt lgkmcnt(0)
	v_add_f64 v[13:14], v[13:14], v[18:19]
	v_add_f64 v[15:16], v[15:16], v[20:21]
	ds_write_b128 v17, v[13:16]
.LBB444_31:
	s_or_b64 exec, exec, s[0:1]
	v_cmp_gt_u32_e32 vcc, 29, v0
	s_waitcnt lgkmcnt(0)
	s_and_saveexec_b64 s[0:1], vcc
	s_cbranch_execz .LBB444_33
; %bb.32:
	ds_read_b128 v[9:12], v17 offset:464
	ds_read_b128 v[13:16], v17
	s_waitcnt lgkmcnt(0)
	v_add_f64 v[9:10], v[9:10], v[13:14]
	v_add_f64 v[11:12], v[11:12], v[15:16]
.LBB444_33:
	s_or_b64 exec, exec, s[0:1]
	v_mov_b32_e32 v16, v12
	v_mov_b32_e32 v14, v10
	;; [unrolled: 1-line block ×4, first 2 shown]
.LBB444_34:
	v_cmp_gt_u32_e32 vcc, 29, v0
	s_and_b64 exec, exec, vcc
	s_cbranch_execz .LBB444_39
; %bb.35:
	v_mul_f64 v[9:10], v[15:16], -v[7:8]
	v_mul_f64 v[11:12], v[5:6], v[15:16]
	v_cmp_eq_f64_e32 vcc, 0, v[1:2]
	v_cmp_eq_f64_e64 s[0:1], 0, v[3:4]
	v_fma_f64 v[5:6], v[5:6], v[13:14], v[9:10]
	v_fma_f64 v[7:8], v[7:8], v[13:14], v[11:12]
	s_and_b64 s[0:1], vcc, s[0:1]
	s_and_saveexec_b64 s[2:3], s[0:1]
	s_xor_b64 s[0:1], exec, s[2:3]
	s_cbranch_execz .LBB444_37
; %bb.36:
	v_mad_u64_u32 v[0:1], s[2:3], s6, 29, v[0:1]
	v_mov_b32_e32 v1, 0
	v_mov_b32_e32 v2, s13
	v_lshlrev_b64 v[0:1], 4, v[0:1]
	v_add_co_u32_e32 v0, vcc, s12, v0
	v_addc_co_u32_e32 v1, vcc, v2, v1, vcc
	global_store_dwordx4 v[0:1], v[5:8], off
                                        ; implicit-def: $vgpr0
                                        ; implicit-def: $vgpr1_vgpr2
                                        ; implicit-def: $vgpr5_vgpr6
.LBB444_37:
	s_andn2_saveexec_b64 s[0:1], s[0:1]
	s_cbranch_execz .LBB444_39
; %bb.38:
	v_mad_u64_u32 v[9:10], s[0:1], s6, 29, v[0:1]
	v_mov_b32_e32 v10, 0
	v_mov_b32_e32 v0, s13
	v_lshlrev_b64 v[9:10], 4, v[9:10]
	v_add_co_u32_e32 v13, vcc, s12, v9
	v_addc_co_u32_e32 v14, vcc, v0, v10, vcc
	global_load_dwordx4 v[9:12], v[13:14], off
	s_waitcnt vmcnt(0)
	v_fma_f64 v[5:6], v[1:2], v[9:10], v[5:6]
	v_fma_f64 v[7:8], v[3:4], v[9:10], v[7:8]
	v_fma_f64 v[3:4], -v[3:4], v[11:12], v[5:6]
	v_fma_f64 v[5:6], v[1:2], v[11:12], v[7:8]
	global_store_dwordx4 v[13:14], v[3:6], off
.LBB444_39:
	s_endpgm
	.section	.rodata,"a",@progbits
	.p2align	6, 0x0
	.amdhsa_kernel _ZN9rocsparseL20bsrxmvn_17_32_kernelILj29E21rocsparse_complex_numIdEiidS2_S2_EEvT2_20rocsparse_direction_NS_24const_host_device_scalarIT0_EES3_PKS3_PKT1_SC_S9_PKT3_PKT4_S7_PT5_21rocsparse_index_base_b
		.amdhsa_group_segment_fixed_size 13456
		.amdhsa_private_segment_fixed_size 0
		.amdhsa_kernarg_size 112
		.amdhsa_user_sgpr_count 6
		.amdhsa_user_sgpr_private_segment_buffer 1
		.amdhsa_user_sgpr_dispatch_ptr 0
		.amdhsa_user_sgpr_queue_ptr 0
		.amdhsa_user_sgpr_kernarg_segment_ptr 1
		.amdhsa_user_sgpr_dispatch_id 0
		.amdhsa_user_sgpr_flat_scratch_init 0
		.amdhsa_user_sgpr_private_segment_size 0
		.amdhsa_uses_dynamic_stack 0
		.amdhsa_system_sgpr_private_segment_wavefront_offset 0
		.amdhsa_system_sgpr_workgroup_id_x 1
		.amdhsa_system_sgpr_workgroup_id_y 0
		.amdhsa_system_sgpr_workgroup_id_z 0
		.amdhsa_system_sgpr_workgroup_info 0
		.amdhsa_system_vgpr_workitem_id 0
		.amdhsa_next_free_vgpr 33
		.amdhsa_next_free_sgpr 77
		.amdhsa_reserve_vcc 1
		.amdhsa_reserve_flat_scratch 0
		.amdhsa_float_round_mode_32 0
		.amdhsa_float_round_mode_16_64 0
		.amdhsa_float_denorm_mode_32 3
		.amdhsa_float_denorm_mode_16_64 3
		.amdhsa_dx10_clamp 1
		.amdhsa_ieee_mode 1
		.amdhsa_fp16_overflow 0
		.amdhsa_exception_fp_ieee_invalid_op 0
		.amdhsa_exception_fp_denorm_src 0
		.amdhsa_exception_fp_ieee_div_zero 0
		.amdhsa_exception_fp_ieee_overflow 0
		.amdhsa_exception_fp_ieee_underflow 0
		.amdhsa_exception_fp_ieee_inexact 0
		.amdhsa_exception_int_div_zero 0
	.end_amdhsa_kernel
	.section	.text._ZN9rocsparseL20bsrxmvn_17_32_kernelILj29E21rocsparse_complex_numIdEiidS2_S2_EEvT2_20rocsparse_direction_NS_24const_host_device_scalarIT0_EES3_PKS3_PKT1_SC_S9_PKT3_PKT4_S7_PT5_21rocsparse_index_base_b,"axG",@progbits,_ZN9rocsparseL20bsrxmvn_17_32_kernelILj29E21rocsparse_complex_numIdEiidS2_S2_EEvT2_20rocsparse_direction_NS_24const_host_device_scalarIT0_EES3_PKS3_PKT1_SC_S9_PKT3_PKT4_S7_PT5_21rocsparse_index_base_b,comdat
.Lfunc_end444:
	.size	_ZN9rocsparseL20bsrxmvn_17_32_kernelILj29E21rocsparse_complex_numIdEiidS2_S2_EEvT2_20rocsparse_direction_NS_24const_host_device_scalarIT0_EES3_PKS3_PKT1_SC_S9_PKT3_PKT4_S7_PT5_21rocsparse_index_base_b, .Lfunc_end444-_ZN9rocsparseL20bsrxmvn_17_32_kernelILj29E21rocsparse_complex_numIdEiidS2_S2_EEvT2_20rocsparse_direction_NS_24const_host_device_scalarIT0_EES3_PKS3_PKT1_SC_S9_PKT3_PKT4_S7_PT5_21rocsparse_index_base_b
                                        ; -- End function
	.set _ZN9rocsparseL20bsrxmvn_17_32_kernelILj29E21rocsparse_complex_numIdEiidS2_S2_EEvT2_20rocsparse_direction_NS_24const_host_device_scalarIT0_EES3_PKS3_PKT1_SC_S9_PKT3_PKT4_S7_PT5_21rocsparse_index_base_b.num_vgpr, 26
	.set _ZN9rocsparseL20bsrxmvn_17_32_kernelILj29E21rocsparse_complex_numIdEiidS2_S2_EEvT2_20rocsparse_direction_NS_24const_host_device_scalarIT0_EES3_PKS3_PKT1_SC_S9_PKT3_PKT4_S7_PT5_21rocsparse_index_base_b.num_agpr, 0
	.set _ZN9rocsparseL20bsrxmvn_17_32_kernelILj29E21rocsparse_complex_numIdEiidS2_S2_EEvT2_20rocsparse_direction_NS_24const_host_device_scalarIT0_EES3_PKS3_PKT1_SC_S9_PKT3_PKT4_S7_PT5_21rocsparse_index_base_b.numbered_sgpr, 18
	.set _ZN9rocsparseL20bsrxmvn_17_32_kernelILj29E21rocsparse_complex_numIdEiidS2_S2_EEvT2_20rocsparse_direction_NS_24const_host_device_scalarIT0_EES3_PKS3_PKT1_SC_S9_PKT3_PKT4_S7_PT5_21rocsparse_index_base_b.num_named_barrier, 0
	.set _ZN9rocsparseL20bsrxmvn_17_32_kernelILj29E21rocsparse_complex_numIdEiidS2_S2_EEvT2_20rocsparse_direction_NS_24const_host_device_scalarIT0_EES3_PKS3_PKT1_SC_S9_PKT3_PKT4_S7_PT5_21rocsparse_index_base_b.private_seg_size, 0
	.set _ZN9rocsparseL20bsrxmvn_17_32_kernelILj29E21rocsparse_complex_numIdEiidS2_S2_EEvT2_20rocsparse_direction_NS_24const_host_device_scalarIT0_EES3_PKS3_PKT1_SC_S9_PKT3_PKT4_S7_PT5_21rocsparse_index_base_b.uses_vcc, 1
	.set _ZN9rocsparseL20bsrxmvn_17_32_kernelILj29E21rocsparse_complex_numIdEiidS2_S2_EEvT2_20rocsparse_direction_NS_24const_host_device_scalarIT0_EES3_PKS3_PKT1_SC_S9_PKT3_PKT4_S7_PT5_21rocsparse_index_base_b.uses_flat_scratch, 0
	.set _ZN9rocsparseL20bsrxmvn_17_32_kernelILj29E21rocsparse_complex_numIdEiidS2_S2_EEvT2_20rocsparse_direction_NS_24const_host_device_scalarIT0_EES3_PKS3_PKT1_SC_S9_PKT3_PKT4_S7_PT5_21rocsparse_index_base_b.has_dyn_sized_stack, 0
	.set _ZN9rocsparseL20bsrxmvn_17_32_kernelILj29E21rocsparse_complex_numIdEiidS2_S2_EEvT2_20rocsparse_direction_NS_24const_host_device_scalarIT0_EES3_PKS3_PKT1_SC_S9_PKT3_PKT4_S7_PT5_21rocsparse_index_base_b.has_recursion, 0
	.set _ZN9rocsparseL20bsrxmvn_17_32_kernelILj29E21rocsparse_complex_numIdEiidS2_S2_EEvT2_20rocsparse_direction_NS_24const_host_device_scalarIT0_EES3_PKS3_PKT1_SC_S9_PKT3_PKT4_S7_PT5_21rocsparse_index_base_b.has_indirect_call, 0
	.section	.AMDGPU.csdata,"",@progbits
; Kernel info:
; codeLenInByte = 1652
; TotalNumSgprs: 22
; NumVgprs: 26
; ScratchSize: 0
; MemoryBound: 0
; FloatMode: 240
; IeeeMode: 1
; LDSByteSize: 13456 bytes/workgroup (compile time only)
; SGPRBlocks: 10
; VGPRBlocks: 8
; NumSGPRsForWavesPerEU: 81
; NumVGPRsForWavesPerEU: 33
; Occupancy: 7
; WaveLimiterHint : 1
; COMPUTE_PGM_RSRC2:SCRATCH_EN: 0
; COMPUTE_PGM_RSRC2:USER_SGPR: 6
; COMPUTE_PGM_RSRC2:TRAP_HANDLER: 0
; COMPUTE_PGM_RSRC2:TGID_X_EN: 1
; COMPUTE_PGM_RSRC2:TGID_Y_EN: 0
; COMPUTE_PGM_RSRC2:TGID_Z_EN: 0
; COMPUTE_PGM_RSRC2:TIDIG_COMP_CNT: 0
	.section	.text._ZN9rocsparseL20bsrxmvn_17_32_kernelILj30E21rocsparse_complex_numIdEiidS2_S2_EEvT2_20rocsparse_direction_NS_24const_host_device_scalarIT0_EES3_PKS3_PKT1_SC_S9_PKT3_PKT4_S7_PT5_21rocsparse_index_base_b,"axG",@progbits,_ZN9rocsparseL20bsrxmvn_17_32_kernelILj30E21rocsparse_complex_numIdEiidS2_S2_EEvT2_20rocsparse_direction_NS_24const_host_device_scalarIT0_EES3_PKS3_PKT1_SC_S9_PKT3_PKT4_S7_PT5_21rocsparse_index_base_b,comdat
	.globl	_ZN9rocsparseL20bsrxmvn_17_32_kernelILj30E21rocsparse_complex_numIdEiidS2_S2_EEvT2_20rocsparse_direction_NS_24const_host_device_scalarIT0_EES3_PKS3_PKT1_SC_S9_PKT3_PKT4_S7_PT5_21rocsparse_index_base_b ; -- Begin function _ZN9rocsparseL20bsrxmvn_17_32_kernelILj30E21rocsparse_complex_numIdEiidS2_S2_EEvT2_20rocsparse_direction_NS_24const_host_device_scalarIT0_EES3_PKS3_PKT1_SC_S9_PKT3_PKT4_S7_PT5_21rocsparse_index_base_b
	.p2align	8
	.type	_ZN9rocsparseL20bsrxmvn_17_32_kernelILj30E21rocsparse_complex_numIdEiidS2_S2_EEvT2_20rocsparse_direction_NS_24const_host_device_scalarIT0_EES3_PKS3_PKT1_SC_S9_PKT3_PKT4_S7_PT5_21rocsparse_index_base_b,@function
_ZN9rocsparseL20bsrxmvn_17_32_kernelILj30E21rocsparse_complex_numIdEiidS2_S2_EEvT2_20rocsparse_direction_NS_24const_host_device_scalarIT0_EES3_PKS3_PKT1_SC_S9_PKT3_PKT4_S7_PT5_21rocsparse_index_base_b: ; @_ZN9rocsparseL20bsrxmvn_17_32_kernelILj30E21rocsparse_complex_numIdEiidS2_S2_EEvT2_20rocsparse_direction_NS_24const_host_device_scalarIT0_EES3_PKS3_PKT1_SC_S9_PKT3_PKT4_S7_PT5_21rocsparse_index_base_b
; %bb.0:
	s_load_dwordx2 s[0:1], s[4:5], 0x8
	s_load_dwordx2 s[14:15], s[4:5], 0x68
	s_add_u32 s7, s4, 8
	s_addc_u32 s8, s5, 0
	s_add_u32 s9, s4, 0x50
	s_addc_u32 s10, s5, 0
	s_waitcnt lgkmcnt(0)
	s_bitcmp1_b32 s15, 0
	s_cselect_b32 s1, s8, s1
	s_cselect_b32 s0, s7, s0
	v_mov_b32_e32 v1, s0
	v_mov_b32_e32 v2, s1
	flat_load_dwordx4 v[5:8], v[1:2]
	s_load_dwordx2 s[2:3], s[4:5], 0x50
	s_waitcnt lgkmcnt(0)
	s_cselect_b32 s0, s10, s3
	s_cselect_b32 s1, s9, s2
	v_mov_b32_e32 v1, s1
	v_mov_b32_e32 v2, s0
	flat_load_dwordx4 v[1:4], v[1:2]
	s_waitcnt vmcnt(0)
	v_cmp_eq_f64_e32 vcc, 0, v[5:6]
	v_cmp_eq_f64_e64 s[0:1], 0, v[7:8]
	s_and_b64 s[8:9], vcc, s[0:1]
	s_mov_b64 s[0:1], -1
	s_and_saveexec_b64 s[2:3], s[8:9]
	s_cbranch_execz .LBB445_2
; %bb.1:
	s_waitcnt lgkmcnt(0)
	v_cmp_neq_f64_e32 vcc, 1.0, v[1:2]
	v_cmp_neq_f64_e64 s[0:1], 0, v[3:4]
	s_or_b64 s[0:1], vcc, s[0:1]
	s_orn2_b64 s[0:1], s[0:1], exec
.LBB445_2:
	s_or_b64 exec, exec, s[2:3]
	s_and_saveexec_b64 s[2:3], s[0:1]
	s_cbranch_execz .LBB445_39
; %bb.3:
	s_load_dwordx4 s[0:3], s[4:5], 0x20
	s_load_dwordx2 s[8:9], s[4:5], 0x30
	s_waitcnt lgkmcnt(0)
	s_cmp_eq_u64 s[0:1], 0
	s_cbranch_scc1 .LBB445_5
; %bb.4:
	s_ashr_i32 s7, s6, 31
	s_lshl_b64 s[6:7], s[6:7], 2
	s_add_u32 s0, s0, s6
	s_addc_u32 s1, s1, s7
	s_load_dword s0, s[0:1], 0x0
	s_waitcnt lgkmcnt(0)
	s_sub_i32 s6, s0, s14
.LBB445_5:
	s_load_dword s0, s[4:5], 0x4
	s_load_dwordx2 s[12:13], s[4:5], 0x60
	v_mul_u32_u24_e32 v13, 0x889, v0
	v_mov_b32_e32 v9, 30
	v_mul_lo_u16_sdwa v14, v13, v9 dst_sel:DWORD dst_unused:UNUSED_PAD src0_sel:WORD_1 src1_sel:DWORD
	s_waitcnt lgkmcnt(0)
	s_cmp_eq_u32 s0, 1
	s_cselect_b64 vcc, -1, 0
	s_cmp_lg_u32 s0, 1
	s_cselect_b64 s[16:17], -1, 0
	s_ashr_i32 s7, s6, 31
	s_lshl_b64 s[0:1], s[6:7], 2
	s_add_u32 s2, s2, s0
	s_addc_u32 s3, s3, s1
	s_load_dword s15, s[2:3], 0x0
	s_add_u32 s2, s2, 4
	s_addc_u32 s3, s3, 0
	s_add_u32 s0, s8, s0
	s_addc_u32 s1, s9, s1
	s_cmp_eq_u64 s[8:9], 0
	s_cselect_b32 s1, s3, s1
	s_cselect_b32 s0, s2, s0
	s_load_dword s0, s[0:1], 0x0
	v_mov_b32_e32 v11, 0
	v_mov_b32_e32 v9, 0
	;; [unrolled: 1-line block ×4, first 2 shown]
	s_waitcnt lgkmcnt(0)
	s_cmp_ge_i32 s15, s0
	v_sub_u16_e32 v18, v0, v14
	s_cbranch_scc1 .LBB445_10
; %bb.6:
	s_load_dwordx2 s[2:3], s[4:5], 0x48
	s_load_dwordx4 s[8:11], s[4:5], 0x38
	s_sub_i32 s7, s0, s14
	s_mov_b32 s0, 0xffff
	s_movk_i32 s1, 0x384
	v_and_b32_sdwa v9, s0, v13 dst_sel:DWORD dst_unused:UNUSED_PAD src0_sel:DWORD src1_sel:WORD_1
	v_subrev_u32_e32 v10, 30, v9
	v_cmp_gt_u32_e64 s[0:1], s1, v0
	s_sub_i32 s15, s15, s14
	v_cndmask_b32_e64 v9, v10, v9, s[0:1]
	s_mul_i32 s1, s15, 0x1c20
	s_mul_hi_i32 s0, s15, 0x1c20
	s_waitcnt lgkmcnt(0)
	s_add_u32 s1, s10, s1
	v_cndmask_b32_e32 v13, v18, v9, vcc
	s_addc_u32 s0, s11, s0
	v_lshlrev_b32_e32 v9, 3, v0
	v_mov_b32_e32 v10, s0
	v_add_co_u32_e32 v14, vcc, s1, v9
	v_addc_co_u32_e32 v15, vcc, 0, v10, vcc
	s_movk_i32 s0, 0x383
	v_mov_b32_e32 v11, 0
	v_cmp_lt_u32_e32 vcc, s0, v0
	v_mov_b32_e32 v12, 0
	s_mov_b32 s0, 0
	v_mov_b32_e32 v9, v11
	v_cndmask_b32_e64 v19, 0, 1, vcc
	s_brev_b32 s1, 1
	v_mov_b32_e32 v10, v12
	s_branch .LBB445_8
.LBB445_7:                              ;   in Loop: Header=BB445_8 Depth=1
	s_or_b64 exec, exec, s[4:5]
	s_add_i32 s15, s15, 1
	s_cmp_lt_i32 s15, s7
	s_cbranch_scc0 .LBB445_10
.LBB445_8:                              ; =>This Inner Loop Header: Depth=1
	v_add_u32_e32 v16, s15, v19
	v_cmp_gt_i32_e32 vcc, s7, v16
	s_and_saveexec_b64 s[4:5], vcc
	s_cbranch_execz .LBB445_7
; %bb.9:                                ;   in Loop: Header=BB445_8 Depth=1
	v_ashrrev_i32_e32 v17, 31, v16
	v_lshlrev_b64 v[16:17], 2, v[16:17]
	v_mov_b32_e32 v20, s9
	v_add_co_u32_e32 v16, vcc, s8, v16
	v_addc_co_u32_e32 v17, vcc, v20, v17, vcc
	global_load_dword v16, v[16:17], off
	v_mov_b32_e32 v20, s3
	global_load_dwordx2 v[24:25], v[14:15], off
	s_waitcnt vmcnt(1)
	v_subrev_u32_e32 v16, s14, v16
	v_mad_u64_u32 v[16:17], s[10:11], v16, 30, v[13:14]
	v_ashrrev_i32_e32 v17, 31, v16
	v_lshlrev_b64 v[16:17], 4, v[16:17]
	v_add_co_u32_e32 v16, vcc, s2, v16
	v_addc_co_u32_e32 v17, vcc, v20, v17, vcc
	global_load_dwordx4 v[20:23], v[16:17], off
	v_add_co_u32_e32 v14, vcc, 0x1c20, v14
	v_addc_co_u32_e32 v15, vcc, 0, v15, vcc
	s_waitcnt vmcnt(0)
	v_fma_f64 v[9:10], v[24:25], v[20:21], v[9:10]
	v_fma_f64 v[11:12], v[20:21], 0, v[11:12]
	;; [unrolled: 1-line block ×4, first 2 shown]
	s_branch .LBB445_7
.LBB445_10:
	v_lshlrev_b32_e32 v17, 4, v0
	s_and_b64 vcc, exec, s[16:17]
	ds_write_b128 v17, v[9:12]
	s_waitcnt lgkmcnt(0)
	s_barrier
	s_cbranch_vccz .LBB445_22
; %bb.11:
	v_cmp_gt_u16_e32 vcc, 14, v18
	s_and_saveexec_b64 s[0:1], vcc
	s_cbranch_execz .LBB445_13
; %bb.12:
	ds_read_b128 v[13:16], v17 offset:256
	ds_read_b128 v[19:22], v17
	s_waitcnt lgkmcnt(0)
	v_add_f64 v[13:14], v[13:14], v[19:20]
	v_add_f64 v[15:16], v[15:16], v[21:22]
	ds_write_b128 v17, v[13:16]
.LBB445_13:
	s_or_b64 exec, exec, s[0:1]
	v_cmp_gt_u16_e32 vcc, 8, v18
	s_waitcnt lgkmcnt(0)
	s_barrier
	s_and_saveexec_b64 s[0:1], vcc
	s_cbranch_execz .LBB445_15
; %bb.14:
	ds_read_b128 v[13:16], v17 offset:128
	ds_read_b128 v[19:22], v17
	s_waitcnt lgkmcnt(0)
	v_add_f64 v[13:14], v[13:14], v[19:20]
	v_add_f64 v[15:16], v[15:16], v[21:22]
	ds_write_b128 v17, v[13:16]
.LBB445_15:
	s_or_b64 exec, exec, s[0:1]
	v_cmp_gt_u16_e32 vcc, 4, v18
	s_waitcnt lgkmcnt(0)
	s_barrier
	;; [unrolled: 14-line block ×3, first 2 shown]
	s_and_saveexec_b64 s[0:1], vcc
	s_cbranch_execz .LBB445_19
; %bb.18:
	ds_read_b128 v[13:16], v17
	ds_read_b128 v[18:21], v17 offset:32
	s_waitcnt lgkmcnt(0)
	v_add_f64 v[13:14], v[18:19], v[13:14]
	v_add_f64 v[15:16], v[20:21], v[15:16]
	ds_write_b128 v17, v[13:16]
.LBB445_19:
	s_or_b64 exec, exec, s[0:1]
	v_mov_b32_e32 v16, v12
	v_mov_b32_e32 v14, v10
	v_cmp_gt_u32_e32 vcc, 30, v0
	v_mov_b32_e32 v15, v11
	v_mov_b32_e32 v13, v9
	s_waitcnt lgkmcnt(0)
	s_barrier
	s_and_saveexec_b64 s[0:1], vcc
	s_cbranch_execz .LBB445_21
; %bb.20:
	s_movk_i32 s2, 0x1d0
	v_mad_u32_u24 v18, v0, s2, v17
	ds_read_b128 v[13:16], v18
	ds_read_b128 v[18:21], v18 offset:16
	s_waitcnt lgkmcnt(0)
	v_add_f64 v[13:14], v[18:19], v[13:14]
	v_add_f64 v[15:16], v[20:21], v[15:16]
.LBB445_21:
	s_or_b64 exec, exec, s[0:1]
	s_branch .LBB445_34
.LBB445_22:
                                        ; implicit-def: $vgpr15_vgpr16
                                        ; implicit-def: $vgpr13_vgpr14
	s_cbranch_execz .LBB445_34
; %bb.23:
	s_movk_i32 s0, 0x1a4
	v_cmp_gt_u32_e32 vcc, s0, v0
	s_and_saveexec_b64 s[0:1], vcc
	s_cbranch_execz .LBB445_25
; %bb.24:
	ds_read_b128 v[13:16], v17 offset:7680
	ds_read_b128 v[18:21], v17
	s_waitcnt lgkmcnt(0)
	v_add_f64 v[13:14], v[13:14], v[18:19]
	v_add_f64 v[15:16], v[15:16], v[20:21]
	ds_write_b128 v17, v[13:16]
.LBB445_25:
	s_or_b64 exec, exec, s[0:1]
	s_movk_i32 s0, 0xf0
	v_cmp_gt_u32_e32 vcc, s0, v0
	s_waitcnt lgkmcnt(0)
	s_barrier
	s_and_saveexec_b64 s[0:1], vcc
	s_cbranch_execz .LBB445_27
; %bb.26:
	ds_read_b128 v[13:16], v17 offset:3840
	ds_read_b128 v[18:21], v17
	s_waitcnt lgkmcnt(0)
	v_add_f64 v[13:14], v[13:14], v[18:19]
	v_add_f64 v[15:16], v[15:16], v[20:21]
	ds_write_b128 v17, v[13:16]
.LBB445_27:
	s_or_b64 exec, exec, s[0:1]
	s_movk_i32 s0, 0x78
	v_cmp_gt_u32_e32 vcc, s0, v0
	s_waitcnt lgkmcnt(0)
	s_barrier
	s_and_saveexec_b64 s[0:1], vcc
	s_cbranch_execz .LBB445_29
; %bb.28:
	ds_read_b128 v[13:16], v17 offset:1920
	ds_read_b128 v[18:21], v17
	s_waitcnt lgkmcnt(0)
	v_add_f64 v[13:14], v[13:14], v[18:19]
	v_add_f64 v[15:16], v[15:16], v[20:21]
	ds_write_b128 v17, v[13:16]
.LBB445_29:
	s_or_b64 exec, exec, s[0:1]
	v_cmp_gt_u32_e32 vcc, 60, v0
	s_waitcnt lgkmcnt(0)
	s_barrier
	s_and_saveexec_b64 s[0:1], vcc
	s_cbranch_execz .LBB445_31
; %bb.30:
	ds_read_b128 v[13:16], v17 offset:960
	ds_read_b128 v[18:21], v17
	s_waitcnt lgkmcnt(0)
	v_add_f64 v[13:14], v[13:14], v[18:19]
	v_add_f64 v[15:16], v[15:16], v[20:21]
	ds_write_b128 v17, v[13:16]
.LBB445_31:
	s_or_b64 exec, exec, s[0:1]
	v_cmp_gt_u32_e32 vcc, 30, v0
	s_waitcnt lgkmcnt(0)
	s_and_saveexec_b64 s[0:1], vcc
	s_cbranch_execz .LBB445_33
; %bb.32:
	ds_read_b128 v[9:12], v17 offset:480
	ds_read_b128 v[13:16], v17
	s_waitcnt lgkmcnt(0)
	v_add_f64 v[9:10], v[9:10], v[13:14]
	v_add_f64 v[11:12], v[11:12], v[15:16]
.LBB445_33:
	s_or_b64 exec, exec, s[0:1]
	v_mov_b32_e32 v16, v12
	v_mov_b32_e32 v14, v10
	;; [unrolled: 1-line block ×4, first 2 shown]
.LBB445_34:
	v_cmp_gt_u32_e32 vcc, 30, v0
	s_and_b64 exec, exec, vcc
	s_cbranch_execz .LBB445_39
; %bb.35:
	v_mul_f64 v[9:10], v[15:16], -v[7:8]
	v_mul_f64 v[11:12], v[5:6], v[15:16]
	v_cmp_eq_f64_e32 vcc, 0, v[1:2]
	v_cmp_eq_f64_e64 s[0:1], 0, v[3:4]
	v_fma_f64 v[5:6], v[5:6], v[13:14], v[9:10]
	v_fma_f64 v[7:8], v[7:8], v[13:14], v[11:12]
	s_and_b64 s[0:1], vcc, s[0:1]
	s_and_saveexec_b64 s[2:3], s[0:1]
	s_xor_b64 s[0:1], exec, s[2:3]
	s_cbranch_execz .LBB445_37
; %bb.36:
	v_mad_u64_u32 v[0:1], s[2:3], s6, 30, v[0:1]
	v_mov_b32_e32 v1, 0
	v_mov_b32_e32 v2, s13
	v_lshlrev_b64 v[0:1], 4, v[0:1]
	v_add_co_u32_e32 v0, vcc, s12, v0
	v_addc_co_u32_e32 v1, vcc, v2, v1, vcc
	global_store_dwordx4 v[0:1], v[5:8], off
                                        ; implicit-def: $vgpr0
                                        ; implicit-def: $vgpr1_vgpr2
                                        ; implicit-def: $vgpr5_vgpr6
.LBB445_37:
	s_andn2_saveexec_b64 s[0:1], s[0:1]
	s_cbranch_execz .LBB445_39
; %bb.38:
	v_mad_u64_u32 v[9:10], s[0:1], s6, 30, v[0:1]
	v_mov_b32_e32 v10, 0
	v_mov_b32_e32 v0, s13
	v_lshlrev_b64 v[9:10], 4, v[9:10]
	v_add_co_u32_e32 v13, vcc, s12, v9
	v_addc_co_u32_e32 v14, vcc, v0, v10, vcc
	global_load_dwordx4 v[9:12], v[13:14], off
	s_waitcnt vmcnt(0)
	v_fma_f64 v[5:6], v[1:2], v[9:10], v[5:6]
	v_fma_f64 v[7:8], v[3:4], v[9:10], v[7:8]
	v_fma_f64 v[3:4], -v[3:4], v[11:12], v[5:6]
	v_fma_f64 v[5:6], v[1:2], v[11:12], v[7:8]
	global_store_dwordx4 v[13:14], v[3:6], off
.LBB445_39:
	s_endpgm
	.section	.rodata,"a",@progbits
	.p2align	6, 0x0
	.amdhsa_kernel _ZN9rocsparseL20bsrxmvn_17_32_kernelILj30E21rocsparse_complex_numIdEiidS2_S2_EEvT2_20rocsparse_direction_NS_24const_host_device_scalarIT0_EES3_PKS3_PKT1_SC_S9_PKT3_PKT4_S7_PT5_21rocsparse_index_base_b
		.amdhsa_group_segment_fixed_size 14400
		.amdhsa_private_segment_fixed_size 0
		.amdhsa_kernarg_size 112
		.amdhsa_user_sgpr_count 6
		.amdhsa_user_sgpr_private_segment_buffer 1
		.amdhsa_user_sgpr_dispatch_ptr 0
		.amdhsa_user_sgpr_queue_ptr 0
		.amdhsa_user_sgpr_kernarg_segment_ptr 1
		.amdhsa_user_sgpr_dispatch_id 0
		.amdhsa_user_sgpr_flat_scratch_init 0
		.amdhsa_user_sgpr_private_segment_size 0
		.amdhsa_uses_dynamic_stack 0
		.amdhsa_system_sgpr_private_segment_wavefront_offset 0
		.amdhsa_system_sgpr_workgroup_id_x 1
		.amdhsa_system_sgpr_workgroup_id_y 0
		.amdhsa_system_sgpr_workgroup_id_z 0
		.amdhsa_system_sgpr_workgroup_info 0
		.amdhsa_system_vgpr_workitem_id 0
		.amdhsa_next_free_vgpr 29
		.amdhsa_next_free_sgpr 61
		.amdhsa_reserve_vcc 1
		.amdhsa_reserve_flat_scratch 0
		.amdhsa_float_round_mode_32 0
		.amdhsa_float_round_mode_16_64 0
		.amdhsa_float_denorm_mode_32 3
		.amdhsa_float_denorm_mode_16_64 3
		.amdhsa_dx10_clamp 1
		.amdhsa_ieee_mode 1
		.amdhsa_fp16_overflow 0
		.amdhsa_exception_fp_ieee_invalid_op 0
		.amdhsa_exception_fp_denorm_src 0
		.amdhsa_exception_fp_ieee_div_zero 0
		.amdhsa_exception_fp_ieee_overflow 0
		.amdhsa_exception_fp_ieee_underflow 0
		.amdhsa_exception_fp_ieee_inexact 0
		.amdhsa_exception_int_div_zero 0
	.end_amdhsa_kernel
	.section	.text._ZN9rocsparseL20bsrxmvn_17_32_kernelILj30E21rocsparse_complex_numIdEiidS2_S2_EEvT2_20rocsparse_direction_NS_24const_host_device_scalarIT0_EES3_PKS3_PKT1_SC_S9_PKT3_PKT4_S7_PT5_21rocsparse_index_base_b,"axG",@progbits,_ZN9rocsparseL20bsrxmvn_17_32_kernelILj30E21rocsparse_complex_numIdEiidS2_S2_EEvT2_20rocsparse_direction_NS_24const_host_device_scalarIT0_EES3_PKS3_PKT1_SC_S9_PKT3_PKT4_S7_PT5_21rocsparse_index_base_b,comdat
.Lfunc_end445:
	.size	_ZN9rocsparseL20bsrxmvn_17_32_kernelILj30E21rocsparse_complex_numIdEiidS2_S2_EEvT2_20rocsparse_direction_NS_24const_host_device_scalarIT0_EES3_PKS3_PKT1_SC_S9_PKT3_PKT4_S7_PT5_21rocsparse_index_base_b, .Lfunc_end445-_ZN9rocsparseL20bsrxmvn_17_32_kernelILj30E21rocsparse_complex_numIdEiidS2_S2_EEvT2_20rocsparse_direction_NS_24const_host_device_scalarIT0_EES3_PKS3_PKT1_SC_S9_PKT3_PKT4_S7_PT5_21rocsparse_index_base_b
                                        ; -- End function
	.set _ZN9rocsparseL20bsrxmvn_17_32_kernelILj30E21rocsparse_complex_numIdEiidS2_S2_EEvT2_20rocsparse_direction_NS_24const_host_device_scalarIT0_EES3_PKS3_PKT1_SC_S9_PKT3_PKT4_S7_PT5_21rocsparse_index_base_b.num_vgpr, 26
	.set _ZN9rocsparseL20bsrxmvn_17_32_kernelILj30E21rocsparse_complex_numIdEiidS2_S2_EEvT2_20rocsparse_direction_NS_24const_host_device_scalarIT0_EES3_PKS3_PKT1_SC_S9_PKT3_PKT4_S7_PT5_21rocsparse_index_base_b.num_agpr, 0
	.set _ZN9rocsparseL20bsrxmvn_17_32_kernelILj30E21rocsparse_complex_numIdEiidS2_S2_EEvT2_20rocsparse_direction_NS_24const_host_device_scalarIT0_EES3_PKS3_PKT1_SC_S9_PKT3_PKT4_S7_PT5_21rocsparse_index_base_b.numbered_sgpr, 18
	.set _ZN9rocsparseL20bsrxmvn_17_32_kernelILj30E21rocsparse_complex_numIdEiidS2_S2_EEvT2_20rocsparse_direction_NS_24const_host_device_scalarIT0_EES3_PKS3_PKT1_SC_S9_PKT3_PKT4_S7_PT5_21rocsparse_index_base_b.num_named_barrier, 0
	.set _ZN9rocsparseL20bsrxmvn_17_32_kernelILj30E21rocsparse_complex_numIdEiidS2_S2_EEvT2_20rocsparse_direction_NS_24const_host_device_scalarIT0_EES3_PKS3_PKT1_SC_S9_PKT3_PKT4_S7_PT5_21rocsparse_index_base_b.private_seg_size, 0
	.set _ZN9rocsparseL20bsrxmvn_17_32_kernelILj30E21rocsparse_complex_numIdEiidS2_S2_EEvT2_20rocsparse_direction_NS_24const_host_device_scalarIT0_EES3_PKS3_PKT1_SC_S9_PKT3_PKT4_S7_PT5_21rocsparse_index_base_b.uses_vcc, 1
	.set _ZN9rocsparseL20bsrxmvn_17_32_kernelILj30E21rocsparse_complex_numIdEiidS2_S2_EEvT2_20rocsparse_direction_NS_24const_host_device_scalarIT0_EES3_PKS3_PKT1_SC_S9_PKT3_PKT4_S7_PT5_21rocsparse_index_base_b.uses_flat_scratch, 0
	.set _ZN9rocsparseL20bsrxmvn_17_32_kernelILj30E21rocsparse_complex_numIdEiidS2_S2_EEvT2_20rocsparse_direction_NS_24const_host_device_scalarIT0_EES3_PKS3_PKT1_SC_S9_PKT3_PKT4_S7_PT5_21rocsparse_index_base_b.has_dyn_sized_stack, 0
	.set _ZN9rocsparseL20bsrxmvn_17_32_kernelILj30E21rocsparse_complex_numIdEiidS2_S2_EEvT2_20rocsparse_direction_NS_24const_host_device_scalarIT0_EES3_PKS3_PKT1_SC_S9_PKT3_PKT4_S7_PT5_21rocsparse_index_base_b.has_recursion, 0
	.set _ZN9rocsparseL20bsrxmvn_17_32_kernelILj30E21rocsparse_complex_numIdEiidS2_S2_EEvT2_20rocsparse_direction_NS_24const_host_device_scalarIT0_EES3_PKS3_PKT1_SC_S9_PKT3_PKT4_S7_PT5_21rocsparse_index_base_b.has_indirect_call, 0
	.section	.AMDGPU.csdata,"",@progbits
; Kernel info:
; codeLenInByte = 1652
; TotalNumSgprs: 22
; NumVgprs: 26
; ScratchSize: 0
; MemoryBound: 0
; FloatMode: 240
; IeeeMode: 1
; LDSByteSize: 14400 bytes/workgroup (compile time only)
; SGPRBlocks: 8
; VGPRBlocks: 7
; NumSGPRsForWavesPerEU: 65
; NumVGPRsForWavesPerEU: 29
; Occupancy: 8
; WaveLimiterHint : 1
; COMPUTE_PGM_RSRC2:SCRATCH_EN: 0
; COMPUTE_PGM_RSRC2:USER_SGPR: 6
; COMPUTE_PGM_RSRC2:TRAP_HANDLER: 0
; COMPUTE_PGM_RSRC2:TGID_X_EN: 1
; COMPUTE_PGM_RSRC2:TGID_Y_EN: 0
; COMPUTE_PGM_RSRC2:TGID_Z_EN: 0
; COMPUTE_PGM_RSRC2:TIDIG_COMP_CNT: 0
	.section	.text._ZN9rocsparseL20bsrxmvn_17_32_kernelILj31E21rocsparse_complex_numIdEiidS2_S2_EEvT2_20rocsparse_direction_NS_24const_host_device_scalarIT0_EES3_PKS3_PKT1_SC_S9_PKT3_PKT4_S7_PT5_21rocsparse_index_base_b,"axG",@progbits,_ZN9rocsparseL20bsrxmvn_17_32_kernelILj31E21rocsparse_complex_numIdEiidS2_S2_EEvT2_20rocsparse_direction_NS_24const_host_device_scalarIT0_EES3_PKS3_PKT1_SC_S9_PKT3_PKT4_S7_PT5_21rocsparse_index_base_b,comdat
	.globl	_ZN9rocsparseL20bsrxmvn_17_32_kernelILj31E21rocsparse_complex_numIdEiidS2_S2_EEvT2_20rocsparse_direction_NS_24const_host_device_scalarIT0_EES3_PKS3_PKT1_SC_S9_PKT3_PKT4_S7_PT5_21rocsparse_index_base_b ; -- Begin function _ZN9rocsparseL20bsrxmvn_17_32_kernelILj31E21rocsparse_complex_numIdEiidS2_S2_EEvT2_20rocsparse_direction_NS_24const_host_device_scalarIT0_EES3_PKS3_PKT1_SC_S9_PKT3_PKT4_S7_PT5_21rocsparse_index_base_b
	.p2align	8
	.type	_ZN9rocsparseL20bsrxmvn_17_32_kernelILj31E21rocsparse_complex_numIdEiidS2_S2_EEvT2_20rocsparse_direction_NS_24const_host_device_scalarIT0_EES3_PKS3_PKT1_SC_S9_PKT3_PKT4_S7_PT5_21rocsparse_index_base_b,@function
_ZN9rocsparseL20bsrxmvn_17_32_kernelILj31E21rocsparse_complex_numIdEiidS2_S2_EEvT2_20rocsparse_direction_NS_24const_host_device_scalarIT0_EES3_PKS3_PKT1_SC_S9_PKT3_PKT4_S7_PT5_21rocsparse_index_base_b: ; @_ZN9rocsparseL20bsrxmvn_17_32_kernelILj31E21rocsparse_complex_numIdEiidS2_S2_EEvT2_20rocsparse_direction_NS_24const_host_device_scalarIT0_EES3_PKS3_PKT1_SC_S9_PKT3_PKT4_S7_PT5_21rocsparse_index_base_b
; %bb.0:
	s_load_dwordx2 s[0:1], s[4:5], 0x8
	s_load_dwordx2 s[14:15], s[4:5], 0x68
	s_add_u32 s7, s4, 8
	s_addc_u32 s8, s5, 0
	s_add_u32 s9, s4, 0x50
	s_addc_u32 s10, s5, 0
	s_waitcnt lgkmcnt(0)
	s_bitcmp1_b32 s15, 0
	s_cselect_b32 s1, s8, s1
	s_cselect_b32 s0, s7, s0
	v_mov_b32_e32 v1, s0
	v_mov_b32_e32 v2, s1
	flat_load_dwordx4 v[5:8], v[1:2]
	s_load_dwordx2 s[2:3], s[4:5], 0x50
	s_waitcnt lgkmcnt(0)
	s_cselect_b32 s0, s10, s3
	s_cselect_b32 s1, s9, s2
	v_mov_b32_e32 v1, s1
	v_mov_b32_e32 v2, s0
	flat_load_dwordx4 v[1:4], v[1:2]
	s_waitcnt vmcnt(0)
	v_cmp_eq_f64_e32 vcc, 0, v[5:6]
	v_cmp_eq_f64_e64 s[0:1], 0, v[7:8]
	s_and_b64 s[8:9], vcc, s[0:1]
	s_mov_b64 s[0:1], -1
	s_and_saveexec_b64 s[2:3], s[8:9]
	s_cbranch_execz .LBB446_2
; %bb.1:
	s_waitcnt lgkmcnt(0)
	v_cmp_neq_f64_e32 vcc, 1.0, v[1:2]
	v_cmp_neq_f64_e64 s[0:1], 0, v[3:4]
	s_or_b64 s[0:1], vcc, s[0:1]
	s_orn2_b64 s[0:1], s[0:1], exec
.LBB446_2:
	s_or_b64 exec, exec, s[2:3]
	s_and_saveexec_b64 s[2:3], s[0:1]
	s_cbranch_execz .LBB446_39
; %bb.3:
	s_load_dwordx4 s[0:3], s[4:5], 0x20
	s_load_dwordx2 s[8:9], s[4:5], 0x30
	s_waitcnt lgkmcnt(0)
	s_cmp_eq_u64 s[0:1], 0
	s_cbranch_scc1 .LBB446_5
; %bb.4:
	s_ashr_i32 s7, s6, 31
	s_lshl_b64 s[6:7], s[6:7], 2
	s_add_u32 s0, s0, s6
	s_addc_u32 s1, s1, s7
	s_load_dword s0, s[0:1], 0x0
	s_waitcnt lgkmcnt(0)
	s_sub_i32 s6, s0, s14
.LBB446_5:
	s_load_dword s0, s[4:5], 0x4
	s_load_dwordx2 s[12:13], s[4:5], 0x60
	v_mul_u32_u24_e32 v13, 0x843, v0
	v_mov_b32_e32 v9, 31
	v_mul_lo_u16_sdwa v14, v13, v9 dst_sel:DWORD dst_unused:UNUSED_PAD src0_sel:WORD_1 src1_sel:DWORD
	s_waitcnt lgkmcnt(0)
	s_cmp_eq_u32 s0, 1
	s_cselect_b64 vcc, -1, 0
	s_cmp_lg_u32 s0, 1
	s_cselect_b64 s[16:17], -1, 0
	s_ashr_i32 s7, s6, 31
	s_lshl_b64 s[0:1], s[6:7], 2
	s_add_u32 s2, s2, s0
	s_addc_u32 s3, s3, s1
	s_load_dword s15, s[2:3], 0x0
	s_add_u32 s2, s2, 4
	s_addc_u32 s3, s3, 0
	s_add_u32 s0, s8, s0
	s_addc_u32 s1, s9, s1
	s_cmp_eq_u64 s[8:9], 0
	s_cselect_b32 s1, s3, s1
	s_cselect_b32 s0, s2, s0
	s_load_dword s0, s[0:1], 0x0
	v_mov_b32_e32 v11, 0
	v_mov_b32_e32 v9, 0
	;; [unrolled: 1-line block ×4, first 2 shown]
	s_waitcnt lgkmcnt(0)
	s_cmp_ge_i32 s15, s0
	v_sub_u16_e32 v18, v0, v14
	s_cbranch_scc1 .LBB446_10
; %bb.6:
	s_load_dwordx2 s[2:3], s[4:5], 0x48
	s_load_dwordx4 s[8:11], s[4:5], 0x38
	s_sub_i32 s7, s0, s14
	s_mov_b32 s0, 0xffff
	s_movk_i32 s1, 0x3c1
	v_and_b32_sdwa v9, s0, v13 dst_sel:DWORD dst_unused:UNUSED_PAD src0_sel:DWORD src1_sel:WORD_1
	v_subrev_u32_e32 v10, 31, v9
	v_cmp_gt_u32_e64 s[0:1], s1, v0
	s_sub_i32 s15, s15, s14
	v_cndmask_b32_e64 v9, v10, v9, s[0:1]
	s_mul_i32 s1, s15, 0x1e08
	s_mul_hi_i32 s0, s15, 0x1e08
	s_waitcnt lgkmcnt(0)
	s_add_u32 s1, s10, s1
	v_cndmask_b32_e32 v13, v18, v9, vcc
	s_addc_u32 s0, s11, s0
	v_lshlrev_b32_e32 v9, 3, v0
	v_mov_b32_e32 v10, s0
	v_add_co_u32_e32 v14, vcc, s1, v9
	v_addc_co_u32_e32 v15, vcc, 0, v10, vcc
	s_movk_i32 s0, 0x3c0
	v_mov_b32_e32 v11, 0
	v_cmp_lt_u32_e32 vcc, s0, v0
	v_mov_b32_e32 v12, 0
	s_mov_b32 s0, 0
	v_mov_b32_e32 v9, v11
	v_cndmask_b32_e64 v19, 0, 1, vcc
	s_brev_b32 s1, 1
	v_mov_b32_e32 v10, v12
	s_branch .LBB446_8
.LBB446_7:                              ;   in Loop: Header=BB446_8 Depth=1
	s_or_b64 exec, exec, s[4:5]
	s_add_i32 s15, s15, 1
	s_cmp_lt_i32 s15, s7
	s_cbranch_scc0 .LBB446_10
.LBB446_8:                              ; =>This Inner Loop Header: Depth=1
	v_add_u32_e32 v16, s15, v19
	v_cmp_gt_i32_e32 vcc, s7, v16
	s_and_saveexec_b64 s[4:5], vcc
	s_cbranch_execz .LBB446_7
; %bb.9:                                ;   in Loop: Header=BB446_8 Depth=1
	v_ashrrev_i32_e32 v17, 31, v16
	v_lshlrev_b64 v[16:17], 2, v[16:17]
	v_mov_b32_e32 v20, s9
	v_add_co_u32_e32 v16, vcc, s8, v16
	v_addc_co_u32_e32 v17, vcc, v20, v17, vcc
	global_load_dword v16, v[16:17], off
	v_mov_b32_e32 v20, s3
	global_load_dwordx2 v[24:25], v[14:15], off
	s_waitcnt vmcnt(1)
	v_subrev_u32_e32 v16, s14, v16
	v_mad_u64_u32 v[16:17], s[10:11], v16, 31, v[13:14]
	v_ashrrev_i32_e32 v17, 31, v16
	v_lshlrev_b64 v[16:17], 4, v[16:17]
	v_add_co_u32_e32 v16, vcc, s2, v16
	v_addc_co_u32_e32 v17, vcc, v20, v17, vcc
	global_load_dwordx4 v[20:23], v[16:17], off
	v_add_co_u32_e32 v14, vcc, 0x1e08, v14
	v_addc_co_u32_e32 v15, vcc, 0, v15, vcc
	s_waitcnt vmcnt(0)
	v_fma_f64 v[9:10], v[24:25], v[20:21], v[9:10]
	v_fma_f64 v[11:12], v[20:21], 0, v[11:12]
	;; [unrolled: 1-line block ×4, first 2 shown]
	s_branch .LBB446_7
.LBB446_10:
	v_lshlrev_b32_e32 v17, 4, v0
	s_and_b64 vcc, exec, s[16:17]
	ds_write_b128 v17, v[9:12]
	s_waitcnt lgkmcnt(0)
	s_barrier
	s_cbranch_vccz .LBB446_22
; %bb.11:
	v_cmp_gt_u16_e32 vcc, 15, v18
	s_and_saveexec_b64 s[0:1], vcc
	s_cbranch_execz .LBB446_13
; %bb.12:
	ds_read_b128 v[13:16], v17 offset:256
	ds_read_b128 v[19:22], v17
	s_waitcnt lgkmcnt(0)
	v_add_f64 v[13:14], v[13:14], v[19:20]
	v_add_f64 v[15:16], v[15:16], v[21:22]
	ds_write_b128 v17, v[13:16]
.LBB446_13:
	s_or_b64 exec, exec, s[0:1]
	v_cmp_gt_u16_e32 vcc, 8, v18
	s_waitcnt lgkmcnt(0)
	s_barrier
	s_and_saveexec_b64 s[0:1], vcc
	s_cbranch_execz .LBB446_15
; %bb.14:
	ds_read_b128 v[13:16], v17 offset:128
	ds_read_b128 v[19:22], v17
	s_waitcnt lgkmcnt(0)
	v_add_f64 v[13:14], v[13:14], v[19:20]
	v_add_f64 v[15:16], v[15:16], v[21:22]
	ds_write_b128 v17, v[13:16]
.LBB446_15:
	s_or_b64 exec, exec, s[0:1]
	v_cmp_gt_u16_e32 vcc, 4, v18
	s_waitcnt lgkmcnt(0)
	s_barrier
	;; [unrolled: 14-line block ×3, first 2 shown]
	s_and_saveexec_b64 s[0:1], vcc
	s_cbranch_execz .LBB446_19
; %bb.18:
	ds_read_b128 v[13:16], v17
	ds_read_b128 v[18:21], v17 offset:32
	s_waitcnt lgkmcnt(0)
	v_add_f64 v[13:14], v[18:19], v[13:14]
	v_add_f64 v[15:16], v[20:21], v[15:16]
	ds_write_b128 v17, v[13:16]
.LBB446_19:
	s_or_b64 exec, exec, s[0:1]
	v_mov_b32_e32 v16, v12
	v_mov_b32_e32 v14, v10
	v_cmp_gt_u32_e32 vcc, 31, v0
	v_mov_b32_e32 v15, v11
	v_mov_b32_e32 v13, v9
	s_waitcnt lgkmcnt(0)
	s_barrier
	s_and_saveexec_b64 s[0:1], vcc
	s_cbranch_execz .LBB446_21
; %bb.20:
	s_movk_i32 s2, 0x1e0
	v_mad_u32_u24 v18, v0, s2, v17
	ds_read_b128 v[13:16], v18
	ds_read_b128 v[18:21], v18 offset:16
	s_waitcnt lgkmcnt(0)
	v_add_f64 v[13:14], v[18:19], v[13:14]
	v_add_f64 v[15:16], v[20:21], v[15:16]
.LBB446_21:
	s_or_b64 exec, exec, s[0:1]
	s_branch .LBB446_34
.LBB446_22:
                                        ; implicit-def: $vgpr15_vgpr16
                                        ; implicit-def: $vgpr13_vgpr14
	s_cbranch_execz .LBB446_34
; %bb.23:
	s_movk_i32 s0, 0x1d1
	v_cmp_gt_u32_e32 vcc, s0, v0
	s_and_saveexec_b64 s[0:1], vcc
	s_cbranch_execz .LBB446_25
; %bb.24:
	ds_read_b128 v[13:16], v17 offset:7936
	ds_read_b128 v[18:21], v17
	s_waitcnt lgkmcnt(0)
	v_add_f64 v[13:14], v[13:14], v[18:19]
	v_add_f64 v[15:16], v[15:16], v[20:21]
	ds_write_b128 v17, v[13:16]
.LBB446_25:
	s_or_b64 exec, exec, s[0:1]
	s_movk_i32 s0, 0xf8
	v_cmp_gt_u32_e32 vcc, s0, v0
	s_waitcnt lgkmcnt(0)
	s_barrier
	s_and_saveexec_b64 s[0:1], vcc
	s_cbranch_execz .LBB446_27
; %bb.26:
	ds_read_b128 v[13:16], v17 offset:3968
	ds_read_b128 v[18:21], v17
	s_waitcnt lgkmcnt(0)
	v_add_f64 v[13:14], v[13:14], v[18:19]
	v_add_f64 v[15:16], v[15:16], v[20:21]
	ds_write_b128 v17, v[13:16]
.LBB446_27:
	s_or_b64 exec, exec, s[0:1]
	s_movk_i32 s0, 0x7c
	v_cmp_gt_u32_e32 vcc, s0, v0
	s_waitcnt lgkmcnt(0)
	s_barrier
	s_and_saveexec_b64 s[0:1], vcc
	s_cbranch_execz .LBB446_29
; %bb.28:
	ds_read_b128 v[13:16], v17 offset:1984
	ds_read_b128 v[18:21], v17
	s_waitcnt lgkmcnt(0)
	v_add_f64 v[13:14], v[13:14], v[18:19]
	v_add_f64 v[15:16], v[15:16], v[20:21]
	ds_write_b128 v17, v[13:16]
.LBB446_29:
	s_or_b64 exec, exec, s[0:1]
	v_cmp_gt_u32_e32 vcc, 62, v0
	s_waitcnt lgkmcnt(0)
	s_barrier
	s_and_saveexec_b64 s[0:1], vcc
	s_cbranch_execz .LBB446_31
; %bb.30:
	ds_read_b128 v[13:16], v17 offset:992
	ds_read_b128 v[18:21], v17
	s_waitcnt lgkmcnt(0)
	v_add_f64 v[13:14], v[13:14], v[18:19]
	v_add_f64 v[15:16], v[15:16], v[20:21]
	ds_write_b128 v17, v[13:16]
.LBB446_31:
	s_or_b64 exec, exec, s[0:1]
	v_cmp_gt_u32_e32 vcc, 31, v0
	s_waitcnt lgkmcnt(0)
	s_and_saveexec_b64 s[0:1], vcc
	s_cbranch_execz .LBB446_33
; %bb.32:
	ds_read_b128 v[9:12], v17 offset:496
	ds_read_b128 v[13:16], v17
	s_waitcnt lgkmcnt(0)
	v_add_f64 v[9:10], v[9:10], v[13:14]
	v_add_f64 v[11:12], v[11:12], v[15:16]
.LBB446_33:
	s_or_b64 exec, exec, s[0:1]
	v_mov_b32_e32 v16, v12
	v_mov_b32_e32 v14, v10
	;; [unrolled: 1-line block ×4, first 2 shown]
.LBB446_34:
	v_cmp_gt_u32_e32 vcc, 31, v0
	s_and_b64 exec, exec, vcc
	s_cbranch_execz .LBB446_39
; %bb.35:
	v_mul_f64 v[9:10], v[15:16], -v[7:8]
	v_mul_f64 v[11:12], v[5:6], v[15:16]
	v_cmp_eq_f64_e32 vcc, 0, v[1:2]
	v_cmp_eq_f64_e64 s[0:1], 0, v[3:4]
	v_fma_f64 v[5:6], v[5:6], v[13:14], v[9:10]
	v_fma_f64 v[7:8], v[7:8], v[13:14], v[11:12]
	s_and_b64 s[0:1], vcc, s[0:1]
	s_and_saveexec_b64 s[2:3], s[0:1]
	s_xor_b64 s[0:1], exec, s[2:3]
	s_cbranch_execz .LBB446_37
; %bb.36:
	v_mad_u64_u32 v[0:1], s[2:3], s6, 31, v[0:1]
	v_mov_b32_e32 v1, 0
	v_mov_b32_e32 v2, s13
	v_lshlrev_b64 v[0:1], 4, v[0:1]
	v_add_co_u32_e32 v0, vcc, s12, v0
	v_addc_co_u32_e32 v1, vcc, v2, v1, vcc
	global_store_dwordx4 v[0:1], v[5:8], off
                                        ; implicit-def: $vgpr0
                                        ; implicit-def: $vgpr1_vgpr2
                                        ; implicit-def: $vgpr5_vgpr6
.LBB446_37:
	s_andn2_saveexec_b64 s[0:1], s[0:1]
	s_cbranch_execz .LBB446_39
; %bb.38:
	v_mad_u64_u32 v[9:10], s[0:1], s6, 31, v[0:1]
	v_mov_b32_e32 v10, 0
	v_mov_b32_e32 v0, s13
	v_lshlrev_b64 v[9:10], 4, v[9:10]
	v_add_co_u32_e32 v13, vcc, s12, v9
	v_addc_co_u32_e32 v14, vcc, v0, v10, vcc
	global_load_dwordx4 v[9:12], v[13:14], off
	s_waitcnt vmcnt(0)
	v_fma_f64 v[5:6], v[1:2], v[9:10], v[5:6]
	v_fma_f64 v[7:8], v[3:4], v[9:10], v[7:8]
	v_fma_f64 v[3:4], -v[3:4], v[11:12], v[5:6]
	v_fma_f64 v[5:6], v[1:2], v[11:12], v[7:8]
	global_store_dwordx4 v[13:14], v[3:6], off
.LBB446_39:
	s_endpgm
	.section	.rodata,"a",@progbits
	.p2align	6, 0x0
	.amdhsa_kernel _ZN9rocsparseL20bsrxmvn_17_32_kernelILj31E21rocsparse_complex_numIdEiidS2_S2_EEvT2_20rocsparse_direction_NS_24const_host_device_scalarIT0_EES3_PKS3_PKT1_SC_S9_PKT3_PKT4_S7_PT5_21rocsparse_index_base_b
		.amdhsa_group_segment_fixed_size 15376
		.amdhsa_private_segment_fixed_size 0
		.amdhsa_kernarg_size 112
		.amdhsa_user_sgpr_count 6
		.amdhsa_user_sgpr_private_segment_buffer 1
		.amdhsa_user_sgpr_dispatch_ptr 0
		.amdhsa_user_sgpr_queue_ptr 0
		.amdhsa_user_sgpr_kernarg_segment_ptr 1
		.amdhsa_user_sgpr_dispatch_id 0
		.amdhsa_user_sgpr_flat_scratch_init 0
		.amdhsa_user_sgpr_private_segment_size 0
		.amdhsa_uses_dynamic_stack 0
		.amdhsa_system_sgpr_private_segment_wavefront_offset 0
		.amdhsa_system_sgpr_workgroup_id_x 1
		.amdhsa_system_sgpr_workgroup_id_y 0
		.amdhsa_system_sgpr_workgroup_id_z 0
		.amdhsa_system_sgpr_workgroup_info 0
		.amdhsa_system_vgpr_workitem_id 0
		.amdhsa_next_free_vgpr 29
		.amdhsa_next_free_sgpr 61
		.amdhsa_reserve_vcc 1
		.amdhsa_reserve_flat_scratch 0
		.amdhsa_float_round_mode_32 0
		.amdhsa_float_round_mode_16_64 0
		.amdhsa_float_denorm_mode_32 3
		.amdhsa_float_denorm_mode_16_64 3
		.amdhsa_dx10_clamp 1
		.amdhsa_ieee_mode 1
		.amdhsa_fp16_overflow 0
		.amdhsa_exception_fp_ieee_invalid_op 0
		.amdhsa_exception_fp_denorm_src 0
		.amdhsa_exception_fp_ieee_div_zero 0
		.amdhsa_exception_fp_ieee_overflow 0
		.amdhsa_exception_fp_ieee_underflow 0
		.amdhsa_exception_fp_ieee_inexact 0
		.amdhsa_exception_int_div_zero 0
	.end_amdhsa_kernel
	.section	.text._ZN9rocsparseL20bsrxmvn_17_32_kernelILj31E21rocsparse_complex_numIdEiidS2_S2_EEvT2_20rocsparse_direction_NS_24const_host_device_scalarIT0_EES3_PKS3_PKT1_SC_S9_PKT3_PKT4_S7_PT5_21rocsparse_index_base_b,"axG",@progbits,_ZN9rocsparseL20bsrxmvn_17_32_kernelILj31E21rocsparse_complex_numIdEiidS2_S2_EEvT2_20rocsparse_direction_NS_24const_host_device_scalarIT0_EES3_PKS3_PKT1_SC_S9_PKT3_PKT4_S7_PT5_21rocsparse_index_base_b,comdat
.Lfunc_end446:
	.size	_ZN9rocsparseL20bsrxmvn_17_32_kernelILj31E21rocsparse_complex_numIdEiidS2_S2_EEvT2_20rocsparse_direction_NS_24const_host_device_scalarIT0_EES3_PKS3_PKT1_SC_S9_PKT3_PKT4_S7_PT5_21rocsparse_index_base_b, .Lfunc_end446-_ZN9rocsparseL20bsrxmvn_17_32_kernelILj31E21rocsparse_complex_numIdEiidS2_S2_EEvT2_20rocsparse_direction_NS_24const_host_device_scalarIT0_EES3_PKS3_PKT1_SC_S9_PKT3_PKT4_S7_PT5_21rocsparse_index_base_b
                                        ; -- End function
	.set _ZN9rocsparseL20bsrxmvn_17_32_kernelILj31E21rocsparse_complex_numIdEiidS2_S2_EEvT2_20rocsparse_direction_NS_24const_host_device_scalarIT0_EES3_PKS3_PKT1_SC_S9_PKT3_PKT4_S7_PT5_21rocsparse_index_base_b.num_vgpr, 26
	.set _ZN9rocsparseL20bsrxmvn_17_32_kernelILj31E21rocsparse_complex_numIdEiidS2_S2_EEvT2_20rocsparse_direction_NS_24const_host_device_scalarIT0_EES3_PKS3_PKT1_SC_S9_PKT3_PKT4_S7_PT5_21rocsparse_index_base_b.num_agpr, 0
	.set _ZN9rocsparseL20bsrxmvn_17_32_kernelILj31E21rocsparse_complex_numIdEiidS2_S2_EEvT2_20rocsparse_direction_NS_24const_host_device_scalarIT0_EES3_PKS3_PKT1_SC_S9_PKT3_PKT4_S7_PT5_21rocsparse_index_base_b.numbered_sgpr, 18
	.set _ZN9rocsparseL20bsrxmvn_17_32_kernelILj31E21rocsparse_complex_numIdEiidS2_S2_EEvT2_20rocsparse_direction_NS_24const_host_device_scalarIT0_EES3_PKS3_PKT1_SC_S9_PKT3_PKT4_S7_PT5_21rocsparse_index_base_b.num_named_barrier, 0
	.set _ZN9rocsparseL20bsrxmvn_17_32_kernelILj31E21rocsparse_complex_numIdEiidS2_S2_EEvT2_20rocsparse_direction_NS_24const_host_device_scalarIT0_EES3_PKS3_PKT1_SC_S9_PKT3_PKT4_S7_PT5_21rocsparse_index_base_b.private_seg_size, 0
	.set _ZN9rocsparseL20bsrxmvn_17_32_kernelILj31E21rocsparse_complex_numIdEiidS2_S2_EEvT2_20rocsparse_direction_NS_24const_host_device_scalarIT0_EES3_PKS3_PKT1_SC_S9_PKT3_PKT4_S7_PT5_21rocsparse_index_base_b.uses_vcc, 1
	.set _ZN9rocsparseL20bsrxmvn_17_32_kernelILj31E21rocsparse_complex_numIdEiidS2_S2_EEvT2_20rocsparse_direction_NS_24const_host_device_scalarIT0_EES3_PKS3_PKT1_SC_S9_PKT3_PKT4_S7_PT5_21rocsparse_index_base_b.uses_flat_scratch, 0
	.set _ZN9rocsparseL20bsrxmvn_17_32_kernelILj31E21rocsparse_complex_numIdEiidS2_S2_EEvT2_20rocsparse_direction_NS_24const_host_device_scalarIT0_EES3_PKS3_PKT1_SC_S9_PKT3_PKT4_S7_PT5_21rocsparse_index_base_b.has_dyn_sized_stack, 0
	.set _ZN9rocsparseL20bsrxmvn_17_32_kernelILj31E21rocsparse_complex_numIdEiidS2_S2_EEvT2_20rocsparse_direction_NS_24const_host_device_scalarIT0_EES3_PKS3_PKT1_SC_S9_PKT3_PKT4_S7_PT5_21rocsparse_index_base_b.has_recursion, 0
	.set _ZN9rocsparseL20bsrxmvn_17_32_kernelILj31E21rocsparse_complex_numIdEiidS2_S2_EEvT2_20rocsparse_direction_NS_24const_host_device_scalarIT0_EES3_PKS3_PKT1_SC_S9_PKT3_PKT4_S7_PT5_21rocsparse_index_base_b.has_indirect_call, 0
	.section	.AMDGPU.csdata,"",@progbits
; Kernel info:
; codeLenInByte = 1652
; TotalNumSgprs: 22
; NumVgprs: 26
; ScratchSize: 0
; MemoryBound: 0
; FloatMode: 240
; IeeeMode: 1
; LDSByteSize: 15376 bytes/workgroup (compile time only)
; SGPRBlocks: 8
; VGPRBlocks: 7
; NumSGPRsForWavesPerEU: 65
; NumVGPRsForWavesPerEU: 29
; Occupancy: 8
; WaveLimiterHint : 1
; COMPUTE_PGM_RSRC2:SCRATCH_EN: 0
; COMPUTE_PGM_RSRC2:USER_SGPR: 6
; COMPUTE_PGM_RSRC2:TRAP_HANDLER: 0
; COMPUTE_PGM_RSRC2:TGID_X_EN: 1
; COMPUTE_PGM_RSRC2:TGID_Y_EN: 0
; COMPUTE_PGM_RSRC2:TGID_Z_EN: 0
; COMPUTE_PGM_RSRC2:TIDIG_COMP_CNT: 0
	.section	.text._ZN9rocsparseL20bsrxmvn_17_32_kernelILj32E21rocsparse_complex_numIdEiidS2_S2_EEvT2_20rocsparse_direction_NS_24const_host_device_scalarIT0_EES3_PKS3_PKT1_SC_S9_PKT3_PKT4_S7_PT5_21rocsparse_index_base_b,"axG",@progbits,_ZN9rocsparseL20bsrxmvn_17_32_kernelILj32E21rocsparse_complex_numIdEiidS2_S2_EEvT2_20rocsparse_direction_NS_24const_host_device_scalarIT0_EES3_PKS3_PKT1_SC_S9_PKT3_PKT4_S7_PT5_21rocsparse_index_base_b,comdat
	.globl	_ZN9rocsparseL20bsrxmvn_17_32_kernelILj32E21rocsparse_complex_numIdEiidS2_S2_EEvT2_20rocsparse_direction_NS_24const_host_device_scalarIT0_EES3_PKS3_PKT1_SC_S9_PKT3_PKT4_S7_PT5_21rocsparse_index_base_b ; -- Begin function _ZN9rocsparseL20bsrxmvn_17_32_kernelILj32E21rocsparse_complex_numIdEiidS2_S2_EEvT2_20rocsparse_direction_NS_24const_host_device_scalarIT0_EES3_PKS3_PKT1_SC_S9_PKT3_PKT4_S7_PT5_21rocsparse_index_base_b
	.p2align	8
	.type	_ZN9rocsparseL20bsrxmvn_17_32_kernelILj32E21rocsparse_complex_numIdEiidS2_S2_EEvT2_20rocsparse_direction_NS_24const_host_device_scalarIT0_EES3_PKS3_PKT1_SC_S9_PKT3_PKT4_S7_PT5_21rocsparse_index_base_b,@function
_ZN9rocsparseL20bsrxmvn_17_32_kernelILj32E21rocsparse_complex_numIdEiidS2_S2_EEvT2_20rocsparse_direction_NS_24const_host_device_scalarIT0_EES3_PKS3_PKT1_SC_S9_PKT3_PKT4_S7_PT5_21rocsparse_index_base_b: ; @_ZN9rocsparseL20bsrxmvn_17_32_kernelILj32E21rocsparse_complex_numIdEiidS2_S2_EEvT2_20rocsparse_direction_NS_24const_host_device_scalarIT0_EES3_PKS3_PKT1_SC_S9_PKT3_PKT4_S7_PT5_21rocsparse_index_base_b
; %bb.0:
	s_load_dwordx2 s[0:1], s[4:5], 0x8
	s_load_dwordx2 s[8:9], s[4:5], 0x68
	s_add_u32 s7, s4, 8
	s_addc_u32 s10, s5, 0
	s_add_u32 s11, s4, 0x50
	s_addc_u32 s12, s5, 0
	s_waitcnt lgkmcnt(0)
	s_bitcmp1_b32 s9, 0
	s_cselect_b32 s1, s10, s1
	s_cselect_b32 s0, s7, s0
	v_mov_b32_e32 v1, s0
	v_mov_b32_e32 v2, s1
	flat_load_dwordx4 v[5:8], v[1:2]
	s_load_dwordx2 s[2:3], s[4:5], 0x50
	s_waitcnt lgkmcnt(0)
	s_cselect_b32 s0, s12, s3
	s_cselect_b32 s1, s11, s2
	v_mov_b32_e32 v1, s1
	v_mov_b32_e32 v2, s0
	flat_load_dwordx4 v[1:4], v[1:2]
	s_waitcnt vmcnt(0)
	v_cmp_eq_f64_e32 vcc, 0, v[5:6]
	v_cmp_eq_f64_e64 s[0:1], 0, v[7:8]
	s_and_b64 s[10:11], vcc, s[0:1]
	s_mov_b64 s[0:1], -1
	s_and_saveexec_b64 s[2:3], s[10:11]
	s_cbranch_execz .LBB447_2
; %bb.1:
	s_waitcnt lgkmcnt(0)
	v_cmp_neq_f64_e32 vcc, 1.0, v[1:2]
	v_cmp_neq_f64_e64 s[0:1], 0, v[3:4]
	s_or_b64 s[0:1], vcc, s[0:1]
	s_orn2_b64 s[0:1], s[0:1], exec
.LBB447_2:
	s_or_b64 exec, exec, s[2:3]
	s_and_saveexec_b64 s[2:3], s[0:1]
	s_cbranch_execz .LBB447_37
; %bb.3:
	s_load_dwordx4 s[0:3], s[4:5], 0x20
	s_load_dwordx2 s[10:11], s[4:5], 0x30
	s_waitcnt lgkmcnt(0)
	s_cmp_eq_u64 s[0:1], 0
	s_cbranch_scc1 .LBB447_5
; %bb.4:
	s_ashr_i32 s7, s6, 31
	s_lshl_b64 s[6:7], s[6:7], 2
	s_add_u32 s0, s0, s6
	s_addc_u32 s1, s1, s7
	s_load_dword s0, s[0:1], 0x0
	s_waitcnt lgkmcnt(0)
	s_sub_i32 s6, s0, s8
.LBB447_5:
	s_load_dword s0, s[4:5], 0x4
	v_mov_b32_e32 v11, 0
	v_mov_b32_e32 v9, 0
	;; [unrolled: 1-line block ×4, first 2 shown]
	s_waitcnt lgkmcnt(0)
	s_cmp_eq_u32 s0, 1
	s_cselect_b64 vcc, -1, 0
	s_cmp_lg_u32 s0, 1
	s_cselect_b64 s[0:1], -1, 0
	s_ashr_i32 s7, s6, 31
	s_lshl_b64 s[12:13], s[6:7], 2
	s_add_u32 s2, s2, s12
	s_addc_u32 s3, s3, s13
	s_load_dword s9, s[2:3], 0x0
	s_add_u32 s2, s2, 4
	s_addc_u32 s3, s3, 0
	s_add_u32 s7, s10, s12
	s_addc_u32 s12, s11, s13
	s_cmp_eq_u64 s[10:11], 0
	s_cselect_b32 s11, s3, s12
	s_cselect_b32 s10, s2, s7
	s_load_dword s7, s[10:11], 0x0
	s_load_dwordx2 s[2:3], s[4:5], 0x60
	v_and_b32_e32 v15, 31, v0
	s_waitcnt lgkmcnt(0)
	s_cmp_ge_i32 s9, s7
	s_cbranch_scc1 .LBB447_8
; %bb.6:
	s_load_dwordx2 s[10:11], s[4:5], 0x48
	s_load_dwordx4 s[12:15], s[4:5], 0x38
	s_sub_i32 s4, s9, s8
	s_ashr_i32 s5, s4, 31
	s_sub_i32 s7, s7, s8
	s_lshl_b64 s[16:17], s[4:5], 13
	s_waitcnt lgkmcnt(0)
	s_add_u32 s9, s14, s16
	v_lshrrev_b32_e32 v9, 5, v0
	s_addc_u32 s14, s15, s17
	v_cndmask_b32_e32 v16, v15, v9, vcc
	v_lshlrev_b32_e32 v9, 3, v0
	v_mov_b32_e32 v10, s14
	s_lshl_b64 s[14:15], s[4:5], 2
	v_add_co_u32_e32 v13, vcc, s9, v9
	s_add_u32 s12, s12, s14
	v_mov_b32_e32 v11, 0
	v_addc_co_u32_e32 v14, vcc, 0, v10, vcc
	s_addc_u32 s13, s13, s15
	v_mov_b32_e32 v12, 0
	s_mov_b32 s14, 0
	v_mov_b32_e32 v9, v11
	v_mov_b32_e32 v17, s11
	s_brev_b32 s15, 1
	v_mov_b32_e32 v10, v12
.LBB447_7:                              ; =>This Inner Loop Header: Depth=1
	s_load_dword s5, s[12:13], 0x0
	global_load_dwordx2 v[22:23], v[13:14], off
	s_add_i32 s4, s4, 1
	s_waitcnt lgkmcnt(0)
	s_sub_i32 s5, s5, s8
	v_lshl_or_b32 v18, s5, 5, v16
	v_ashrrev_i32_e32 v19, 31, v18
	v_lshlrev_b64 v[18:19], 4, v[18:19]
	s_add_u32 s12, s12, 4
	v_add_co_u32_e32 v18, vcc, s10, v18
	v_addc_co_u32_e32 v19, vcc, v17, v19, vcc
	global_load_dwordx4 v[18:21], v[18:19], off
	v_add_co_u32_e32 v13, vcc, 0x2000, v13
	s_addc_u32 s13, s13, 0
	s_cmp_lt_i32 s4, s7
	v_addc_co_u32_e32 v14, vcc, 0, v14, vcc
	s_waitcnt vmcnt(0)
	v_fma_f64 v[9:10], v[22:23], v[18:19], v[9:10]
	v_fma_f64 v[11:12], v[18:19], 0, v[11:12]
	;; [unrolled: 1-line block ×4, first 2 shown]
	s_cbranch_scc1 .LBB447_7
.LBB447_8:
	v_lshlrev_b32_e32 v17, 4, v0
	s_and_b64 vcc, exec, s[0:1]
	ds_write_b128 v17, v[9:12]
	s_waitcnt lgkmcnt(0)
	s_barrier
	s_cbranch_vccz .LBB447_20
; %bb.9:
	v_cmp_gt_u32_e32 vcc, 16, v15
	s_and_saveexec_b64 s[0:1], vcc
	s_cbranch_execz .LBB447_11
; %bb.10:
	ds_read_b128 v[18:21], v17 offset:256
	ds_read_b128 v[22:25], v17
	s_waitcnt lgkmcnt(0)
	v_add_f64 v[18:19], v[18:19], v[22:23]
	v_add_f64 v[20:21], v[20:21], v[24:25]
	ds_write_b128 v17, v[18:21]
.LBB447_11:
	s_or_b64 exec, exec, s[0:1]
	v_cmp_gt_u32_e32 vcc, 8, v15
	s_waitcnt lgkmcnt(0)
	s_barrier
	s_and_saveexec_b64 s[0:1], vcc
	s_cbranch_execz .LBB447_13
; %bb.12:
	ds_read_b128 v[18:21], v17 offset:128
	ds_read_b128 v[22:25], v17
	s_waitcnt lgkmcnt(0)
	v_add_f64 v[18:19], v[18:19], v[22:23]
	v_add_f64 v[20:21], v[20:21], v[24:25]
	ds_write_b128 v17, v[18:21]
.LBB447_13:
	s_or_b64 exec, exec, s[0:1]
	v_cmp_gt_u32_e32 vcc, 4, v15
	s_waitcnt lgkmcnt(0)
	s_barrier
	;; [unrolled: 14-line block ×3, first 2 shown]
	s_and_saveexec_b64 s[0:1], vcc
	s_cbranch_execz .LBB447_17
; %bb.16:
	ds_read_b128 v[13:16], v17
	ds_read_b128 v[18:21], v17 offset:32
	s_waitcnt lgkmcnt(0)
	v_add_f64 v[13:14], v[18:19], v[13:14]
	v_add_f64 v[15:16], v[20:21], v[15:16]
	ds_write_b128 v17, v[13:16]
.LBB447_17:
	s_or_b64 exec, exec, s[0:1]
	v_mov_b32_e32 v16, v12
	v_mov_b32_e32 v14, v10
	v_cmp_gt_u32_e32 vcc, 32, v0
	v_mov_b32_e32 v15, v11
	v_mov_b32_e32 v13, v9
	s_waitcnt lgkmcnt(0)
	s_barrier
	s_and_saveexec_b64 s[0:1], vcc
	s_cbranch_execz .LBB447_19
; %bb.18:
	s_movk_i32 s4, 0x1f0
	v_mad_u32_u24 v18, v0, s4, v17
	ds_read_b128 v[13:16], v18
	ds_read_b128 v[18:21], v18 offset:16
	s_waitcnt lgkmcnt(0)
	v_add_f64 v[13:14], v[18:19], v[13:14]
	v_add_f64 v[15:16], v[20:21], v[15:16]
.LBB447_19:
	s_or_b64 exec, exec, s[0:1]
	s_branch .LBB447_32
.LBB447_20:
                                        ; implicit-def: $vgpr15_vgpr16
                                        ; implicit-def: $vgpr13_vgpr14
	s_cbranch_execz .LBB447_32
; %bb.21:
	s_movk_i32 s0, 0x200
	v_cmp_gt_u32_e32 vcc, s0, v0
	s_and_saveexec_b64 s[0:1], vcc
	s_cbranch_execz .LBB447_23
; %bb.22:
	ds_read_b128 v[13:16], v17 offset:8192
	ds_read_b128 v[18:21], v17
	s_waitcnt lgkmcnt(0)
	v_add_f64 v[13:14], v[13:14], v[18:19]
	v_add_f64 v[15:16], v[15:16], v[20:21]
	ds_write_b128 v17, v[13:16]
.LBB447_23:
	s_or_b64 exec, exec, s[0:1]
	s_movk_i32 s0, 0x100
	v_cmp_gt_u32_e32 vcc, s0, v0
	s_waitcnt lgkmcnt(0)
	s_barrier
	s_and_saveexec_b64 s[0:1], vcc
	s_cbranch_execz .LBB447_25
; %bb.24:
	ds_read_b128 v[13:16], v17 offset:4096
	ds_read_b128 v[18:21], v17
	s_waitcnt lgkmcnt(0)
	v_add_f64 v[13:14], v[13:14], v[18:19]
	v_add_f64 v[15:16], v[15:16], v[20:21]
	ds_write_b128 v17, v[13:16]
.LBB447_25:
	s_or_b64 exec, exec, s[0:1]
	s_movk_i32 s0, 0x80
	v_cmp_gt_u32_e32 vcc, s0, v0
	s_waitcnt lgkmcnt(0)
	s_barrier
	s_and_saveexec_b64 s[0:1], vcc
	s_cbranch_execz .LBB447_27
; %bb.26:
	ds_read_b128 v[13:16], v17 offset:2048
	ds_read_b128 v[18:21], v17
	s_waitcnt lgkmcnt(0)
	v_add_f64 v[13:14], v[13:14], v[18:19]
	v_add_f64 v[15:16], v[15:16], v[20:21]
	ds_write_b128 v17, v[13:16]
.LBB447_27:
	s_or_b64 exec, exec, s[0:1]
	v_cmp_gt_u32_e32 vcc, 64, v0
	s_waitcnt lgkmcnt(0)
	s_barrier
	s_and_saveexec_b64 s[0:1], vcc
	s_cbranch_execz .LBB447_29
; %bb.28:
	ds_read_b128 v[13:16], v17 offset:1024
	ds_read_b128 v[18:21], v17
	s_waitcnt lgkmcnt(0)
	v_add_f64 v[13:14], v[13:14], v[18:19]
	v_add_f64 v[15:16], v[15:16], v[20:21]
	ds_write_b128 v17, v[13:16]
.LBB447_29:
	s_or_b64 exec, exec, s[0:1]
	v_cmp_gt_u32_e32 vcc, 32, v0
	s_waitcnt lgkmcnt(0)
	s_and_saveexec_b64 s[0:1], vcc
	s_cbranch_execz .LBB447_31
; %bb.30:
	ds_read_b128 v[9:12], v17 offset:512
	ds_read_b128 v[13:16], v17
	s_waitcnt lgkmcnt(0)
	v_add_f64 v[9:10], v[9:10], v[13:14]
	v_add_f64 v[11:12], v[11:12], v[15:16]
.LBB447_31:
	s_or_b64 exec, exec, s[0:1]
	v_mov_b32_e32 v16, v12
	v_mov_b32_e32 v14, v10
	;; [unrolled: 1-line block ×4, first 2 shown]
.LBB447_32:
	v_cmp_gt_u32_e32 vcc, 32, v0
	s_and_b64 exec, exec, vcc
	s_cbranch_execz .LBB447_37
; %bb.33:
	v_mul_f64 v[9:10], v[15:16], -v[7:8]
	v_mul_f64 v[11:12], v[5:6], v[15:16]
	v_cmp_eq_f64_e32 vcc, 0, v[1:2]
	v_cmp_eq_f64_e64 s[0:1], 0, v[3:4]
	v_fma_f64 v[5:6], v[5:6], v[13:14], v[9:10]
	v_fma_f64 v[7:8], v[7:8], v[13:14], v[11:12]
	v_lshl_or_b32 v9, s6, 5, v0
	s_and_b64 s[0:1], vcc, s[0:1]
	s_and_saveexec_b64 s[4:5], s[0:1]
	s_xor_b64 s[0:1], exec, s[4:5]
	s_cbranch_execz .LBB447_35
; %bb.34:
	v_mov_b32_e32 v10, 0
	v_lshlrev_b64 v[0:1], 4, v[9:10]
	v_mov_b32_e32 v2, s3
	v_add_co_u32_e32 v0, vcc, s2, v0
	v_addc_co_u32_e32 v1, vcc, v2, v1, vcc
	global_store_dwordx4 v[0:1], v[5:8], off
                                        ; implicit-def: $vgpr9
                                        ; implicit-def: $vgpr1_vgpr2
                                        ; implicit-def: $vgpr5_vgpr6
.LBB447_35:
	s_andn2_saveexec_b64 s[0:1], s[0:1]
	s_cbranch_execz .LBB447_37
; %bb.36:
	v_mov_b32_e32 v10, 0
	v_lshlrev_b64 v[9:10], 4, v[9:10]
	v_mov_b32_e32 v0, s3
	v_add_co_u32_e32 v13, vcc, s2, v9
	v_addc_co_u32_e32 v14, vcc, v0, v10, vcc
	global_load_dwordx4 v[9:12], v[13:14], off
	s_waitcnt vmcnt(0)
	v_fma_f64 v[5:6], v[1:2], v[9:10], v[5:6]
	v_fma_f64 v[7:8], v[3:4], v[9:10], v[7:8]
	v_fma_f64 v[3:4], -v[3:4], v[11:12], v[5:6]
	v_fma_f64 v[5:6], v[1:2], v[11:12], v[7:8]
	global_store_dwordx4 v[13:14], v[3:6], off
.LBB447_37:
	s_endpgm
	.section	.rodata,"a",@progbits
	.p2align	6, 0x0
	.amdhsa_kernel _ZN9rocsparseL20bsrxmvn_17_32_kernelILj32E21rocsparse_complex_numIdEiidS2_S2_EEvT2_20rocsparse_direction_NS_24const_host_device_scalarIT0_EES3_PKS3_PKT1_SC_S9_PKT3_PKT4_S7_PT5_21rocsparse_index_base_b
		.amdhsa_group_segment_fixed_size 16384
		.amdhsa_private_segment_fixed_size 0
		.amdhsa_kernarg_size 112
		.amdhsa_user_sgpr_count 6
		.amdhsa_user_sgpr_private_segment_buffer 1
		.amdhsa_user_sgpr_dispatch_ptr 0
		.amdhsa_user_sgpr_queue_ptr 0
		.amdhsa_user_sgpr_kernarg_segment_ptr 1
		.amdhsa_user_sgpr_dispatch_id 0
		.amdhsa_user_sgpr_flat_scratch_init 0
		.amdhsa_user_sgpr_private_segment_size 0
		.amdhsa_uses_dynamic_stack 0
		.amdhsa_system_sgpr_private_segment_wavefront_offset 0
		.amdhsa_system_sgpr_workgroup_id_x 1
		.amdhsa_system_sgpr_workgroup_id_y 0
		.amdhsa_system_sgpr_workgroup_id_z 0
		.amdhsa_system_sgpr_workgroup_info 0
		.amdhsa_system_vgpr_workitem_id 0
		.amdhsa_next_free_vgpr 29
		.amdhsa_next_free_sgpr 61
		.amdhsa_reserve_vcc 1
		.amdhsa_reserve_flat_scratch 0
		.amdhsa_float_round_mode_32 0
		.amdhsa_float_round_mode_16_64 0
		.amdhsa_float_denorm_mode_32 3
		.amdhsa_float_denorm_mode_16_64 3
		.amdhsa_dx10_clamp 1
		.amdhsa_ieee_mode 1
		.amdhsa_fp16_overflow 0
		.amdhsa_exception_fp_ieee_invalid_op 0
		.amdhsa_exception_fp_denorm_src 0
		.amdhsa_exception_fp_ieee_div_zero 0
		.amdhsa_exception_fp_ieee_overflow 0
		.amdhsa_exception_fp_ieee_underflow 0
		.amdhsa_exception_fp_ieee_inexact 0
		.amdhsa_exception_int_div_zero 0
	.end_amdhsa_kernel
	.section	.text._ZN9rocsparseL20bsrxmvn_17_32_kernelILj32E21rocsparse_complex_numIdEiidS2_S2_EEvT2_20rocsparse_direction_NS_24const_host_device_scalarIT0_EES3_PKS3_PKT1_SC_S9_PKT3_PKT4_S7_PT5_21rocsparse_index_base_b,"axG",@progbits,_ZN9rocsparseL20bsrxmvn_17_32_kernelILj32E21rocsparse_complex_numIdEiidS2_S2_EEvT2_20rocsparse_direction_NS_24const_host_device_scalarIT0_EES3_PKS3_PKT1_SC_S9_PKT3_PKT4_S7_PT5_21rocsparse_index_base_b,comdat
.Lfunc_end447:
	.size	_ZN9rocsparseL20bsrxmvn_17_32_kernelILj32E21rocsparse_complex_numIdEiidS2_S2_EEvT2_20rocsparse_direction_NS_24const_host_device_scalarIT0_EES3_PKS3_PKT1_SC_S9_PKT3_PKT4_S7_PT5_21rocsparse_index_base_b, .Lfunc_end447-_ZN9rocsparseL20bsrxmvn_17_32_kernelILj32E21rocsparse_complex_numIdEiidS2_S2_EEvT2_20rocsparse_direction_NS_24const_host_device_scalarIT0_EES3_PKS3_PKT1_SC_S9_PKT3_PKT4_S7_PT5_21rocsparse_index_base_b
                                        ; -- End function
	.set _ZN9rocsparseL20bsrxmvn_17_32_kernelILj32E21rocsparse_complex_numIdEiidS2_S2_EEvT2_20rocsparse_direction_NS_24const_host_device_scalarIT0_EES3_PKS3_PKT1_SC_S9_PKT3_PKT4_S7_PT5_21rocsparse_index_base_b.num_vgpr, 26
	.set _ZN9rocsparseL20bsrxmvn_17_32_kernelILj32E21rocsparse_complex_numIdEiidS2_S2_EEvT2_20rocsparse_direction_NS_24const_host_device_scalarIT0_EES3_PKS3_PKT1_SC_S9_PKT3_PKT4_S7_PT5_21rocsparse_index_base_b.num_agpr, 0
	.set _ZN9rocsparseL20bsrxmvn_17_32_kernelILj32E21rocsparse_complex_numIdEiidS2_S2_EEvT2_20rocsparse_direction_NS_24const_host_device_scalarIT0_EES3_PKS3_PKT1_SC_S9_PKT3_PKT4_S7_PT5_21rocsparse_index_base_b.numbered_sgpr, 18
	.set _ZN9rocsparseL20bsrxmvn_17_32_kernelILj32E21rocsparse_complex_numIdEiidS2_S2_EEvT2_20rocsparse_direction_NS_24const_host_device_scalarIT0_EES3_PKS3_PKT1_SC_S9_PKT3_PKT4_S7_PT5_21rocsparse_index_base_b.num_named_barrier, 0
	.set _ZN9rocsparseL20bsrxmvn_17_32_kernelILj32E21rocsparse_complex_numIdEiidS2_S2_EEvT2_20rocsparse_direction_NS_24const_host_device_scalarIT0_EES3_PKS3_PKT1_SC_S9_PKT3_PKT4_S7_PT5_21rocsparse_index_base_b.private_seg_size, 0
	.set _ZN9rocsparseL20bsrxmvn_17_32_kernelILj32E21rocsparse_complex_numIdEiidS2_S2_EEvT2_20rocsparse_direction_NS_24const_host_device_scalarIT0_EES3_PKS3_PKT1_SC_S9_PKT3_PKT4_S7_PT5_21rocsparse_index_base_b.uses_vcc, 1
	.set _ZN9rocsparseL20bsrxmvn_17_32_kernelILj32E21rocsparse_complex_numIdEiidS2_S2_EEvT2_20rocsparse_direction_NS_24const_host_device_scalarIT0_EES3_PKS3_PKT1_SC_S9_PKT3_PKT4_S7_PT5_21rocsparse_index_base_b.uses_flat_scratch, 0
	.set _ZN9rocsparseL20bsrxmvn_17_32_kernelILj32E21rocsparse_complex_numIdEiidS2_S2_EEvT2_20rocsparse_direction_NS_24const_host_device_scalarIT0_EES3_PKS3_PKT1_SC_S9_PKT3_PKT4_S7_PT5_21rocsparse_index_base_b.has_dyn_sized_stack, 0
	.set _ZN9rocsparseL20bsrxmvn_17_32_kernelILj32E21rocsparse_complex_numIdEiidS2_S2_EEvT2_20rocsparse_direction_NS_24const_host_device_scalarIT0_EES3_PKS3_PKT1_SC_S9_PKT3_PKT4_S7_PT5_21rocsparse_index_base_b.has_recursion, 0
	.set _ZN9rocsparseL20bsrxmvn_17_32_kernelILj32E21rocsparse_complex_numIdEiidS2_S2_EEvT2_20rocsparse_direction_NS_24const_host_device_scalarIT0_EES3_PKS3_PKT1_SC_S9_PKT3_PKT4_S7_PT5_21rocsparse_index_base_b.has_indirect_call, 0
	.section	.AMDGPU.csdata,"",@progbits
; Kernel info:
; codeLenInByte = 1532
; TotalNumSgprs: 22
; NumVgprs: 26
; ScratchSize: 0
; MemoryBound: 0
; FloatMode: 240
; IeeeMode: 1
; LDSByteSize: 16384 bytes/workgroup (compile time only)
; SGPRBlocks: 8
; VGPRBlocks: 7
; NumSGPRsForWavesPerEU: 65
; NumVGPRsForWavesPerEU: 29
; Occupancy: 8
; WaveLimiterHint : 1
; COMPUTE_PGM_RSRC2:SCRATCH_EN: 0
; COMPUTE_PGM_RSRC2:USER_SGPR: 6
; COMPUTE_PGM_RSRC2:TRAP_HANDLER: 0
; COMPUTE_PGM_RSRC2:TGID_X_EN: 1
; COMPUTE_PGM_RSRC2:TGID_Y_EN: 0
; COMPUTE_PGM_RSRC2:TGID_Z_EN: 0
; COMPUTE_PGM_RSRC2:TIDIG_COMP_CNT: 0
	.section	.text._ZN9rocsparseL20bsrxmvn_17_32_kernelILj17E21rocsparse_complex_numIdElidS2_S2_EEvT2_20rocsparse_direction_NS_24const_host_device_scalarIT0_EES3_PKS3_PKT1_SC_S9_PKT3_PKT4_S7_PT5_21rocsparse_index_base_b,"axG",@progbits,_ZN9rocsparseL20bsrxmvn_17_32_kernelILj17E21rocsparse_complex_numIdElidS2_S2_EEvT2_20rocsparse_direction_NS_24const_host_device_scalarIT0_EES3_PKS3_PKT1_SC_S9_PKT3_PKT4_S7_PT5_21rocsparse_index_base_b,comdat
	.globl	_ZN9rocsparseL20bsrxmvn_17_32_kernelILj17E21rocsparse_complex_numIdElidS2_S2_EEvT2_20rocsparse_direction_NS_24const_host_device_scalarIT0_EES3_PKS3_PKT1_SC_S9_PKT3_PKT4_S7_PT5_21rocsparse_index_base_b ; -- Begin function _ZN9rocsparseL20bsrxmvn_17_32_kernelILj17E21rocsparse_complex_numIdElidS2_S2_EEvT2_20rocsparse_direction_NS_24const_host_device_scalarIT0_EES3_PKS3_PKT1_SC_S9_PKT3_PKT4_S7_PT5_21rocsparse_index_base_b
	.p2align	8
	.type	_ZN9rocsparseL20bsrxmvn_17_32_kernelILj17E21rocsparse_complex_numIdElidS2_S2_EEvT2_20rocsparse_direction_NS_24const_host_device_scalarIT0_EES3_PKS3_PKT1_SC_S9_PKT3_PKT4_S7_PT5_21rocsparse_index_base_b,@function
_ZN9rocsparseL20bsrxmvn_17_32_kernelILj17E21rocsparse_complex_numIdElidS2_S2_EEvT2_20rocsparse_direction_NS_24const_host_device_scalarIT0_EES3_PKS3_PKT1_SC_S9_PKT3_PKT4_S7_PT5_21rocsparse_index_base_b: ; @_ZN9rocsparseL20bsrxmvn_17_32_kernelILj17E21rocsparse_complex_numIdElidS2_S2_EEvT2_20rocsparse_direction_NS_24const_host_device_scalarIT0_EES3_PKS3_PKT1_SC_S9_PKT3_PKT4_S7_PT5_21rocsparse_index_base_b
; %bb.0:
	s_load_dwordx2 s[0:1], s[4:5], 0x8
	s_load_dwordx2 s[14:15], s[4:5], 0x68
	s_add_u32 s7, s4, 8
	s_addc_u32 s8, s5, 0
	s_add_u32 s9, s4, 0x50
	s_addc_u32 s10, s5, 0
	s_waitcnt lgkmcnt(0)
	s_bitcmp1_b32 s15, 0
	s_cselect_b32 s1, s8, s1
	s_cselect_b32 s0, s7, s0
	v_mov_b32_e32 v1, s0
	v_mov_b32_e32 v2, s1
	flat_load_dwordx4 v[5:8], v[1:2]
	s_load_dwordx2 s[2:3], s[4:5], 0x50
	s_waitcnt lgkmcnt(0)
	s_cselect_b32 s0, s10, s3
	s_cselect_b32 s1, s9, s2
	v_mov_b32_e32 v1, s1
	v_mov_b32_e32 v2, s0
	flat_load_dwordx4 v[1:4], v[1:2]
	s_waitcnt vmcnt(0)
	v_cmp_eq_f64_e32 vcc, 0, v[5:6]
	v_cmp_eq_f64_e64 s[0:1], 0, v[7:8]
	s_and_b64 s[8:9], vcc, s[0:1]
	s_mov_b64 s[0:1], -1
	s_and_saveexec_b64 s[2:3], s[8:9]
	s_cbranch_execz .LBB448_2
; %bb.1:
	s_waitcnt lgkmcnt(0)
	v_cmp_neq_f64_e32 vcc, 1.0, v[1:2]
	v_cmp_neq_f64_e64 s[0:1], 0, v[3:4]
	s_or_b64 s[0:1], vcc, s[0:1]
	s_orn2_b64 s[0:1], s[0:1], exec
.LBB448_2:
	s_or_b64 exec, exec, s[2:3]
	s_and_saveexec_b64 s[2:3], s[0:1]
	s_cbranch_execz .LBB448_39
; %bb.3:
	s_load_dwordx4 s[0:3], s[4:5], 0x20
	s_load_dwordx2 s[8:9], s[4:5], 0x30
	s_waitcnt lgkmcnt(0)
	s_cmp_eq_u64 s[0:1], 0
	s_cbranch_scc1 .LBB448_5
; %bb.4:
	s_ashr_i32 s7, s6, 31
	s_lshl_b64 s[6:7], s[6:7], 2
	s_add_u32 s0, s0, s6
	s_addc_u32 s1, s1, s7
	s_load_dword s0, s[0:1], 0x0
	s_waitcnt lgkmcnt(0)
	s_sub_i32 s6, s0, s14
.LBB448_5:
	s_load_dword s7, s[4:5], 0x4
	s_load_dwordx2 s[12:13], s[4:5], 0x60
	v_mul_u32_u24_e32 v13, 0xf10, v0
	v_mov_b32_e32 v9, 17
	v_mul_lo_u16_sdwa v9, v13, v9 dst_sel:DWORD dst_unused:UNUSED_PAD src0_sel:WORD_1 src1_sel:DWORD
	s_waitcnt lgkmcnt(0)
	s_cmp_eq_u32 s7, 1
	s_cselect_b64 s[0:1], -1, 0
	s_cmp_lg_u32 s7, 1
	s_cselect_b64 s[16:17], -1, 0
	s_ashr_i32 s7, s6, 31
	s_lshl_b64 s[10:11], s[6:7], 3
	s_add_u32 s2, s2, s10
	s_addc_u32 s3, s3, s11
	s_add_u32 s7, s2, 8
	s_addc_u32 s15, s3, 0
	;; [unrolled: 2-line block ×3, first 2 shown]
	s_cmp_eq_u64 s[8:9], 0
	s_cselect_b32 s9, s15, s11
	s_cselect_b32 s8, s7, s10
	s_load_dwordx2 s[18:19], s[8:9], 0x0
	s_load_dwordx2 s[20:21], s[2:3], 0x0
	v_sub_u16_e32 v20, v0, v9
	v_mov_b32_e32 v11, 0
	v_mov_b32_e32 v12, 0
	s_waitcnt lgkmcnt(0)
	v_mov_b32_e32 v9, s18
	v_mov_b32_e32 v10, s19
	v_cmp_ge_i64_e32 vcc, s[20:21], v[9:10]
	v_mov_b32_e32 v9, 0
	v_mov_b32_e32 v10, 0
	s_cbranch_vccnz .LBB448_10
; %bb.6:
	v_mov_b32_e32 v9, 31
	v_mul_lo_u16_sdwa v9, v13, v9 dst_sel:DWORD dst_unused:UNUSED_PAD src0_sel:WORD_1 src1_sel:DWORD
	s_load_dwordx2 s[2:3], s[4:5], 0x48
	s_load_dwordx4 s[8:11], s[4:5], 0x38
	s_sub_u32 s4, s18, s14
	v_lshrrev_b16_e32 v9, 9, v9
	s_subb_u32 s5, s19, 0
	v_mul_lo_u16_e32 v9, 17, v9
	v_sub_u16_sdwa v9, v13, v9 dst_sel:DWORD dst_unused:UNUSED_PAD src0_sel:WORD_1 src1_sel:DWORD
	s_sub_u32 s18, s20, s14
	v_and_b32_e32 v9, 0xff, v9
	s_subb_u32 s19, s21, 0
	v_cndmask_b32_e64 v13, v20, v9, s[0:1]
	s_mul_i32 s0, s19, 0x908
	s_mul_hi_u32 s1, s18, 0x908
	s_add_i32 s1, s1, s0
	s_mul_i32 s0, s18, 0x908
	s_waitcnt lgkmcnt(0)
	s_add_u32 s0, s10, s0
	v_lshlrev_b32_e32 v9, 3, v0
	s_addc_u32 s1, s11, s1
	v_add_co_u32_e32 v14, vcc, s0, v9
	s_movk_i32 s0, 0xe3
	v_mov_b32_e32 v10, s1
	v_mul_u32_u24_sdwa v9, v0, s0 dst_sel:DWORD dst_unused:UNUSED_PAD src0_sel:WORD_0 src1_sel:DWORD
	v_addc_co_u32_e32 v15, vcc, 0, v10, vcc
	v_lshrrev_b32_e32 v21, 16, v9
	v_mov_b32_e32 v9, s21
	v_add_co_u32_e32 v10, vcc, s20, v21
	v_addc_co_u32_e32 v11, vcc, 0, v9, vcc
	v_subrev_co_u32_e32 v9, vcc, s14, v10
	v_subbrev_co_u32_e32 v10, vcc, 0, v11, vcc
	v_lshlrev_b64 v[9:10], 2, v[9:10]
	v_mov_b32_e32 v11, s9
	v_add_co_u32_e32 v16, vcc, s8, v9
	v_addc_co_u32_e32 v17, vcc, v11, v10, vcc
	v_mov_b32_e32 v11, 0
	v_mov_b32_e32 v12, 0
	s_mov_b32 s8, 0
	v_mov_b32_e32 v19, s5
	v_mov_b32_e32 v9, v11
	s_brev_b32 s9, 1
	v_mov_b32_e32 v18, s4
	v_mov_b32_e32 v10, v12
	s_branch .LBB448_8
.LBB448_7:                              ;   in Loop: Header=BB448_8 Depth=1
	s_or_b64 exec, exec, s[0:1]
	s_add_u32 s18, s18, 1
	s_addc_u32 s19, s19, 0
	v_cmp_lt_i64_e32 vcc, s[18:19], v[18:19]
	v_add_co_u32_e64 v16, s[0:1], 4, v16
	v_addc_co_u32_e64 v17, s[0:1], 0, v17, s[0:1]
	s_cbranch_vccz .LBB448_10
.LBB448_8:                              ; =>This Inner Loop Header: Depth=1
	v_mov_b32_e32 v23, s19
	v_add_co_u32_e32 v22, vcc, s18, v21
	v_addc_co_u32_e32 v23, vcc, 0, v23, vcc
	v_cmp_gt_i64_e32 vcc, s[4:5], v[22:23]
	s_and_saveexec_b64 s[0:1], vcc
	s_cbranch_execz .LBB448_7
; %bb.9:                                ;   in Loop: Header=BB448_8 Depth=1
	global_load_dword v22, v[16:17], off
	v_mov_b32_e32 v24, s3
	global_load_dwordx2 v[26:27], v[14:15], off
	s_waitcnt vmcnt(1)
	v_subrev_u32_e32 v22, s14, v22
	v_mad_u64_u32 v[22:23], s[10:11], v22, 17, v[13:14]
	v_ashrrev_i32_e32 v23, 31, v22
	v_lshlrev_b64 v[22:23], 4, v[22:23]
	v_add_co_u32_e32 v22, vcc, s2, v22
	v_addc_co_u32_e32 v23, vcc, v24, v23, vcc
	global_load_dwordx4 v[22:25], v[22:23], off
	v_add_co_u32_e32 v14, vcc, 0x908, v14
	v_addc_co_u32_e32 v15, vcc, 0, v15, vcc
	s_waitcnt vmcnt(0)
	v_fma_f64 v[9:10], v[26:27], v[22:23], v[9:10]
	v_fma_f64 v[11:12], v[22:23], 0, v[11:12]
	;; [unrolled: 1-line block ×4, first 2 shown]
	s_branch .LBB448_7
.LBB448_10:
	v_lshlrev_b32_e32 v17, 4, v0
	s_and_b64 vcc, exec, s[16:17]
	ds_write_b128 v17, v[9:12]
	s_waitcnt lgkmcnt(0)
	s_barrier
	s_cbranch_vccz .LBB448_22
; %bb.11:
	v_cmp_eq_u16_e32 vcc, 0, v20
	s_and_saveexec_b64 s[0:1], vcc
	s_cbranch_execz .LBB448_13
; %bb.12:
	ds_read_b128 v[13:16], v17 offset:256
	ds_read_b128 v[21:24], v17
	s_waitcnt lgkmcnt(0)
	v_add_f64 v[13:14], v[13:14], v[21:22]
	v_add_f64 v[15:16], v[15:16], v[23:24]
	ds_write_b128 v17, v[13:16]
.LBB448_13:
	s_or_b64 exec, exec, s[0:1]
	v_cmp_gt_u16_e32 vcc, 8, v20
	s_waitcnt lgkmcnt(0)
	s_barrier
	s_and_saveexec_b64 s[0:1], vcc
	s_cbranch_execz .LBB448_15
; %bb.14:
	ds_read_b128 v[13:16], v17 offset:128
	ds_read_b128 v[21:24], v17
	s_waitcnt lgkmcnt(0)
	v_add_f64 v[13:14], v[13:14], v[21:22]
	v_add_f64 v[15:16], v[15:16], v[23:24]
	ds_write_b128 v17, v[13:16]
.LBB448_15:
	s_or_b64 exec, exec, s[0:1]
	v_cmp_gt_u16_e32 vcc, 4, v20
	s_waitcnt lgkmcnt(0)
	s_barrier
	;; [unrolled: 14-line block ×3, first 2 shown]
	s_and_saveexec_b64 s[0:1], vcc
	s_cbranch_execz .LBB448_19
; %bb.18:
	ds_read_b128 v[13:16], v17
	ds_read_b128 v[18:21], v17 offset:32
	s_waitcnt lgkmcnt(0)
	v_add_f64 v[13:14], v[18:19], v[13:14]
	v_add_f64 v[15:16], v[20:21], v[15:16]
	ds_write_b128 v17, v[13:16]
.LBB448_19:
	s_or_b64 exec, exec, s[0:1]
	v_mov_b32_e32 v16, v12
	v_mov_b32_e32 v14, v10
	v_cmp_gt_u32_e32 vcc, 17, v0
	v_mov_b32_e32 v15, v11
	v_mov_b32_e32 v13, v9
	s_waitcnt lgkmcnt(0)
	s_barrier
	s_and_saveexec_b64 s[0:1], vcc
	s_cbranch_execz .LBB448_21
; %bb.20:
	v_lshl_add_u32 v18, v0, 8, v17
	ds_read_b128 v[13:16], v18
	ds_read_b128 v[18:21], v18 offset:16
	s_waitcnt lgkmcnt(0)
	v_add_f64 v[13:14], v[18:19], v[13:14]
	v_add_f64 v[15:16], v[20:21], v[15:16]
.LBB448_21:
	s_or_b64 exec, exec, s[0:1]
	v_cmp_gt_u32_e64 s[0:1], 17, v0
	s_branch .LBB448_34
.LBB448_22:
                                        ; implicit-def: $vgpr15_vgpr16
                                        ; implicit-def: $vgpr13_vgpr14
	v_cmp_gt_u32_e64 s[0:1], 17, v0
	s_cbranch_execz .LBB448_34
; %bb.23:
	s_and_saveexec_b64 s[2:3], s[0:1]
	s_cbranch_execz .LBB448_25
; %bb.24:
	ds_read_b128 v[13:16], v17 offset:4352
	ds_read_b128 v[18:21], v17
	s_waitcnt lgkmcnt(0)
	v_add_f64 v[13:14], v[13:14], v[18:19]
	v_add_f64 v[15:16], v[15:16], v[20:21]
	ds_write_b128 v17, v[13:16]
.LBB448_25:
	s_or_b64 exec, exec, s[2:3]
	s_movk_i32 s2, 0x88
	v_cmp_gt_u32_e32 vcc, s2, v0
	s_waitcnt lgkmcnt(0)
	s_barrier
	s_and_saveexec_b64 s[2:3], vcc
	s_cbranch_execz .LBB448_27
; %bb.26:
	ds_read_b128 v[13:16], v17 offset:2176
	ds_read_b128 v[18:21], v17
	s_waitcnt lgkmcnt(0)
	v_add_f64 v[13:14], v[13:14], v[18:19]
	v_add_f64 v[15:16], v[15:16], v[20:21]
	ds_write_b128 v17, v[13:16]
.LBB448_27:
	s_or_b64 exec, exec, s[2:3]
	s_movk_i32 s2, 0x44
	v_cmp_gt_u32_e32 vcc, s2, v0
	s_waitcnt lgkmcnt(0)
	s_barrier
	s_and_saveexec_b64 s[2:3], vcc
	s_cbranch_execz .LBB448_29
; %bb.28:
	ds_read_b128 v[13:16], v17 offset:1088
	ds_read_b128 v[18:21], v17
	s_waitcnt lgkmcnt(0)
	v_add_f64 v[13:14], v[13:14], v[18:19]
	v_add_f64 v[15:16], v[15:16], v[20:21]
	ds_write_b128 v17, v[13:16]
.LBB448_29:
	s_or_b64 exec, exec, s[2:3]
	v_cmp_gt_u32_e32 vcc, 34, v0
	s_waitcnt lgkmcnt(0)
	s_barrier
	s_and_saveexec_b64 s[2:3], vcc
	s_cbranch_execz .LBB448_31
; %bb.30:
	ds_read_b128 v[13:16], v17 offset:544
	ds_read_b128 v[18:21], v17
	s_waitcnt lgkmcnt(0)
	v_add_f64 v[13:14], v[13:14], v[18:19]
	v_add_f64 v[15:16], v[15:16], v[20:21]
	ds_write_b128 v17, v[13:16]
.LBB448_31:
	s_or_b64 exec, exec, s[2:3]
	s_waitcnt lgkmcnt(0)
	s_and_saveexec_b64 s[2:3], s[0:1]
	s_cbranch_execz .LBB448_33
; %bb.32:
	ds_read_b128 v[9:12], v17 offset:272
	ds_read_b128 v[13:16], v17
	s_waitcnt lgkmcnt(0)
	v_add_f64 v[9:10], v[9:10], v[13:14]
	v_add_f64 v[11:12], v[11:12], v[15:16]
.LBB448_33:
	s_or_b64 exec, exec, s[2:3]
	v_mov_b32_e32 v16, v12
	v_mov_b32_e32 v14, v10
	;; [unrolled: 1-line block ×4, first 2 shown]
.LBB448_34:
	v_cmp_gt_u32_e32 vcc, 17, v0
	s_and_b64 exec, exec, vcc
	s_cbranch_execz .LBB448_39
; %bb.35:
	v_mul_f64 v[9:10], v[15:16], -v[7:8]
	v_mul_f64 v[11:12], v[5:6], v[15:16]
	v_cmp_eq_f64_e32 vcc, 0, v[1:2]
	v_cmp_eq_f64_e64 s[0:1], 0, v[3:4]
	v_fma_f64 v[5:6], v[5:6], v[13:14], v[9:10]
	v_fma_f64 v[7:8], v[7:8], v[13:14], v[11:12]
	s_and_b64 s[0:1], vcc, s[0:1]
	s_and_saveexec_b64 s[2:3], s[0:1]
	s_xor_b64 s[0:1], exec, s[2:3]
	s_cbranch_execz .LBB448_37
; %bb.36:
	v_mad_u64_u32 v[0:1], s[2:3], s6, 17, v[0:1]
	v_mov_b32_e32 v1, 0
	v_mov_b32_e32 v2, s13
	v_lshlrev_b64 v[0:1], 4, v[0:1]
	v_add_co_u32_e32 v0, vcc, s12, v0
	v_addc_co_u32_e32 v1, vcc, v2, v1, vcc
	global_store_dwordx4 v[0:1], v[5:8], off
                                        ; implicit-def: $vgpr0
                                        ; implicit-def: $vgpr1_vgpr2
                                        ; implicit-def: $vgpr5_vgpr6
.LBB448_37:
	s_andn2_saveexec_b64 s[0:1], s[0:1]
	s_cbranch_execz .LBB448_39
; %bb.38:
	v_mad_u64_u32 v[9:10], s[0:1], s6, 17, v[0:1]
	v_mov_b32_e32 v10, 0
	v_mov_b32_e32 v0, s13
	v_lshlrev_b64 v[9:10], 4, v[9:10]
	v_add_co_u32_e32 v13, vcc, s12, v9
	v_addc_co_u32_e32 v14, vcc, v0, v10, vcc
	global_load_dwordx4 v[9:12], v[13:14], off
	s_waitcnt vmcnt(0)
	v_fma_f64 v[5:6], v[1:2], v[9:10], v[5:6]
	v_fma_f64 v[7:8], v[3:4], v[9:10], v[7:8]
	v_fma_f64 v[3:4], -v[3:4], v[11:12], v[5:6]
	v_fma_f64 v[5:6], v[1:2], v[11:12], v[7:8]
	global_store_dwordx4 v[13:14], v[3:6], off
.LBB448_39:
	s_endpgm
	.section	.rodata,"a",@progbits
	.p2align	6, 0x0
	.amdhsa_kernel _ZN9rocsparseL20bsrxmvn_17_32_kernelILj17E21rocsparse_complex_numIdElidS2_S2_EEvT2_20rocsparse_direction_NS_24const_host_device_scalarIT0_EES3_PKS3_PKT1_SC_S9_PKT3_PKT4_S7_PT5_21rocsparse_index_base_b
		.amdhsa_group_segment_fixed_size 4624
		.amdhsa_private_segment_fixed_size 0
		.amdhsa_kernarg_size 112
		.amdhsa_user_sgpr_count 6
		.amdhsa_user_sgpr_private_segment_buffer 1
		.amdhsa_user_sgpr_dispatch_ptr 0
		.amdhsa_user_sgpr_queue_ptr 0
		.amdhsa_user_sgpr_kernarg_segment_ptr 1
		.amdhsa_user_sgpr_dispatch_id 0
		.amdhsa_user_sgpr_flat_scratch_init 0
		.amdhsa_user_sgpr_private_segment_size 0
		.amdhsa_uses_dynamic_stack 0
		.amdhsa_system_sgpr_private_segment_wavefront_offset 0
		.amdhsa_system_sgpr_workgroup_id_x 1
		.amdhsa_system_sgpr_workgroup_id_y 0
		.amdhsa_system_sgpr_workgroup_id_z 0
		.amdhsa_system_sgpr_workgroup_info 0
		.amdhsa_system_vgpr_workitem_id 0
		.amdhsa_next_free_vgpr 28
		.amdhsa_next_free_sgpr 22
		.amdhsa_reserve_vcc 1
		.amdhsa_reserve_flat_scratch 0
		.amdhsa_float_round_mode_32 0
		.amdhsa_float_round_mode_16_64 0
		.amdhsa_float_denorm_mode_32 3
		.amdhsa_float_denorm_mode_16_64 3
		.amdhsa_dx10_clamp 1
		.amdhsa_ieee_mode 1
		.amdhsa_fp16_overflow 0
		.amdhsa_exception_fp_ieee_invalid_op 0
		.amdhsa_exception_fp_denorm_src 0
		.amdhsa_exception_fp_ieee_div_zero 0
		.amdhsa_exception_fp_ieee_overflow 0
		.amdhsa_exception_fp_ieee_underflow 0
		.amdhsa_exception_fp_ieee_inexact 0
		.amdhsa_exception_int_div_zero 0
	.end_amdhsa_kernel
	.section	.text._ZN9rocsparseL20bsrxmvn_17_32_kernelILj17E21rocsparse_complex_numIdElidS2_S2_EEvT2_20rocsparse_direction_NS_24const_host_device_scalarIT0_EES3_PKS3_PKT1_SC_S9_PKT3_PKT4_S7_PT5_21rocsparse_index_base_b,"axG",@progbits,_ZN9rocsparseL20bsrxmvn_17_32_kernelILj17E21rocsparse_complex_numIdElidS2_S2_EEvT2_20rocsparse_direction_NS_24const_host_device_scalarIT0_EES3_PKS3_PKT1_SC_S9_PKT3_PKT4_S7_PT5_21rocsparse_index_base_b,comdat
.Lfunc_end448:
	.size	_ZN9rocsparseL20bsrxmvn_17_32_kernelILj17E21rocsparse_complex_numIdElidS2_S2_EEvT2_20rocsparse_direction_NS_24const_host_device_scalarIT0_EES3_PKS3_PKT1_SC_S9_PKT3_PKT4_S7_PT5_21rocsparse_index_base_b, .Lfunc_end448-_ZN9rocsparseL20bsrxmvn_17_32_kernelILj17E21rocsparse_complex_numIdElidS2_S2_EEvT2_20rocsparse_direction_NS_24const_host_device_scalarIT0_EES3_PKS3_PKT1_SC_S9_PKT3_PKT4_S7_PT5_21rocsparse_index_base_b
                                        ; -- End function
	.set _ZN9rocsparseL20bsrxmvn_17_32_kernelILj17E21rocsparse_complex_numIdElidS2_S2_EEvT2_20rocsparse_direction_NS_24const_host_device_scalarIT0_EES3_PKS3_PKT1_SC_S9_PKT3_PKT4_S7_PT5_21rocsparse_index_base_b.num_vgpr, 28
	.set _ZN9rocsparseL20bsrxmvn_17_32_kernelILj17E21rocsparse_complex_numIdElidS2_S2_EEvT2_20rocsparse_direction_NS_24const_host_device_scalarIT0_EES3_PKS3_PKT1_SC_S9_PKT3_PKT4_S7_PT5_21rocsparse_index_base_b.num_agpr, 0
	.set _ZN9rocsparseL20bsrxmvn_17_32_kernelILj17E21rocsparse_complex_numIdElidS2_S2_EEvT2_20rocsparse_direction_NS_24const_host_device_scalarIT0_EES3_PKS3_PKT1_SC_S9_PKT3_PKT4_S7_PT5_21rocsparse_index_base_b.numbered_sgpr, 22
	.set _ZN9rocsparseL20bsrxmvn_17_32_kernelILj17E21rocsparse_complex_numIdElidS2_S2_EEvT2_20rocsparse_direction_NS_24const_host_device_scalarIT0_EES3_PKS3_PKT1_SC_S9_PKT3_PKT4_S7_PT5_21rocsparse_index_base_b.num_named_barrier, 0
	.set _ZN9rocsparseL20bsrxmvn_17_32_kernelILj17E21rocsparse_complex_numIdElidS2_S2_EEvT2_20rocsparse_direction_NS_24const_host_device_scalarIT0_EES3_PKS3_PKT1_SC_S9_PKT3_PKT4_S7_PT5_21rocsparse_index_base_b.private_seg_size, 0
	.set _ZN9rocsparseL20bsrxmvn_17_32_kernelILj17E21rocsparse_complex_numIdElidS2_S2_EEvT2_20rocsparse_direction_NS_24const_host_device_scalarIT0_EES3_PKS3_PKT1_SC_S9_PKT3_PKT4_S7_PT5_21rocsparse_index_base_b.uses_vcc, 1
	.set _ZN9rocsparseL20bsrxmvn_17_32_kernelILj17E21rocsparse_complex_numIdElidS2_S2_EEvT2_20rocsparse_direction_NS_24const_host_device_scalarIT0_EES3_PKS3_PKT1_SC_S9_PKT3_PKT4_S7_PT5_21rocsparse_index_base_b.uses_flat_scratch, 0
	.set _ZN9rocsparseL20bsrxmvn_17_32_kernelILj17E21rocsparse_complex_numIdElidS2_S2_EEvT2_20rocsparse_direction_NS_24const_host_device_scalarIT0_EES3_PKS3_PKT1_SC_S9_PKT3_PKT4_S7_PT5_21rocsparse_index_base_b.has_dyn_sized_stack, 0
	.set _ZN9rocsparseL20bsrxmvn_17_32_kernelILj17E21rocsparse_complex_numIdElidS2_S2_EEvT2_20rocsparse_direction_NS_24const_host_device_scalarIT0_EES3_PKS3_PKT1_SC_S9_PKT3_PKT4_S7_PT5_21rocsparse_index_base_b.has_recursion, 0
	.set _ZN9rocsparseL20bsrxmvn_17_32_kernelILj17E21rocsparse_complex_numIdElidS2_S2_EEvT2_20rocsparse_direction_NS_24const_host_device_scalarIT0_EES3_PKS3_PKT1_SC_S9_PKT3_PKT4_S7_PT5_21rocsparse_index_base_b.has_indirect_call, 0
	.section	.AMDGPU.csdata,"",@progbits
; Kernel info:
; codeLenInByte = 1732
; TotalNumSgprs: 26
; NumVgprs: 28
; ScratchSize: 0
; MemoryBound: 0
; FloatMode: 240
; IeeeMode: 1
; LDSByteSize: 4624 bytes/workgroup (compile time only)
; SGPRBlocks: 3
; VGPRBlocks: 6
; NumSGPRsForWavesPerEU: 26
; NumVGPRsForWavesPerEU: 28
; Occupancy: 9
; WaveLimiterHint : 1
; COMPUTE_PGM_RSRC2:SCRATCH_EN: 0
; COMPUTE_PGM_RSRC2:USER_SGPR: 6
; COMPUTE_PGM_RSRC2:TRAP_HANDLER: 0
; COMPUTE_PGM_RSRC2:TGID_X_EN: 1
; COMPUTE_PGM_RSRC2:TGID_Y_EN: 0
; COMPUTE_PGM_RSRC2:TGID_Z_EN: 0
; COMPUTE_PGM_RSRC2:TIDIG_COMP_CNT: 0
	.section	.text._ZN9rocsparseL20bsrxmvn_17_32_kernelILj18E21rocsparse_complex_numIdElidS2_S2_EEvT2_20rocsparse_direction_NS_24const_host_device_scalarIT0_EES3_PKS3_PKT1_SC_S9_PKT3_PKT4_S7_PT5_21rocsparse_index_base_b,"axG",@progbits,_ZN9rocsparseL20bsrxmvn_17_32_kernelILj18E21rocsparse_complex_numIdElidS2_S2_EEvT2_20rocsparse_direction_NS_24const_host_device_scalarIT0_EES3_PKS3_PKT1_SC_S9_PKT3_PKT4_S7_PT5_21rocsparse_index_base_b,comdat
	.globl	_ZN9rocsparseL20bsrxmvn_17_32_kernelILj18E21rocsparse_complex_numIdElidS2_S2_EEvT2_20rocsparse_direction_NS_24const_host_device_scalarIT0_EES3_PKS3_PKT1_SC_S9_PKT3_PKT4_S7_PT5_21rocsparse_index_base_b ; -- Begin function _ZN9rocsparseL20bsrxmvn_17_32_kernelILj18E21rocsparse_complex_numIdElidS2_S2_EEvT2_20rocsparse_direction_NS_24const_host_device_scalarIT0_EES3_PKS3_PKT1_SC_S9_PKT3_PKT4_S7_PT5_21rocsparse_index_base_b
	.p2align	8
	.type	_ZN9rocsparseL20bsrxmvn_17_32_kernelILj18E21rocsparse_complex_numIdElidS2_S2_EEvT2_20rocsparse_direction_NS_24const_host_device_scalarIT0_EES3_PKS3_PKT1_SC_S9_PKT3_PKT4_S7_PT5_21rocsparse_index_base_b,@function
_ZN9rocsparseL20bsrxmvn_17_32_kernelILj18E21rocsparse_complex_numIdElidS2_S2_EEvT2_20rocsparse_direction_NS_24const_host_device_scalarIT0_EES3_PKS3_PKT1_SC_S9_PKT3_PKT4_S7_PT5_21rocsparse_index_base_b: ; @_ZN9rocsparseL20bsrxmvn_17_32_kernelILj18E21rocsparse_complex_numIdElidS2_S2_EEvT2_20rocsparse_direction_NS_24const_host_device_scalarIT0_EES3_PKS3_PKT1_SC_S9_PKT3_PKT4_S7_PT5_21rocsparse_index_base_b
; %bb.0:
	s_load_dwordx2 s[0:1], s[4:5], 0x8
	s_load_dwordx2 s[10:11], s[4:5], 0x68
	s_add_u32 s7, s4, 8
	s_addc_u32 s8, s5, 0
	s_add_u32 s9, s4, 0x50
	s_addc_u32 s12, s5, 0
	s_waitcnt lgkmcnt(0)
	s_bitcmp1_b32 s11, 0
	s_cselect_b32 s1, s8, s1
	s_cselect_b32 s0, s7, s0
	v_mov_b32_e32 v1, s0
	v_mov_b32_e32 v2, s1
	flat_load_dwordx4 v[5:8], v[1:2]
	s_load_dwordx2 s[2:3], s[4:5], 0x50
	s_waitcnt lgkmcnt(0)
	s_cselect_b32 s0, s12, s3
	s_cselect_b32 s1, s9, s2
	v_mov_b32_e32 v1, s1
	v_mov_b32_e32 v2, s0
	flat_load_dwordx4 v[1:4], v[1:2]
	s_waitcnt vmcnt(0)
	v_cmp_eq_f64_e32 vcc, 0, v[5:6]
	v_cmp_eq_f64_e64 s[0:1], 0, v[7:8]
	s_and_b64 s[8:9], vcc, s[0:1]
	s_mov_b64 s[0:1], -1
	s_and_saveexec_b64 s[2:3], s[8:9]
	s_cbranch_execz .LBB449_2
; %bb.1:
	s_waitcnt lgkmcnt(0)
	v_cmp_neq_f64_e32 vcc, 1.0, v[1:2]
	v_cmp_neq_f64_e64 s[0:1], 0, v[3:4]
	s_or_b64 s[0:1], vcc, s[0:1]
	s_orn2_b64 s[0:1], s[0:1], exec
.LBB449_2:
	s_or_b64 exec, exec, s[2:3]
	s_and_saveexec_b64 s[2:3], s[0:1]
	s_cbranch_execz .LBB449_39
; %bb.3:
	s_load_dwordx4 s[0:3], s[4:5], 0x20
	s_load_dwordx2 s[14:15], s[4:5], 0x30
	s_waitcnt lgkmcnt(0)
	s_cmp_eq_u64 s[0:1], 0
	s_cbranch_scc1 .LBB449_5
; %bb.4:
	s_ashr_i32 s7, s6, 31
	s_lshl_b64 s[6:7], s[6:7], 2
	s_add_u32 s0, s0, s6
	s_addc_u32 s1, s1, s7
	s_load_dword s0, s[0:1], 0x0
	s_waitcnt lgkmcnt(0)
	s_sub_i32 s6, s0, s10
.LBB449_5:
	s_load_dword s7, s[4:5], 0x4
	s_load_dwordx2 s[8:9], s[4:5], 0x60
	v_mul_u32_u24_e32 v13, 0xe39, v0
	v_mov_b32_e32 v14, 18
	v_mul_lo_u16_sdwa v9, v13, v14 dst_sel:DWORD dst_unused:UNUSED_PAD src0_sel:WORD_1 src1_sel:DWORD
	s_waitcnt lgkmcnt(0)
	s_cmp_eq_u32 s7, 1
	s_cselect_b64 s[0:1], -1, 0
	s_cmp_lg_u32 s7, 1
	s_cselect_b64 s[12:13], -1, 0
	s_ashr_i32 s7, s6, 31
	s_lshl_b64 s[16:17], s[6:7], 3
	s_add_u32 s2, s2, s16
	s_addc_u32 s3, s3, s17
	s_add_u32 s7, s2, 8
	s_addc_u32 s11, s3, 0
	;; [unrolled: 2-line block ×3, first 2 shown]
	s_cmp_eq_u64 s[14:15], 0
	s_cselect_b32 s19, s11, s17
	s_cselect_b32 s18, s7, s16
	s_load_dwordx2 s[14:15], s[18:19], 0x0
	s_load_dwordx2 s[16:17], s[2:3], 0x0
	v_sub_u16_e32 v20, v0, v9
	v_mov_b32_e32 v11, 0
	v_mov_b32_e32 v12, 0
	s_waitcnt lgkmcnt(0)
	v_mov_b32_e32 v9, s14
	v_mov_b32_e32 v10, s15
	v_cmp_ge_i64_e32 vcc, s[16:17], v[9:10]
	v_mov_b32_e32 v9, 0
	v_mov_b32_e32 v10, 0
	s_cbranch_vccnz .LBB449_10
; %bb.6:
	v_mov_b32_e32 v9, 15
	s_load_dwordx2 s[2:3], s[4:5], 0x48
	s_load_dwordx4 s[20:23], s[4:5], 0x38
	s_sub_u32 s4, s14, s10
	v_mul_lo_u16_sdwa v9, v13, v9 dst_sel:DWORD dst_unused:UNUSED_PAD src0_sel:WORD_1 src1_sel:DWORD
	s_subb_u32 s5, s15, 0
	v_mul_lo_u16_sdwa v9, v9, v14 dst_sel:DWORD dst_unused:UNUSED_PAD src0_sel:BYTE_1 src1_sel:DWORD
	v_sub_u16_sdwa v9, v13, v9 dst_sel:DWORD dst_unused:UNUSED_PAD src0_sel:WORD_1 src1_sel:DWORD
	s_sub_u32 s14, s16, s10
	v_and_b32_e32 v9, 0xff, v9
	s_subb_u32 s15, s17, 0
	v_cndmask_b32_e64 v13, v20, v9, s[0:1]
	s_mul_i32 s0, s15, 0xa20
	s_mul_hi_u32 s1, s14, 0xa20
	s_add_i32 s1, s1, s0
	s_mul_i32 s0, s14, 0xa20
	s_waitcnt lgkmcnt(0)
	s_add_u32 s0, s22, s0
	v_lshlrev_b32_e32 v9, 3, v0
	s_addc_u32 s1, s23, s1
	v_add_co_u32_e32 v14, vcc, s0, v9
	s_movk_i32 s0, 0x195
	v_mov_b32_e32 v10, s1
	v_mul_u32_u24_sdwa v9, v0, s0 dst_sel:DWORD dst_unused:UNUSED_PAD src0_sel:WORD_0 src1_sel:DWORD
	v_addc_co_u32_e32 v15, vcc, 0, v10, vcc
	v_lshrrev_b32_e32 v21, 17, v9
	v_mov_b32_e32 v9, s17
	v_add_co_u32_e32 v10, vcc, s16, v21
	v_addc_co_u32_e32 v11, vcc, 0, v9, vcc
	v_subrev_co_u32_e32 v9, vcc, s10, v10
	v_subbrev_co_u32_e32 v10, vcc, 0, v11, vcc
	v_lshlrev_b64 v[9:10], 2, v[9:10]
	v_mov_b32_e32 v11, s21
	v_add_co_u32_e32 v16, vcc, s20, v9
	v_addc_co_u32_e32 v17, vcc, v11, v10, vcc
	v_mov_b32_e32 v11, 0
	v_mov_b32_e32 v12, 0
	s_mov_b32 s16, 0
	v_mov_b32_e32 v19, s5
	v_mov_b32_e32 v9, v11
	s_brev_b32 s17, 1
	v_mov_b32_e32 v18, s4
	v_mov_b32_e32 v10, v12
	s_branch .LBB449_8
.LBB449_7:                              ;   in Loop: Header=BB449_8 Depth=1
	s_or_b64 exec, exec, s[0:1]
	s_add_u32 s14, s14, 1
	s_addc_u32 s15, s15, 0
	v_cmp_lt_i64_e32 vcc, s[14:15], v[18:19]
	v_add_co_u32_e64 v16, s[0:1], 4, v16
	v_addc_co_u32_e64 v17, s[0:1], 0, v17, s[0:1]
	s_cbranch_vccz .LBB449_10
.LBB449_8:                              ; =>This Inner Loop Header: Depth=1
	v_mov_b32_e32 v23, s15
	v_add_co_u32_e32 v22, vcc, s14, v21
	v_addc_co_u32_e32 v23, vcc, 0, v23, vcc
	v_cmp_gt_i64_e32 vcc, s[4:5], v[22:23]
	s_and_saveexec_b64 s[0:1], vcc
	s_cbranch_execz .LBB449_7
; %bb.9:                                ;   in Loop: Header=BB449_8 Depth=1
	global_load_dword v22, v[16:17], off
	v_mov_b32_e32 v24, s3
	global_load_dwordx2 v[26:27], v[14:15], off
	s_waitcnt vmcnt(1)
	v_subrev_u32_e32 v22, s10, v22
	v_mad_u64_u32 v[22:23], s[18:19], v22, 18, v[13:14]
	v_ashrrev_i32_e32 v23, 31, v22
	v_lshlrev_b64 v[22:23], 4, v[22:23]
	v_add_co_u32_e32 v22, vcc, s2, v22
	v_addc_co_u32_e32 v23, vcc, v24, v23, vcc
	global_load_dwordx4 v[22:25], v[22:23], off
	v_add_co_u32_e32 v14, vcc, 0xa20, v14
	v_addc_co_u32_e32 v15, vcc, 0, v15, vcc
	s_waitcnt vmcnt(0)
	v_fma_f64 v[9:10], v[26:27], v[22:23], v[9:10]
	v_fma_f64 v[11:12], v[22:23], 0, v[11:12]
	;; [unrolled: 1-line block ×4, first 2 shown]
	s_branch .LBB449_7
.LBB449_10:
	v_lshlrev_b32_e32 v17, 4, v0
	s_and_b64 vcc, exec, s[12:13]
	ds_write_b128 v17, v[9:12]
	s_waitcnt lgkmcnt(0)
	s_barrier
	s_cbranch_vccz .LBB449_22
; %bb.11:
	v_cmp_gt_u16_e32 vcc, 2, v20
	s_and_saveexec_b64 s[0:1], vcc
	s_cbranch_execz .LBB449_13
; %bb.12:
	ds_read_b128 v[13:16], v17 offset:256
	ds_read_b128 v[21:24], v17
	s_waitcnt lgkmcnt(0)
	v_add_f64 v[13:14], v[13:14], v[21:22]
	v_add_f64 v[15:16], v[15:16], v[23:24]
	ds_write_b128 v17, v[13:16]
.LBB449_13:
	s_or_b64 exec, exec, s[0:1]
	v_cmp_gt_u16_e64 s[0:1], 8, v20
	s_waitcnt lgkmcnt(0)
	s_barrier
	s_and_saveexec_b64 s[2:3], s[0:1]
	s_cbranch_execz .LBB449_15
; %bb.14:
	ds_read_b128 v[13:16], v17 offset:128
	ds_read_b128 v[21:24], v17
	s_waitcnt lgkmcnt(0)
	v_add_f64 v[13:14], v[13:14], v[21:22]
	v_add_f64 v[15:16], v[15:16], v[23:24]
	ds_write_b128 v17, v[13:16]
.LBB449_15:
	s_or_b64 exec, exec, s[2:3]
	v_cmp_gt_u16_e64 s[0:1], 4, v20
	s_waitcnt lgkmcnt(0)
	s_barrier
	s_and_saveexec_b64 s[2:3], s[0:1]
	s_cbranch_execz .LBB449_17
; %bb.16:
	ds_read_b128 v[13:16], v17 offset:64
	ds_read_b128 v[18:21], v17
	s_waitcnt lgkmcnt(0)
	v_add_f64 v[13:14], v[13:14], v[18:19]
	v_add_f64 v[15:16], v[15:16], v[20:21]
	ds_write_b128 v17, v[13:16]
.LBB449_17:
	s_or_b64 exec, exec, s[2:3]
	s_waitcnt lgkmcnt(0)
	s_barrier
	s_and_saveexec_b64 s[0:1], vcc
	s_cbranch_execz .LBB449_19
; %bb.18:
	ds_read_b128 v[13:16], v17
	ds_read_b128 v[18:21], v17 offset:32
	s_waitcnt lgkmcnt(0)
	v_add_f64 v[13:14], v[18:19], v[13:14]
	v_add_f64 v[15:16], v[20:21], v[15:16]
	ds_write_b128 v17, v[13:16]
.LBB449_19:
	s_or_b64 exec, exec, s[0:1]
	v_mov_b32_e32 v16, v12
	v_mov_b32_e32 v14, v10
	v_cmp_gt_u32_e32 vcc, 18, v0
	v_mov_b32_e32 v15, v11
	v_mov_b32_e32 v13, v9
	s_waitcnt lgkmcnt(0)
	s_barrier
	s_and_saveexec_b64 s[0:1], vcc
	s_cbranch_execz .LBB449_21
; %bb.20:
	s_movk_i32 s2, 0x110
	v_mad_u32_u24 v18, v0, s2, v17
	ds_read_b128 v[13:16], v18
	ds_read_b128 v[18:21], v18 offset:16
	s_waitcnt lgkmcnt(0)
	v_add_f64 v[13:14], v[18:19], v[13:14]
	v_add_f64 v[15:16], v[20:21], v[15:16]
.LBB449_21:
	s_or_b64 exec, exec, s[0:1]
	s_branch .LBB449_34
.LBB449_22:
                                        ; implicit-def: $vgpr15_vgpr16
                                        ; implicit-def: $vgpr13_vgpr14
	s_cbranch_execz .LBB449_34
; %bb.23:
	v_cmp_gt_u32_e32 vcc, 36, v0
	s_and_saveexec_b64 s[0:1], vcc
	s_cbranch_execz .LBB449_25
; %bb.24:
	ds_read_b128 v[13:16], v17 offset:4608
	ds_read_b128 v[18:21], v17
	s_waitcnt lgkmcnt(0)
	v_add_f64 v[13:14], v[13:14], v[18:19]
	v_add_f64 v[15:16], v[15:16], v[20:21]
	ds_write_b128 v17, v[13:16]
.LBB449_25:
	s_or_b64 exec, exec, s[0:1]
	s_movk_i32 s0, 0x90
	v_cmp_gt_u32_e64 s[0:1], s0, v0
	s_waitcnt lgkmcnt(0)
	s_barrier
	s_and_saveexec_b64 s[2:3], s[0:1]
	s_cbranch_execz .LBB449_27
; %bb.26:
	ds_read_b128 v[13:16], v17 offset:2304
	ds_read_b128 v[18:21], v17
	s_waitcnt lgkmcnt(0)
	v_add_f64 v[13:14], v[13:14], v[18:19]
	v_add_f64 v[15:16], v[15:16], v[20:21]
	ds_write_b128 v17, v[13:16]
.LBB449_27:
	s_or_b64 exec, exec, s[2:3]
	s_movk_i32 s0, 0x48
	v_cmp_gt_u32_e64 s[0:1], s0, v0
	s_waitcnt lgkmcnt(0)
	s_barrier
	s_and_saveexec_b64 s[2:3], s[0:1]
	s_cbranch_execz .LBB449_29
; %bb.28:
	ds_read_b128 v[13:16], v17 offset:1152
	ds_read_b128 v[18:21], v17
	s_waitcnt lgkmcnt(0)
	v_add_f64 v[13:14], v[13:14], v[18:19]
	v_add_f64 v[15:16], v[15:16], v[20:21]
	ds_write_b128 v17, v[13:16]
.LBB449_29:
	s_or_b64 exec, exec, s[2:3]
	s_waitcnt lgkmcnt(0)
	s_barrier
	s_and_saveexec_b64 s[0:1], vcc
	s_cbranch_execz .LBB449_31
; %bb.30:
	ds_read_b128 v[13:16], v17 offset:576
	ds_read_b128 v[18:21], v17
	s_waitcnt lgkmcnt(0)
	v_add_f64 v[13:14], v[13:14], v[18:19]
	v_add_f64 v[15:16], v[15:16], v[20:21]
	ds_write_b128 v17, v[13:16]
.LBB449_31:
	s_or_b64 exec, exec, s[0:1]
	v_cmp_gt_u32_e32 vcc, 18, v0
	s_waitcnt lgkmcnt(0)
	s_and_saveexec_b64 s[0:1], vcc
	s_cbranch_execz .LBB449_33
; %bb.32:
	ds_read_b128 v[9:12], v17 offset:288
	ds_read_b128 v[13:16], v17
	s_waitcnt lgkmcnt(0)
	v_add_f64 v[9:10], v[9:10], v[13:14]
	v_add_f64 v[11:12], v[11:12], v[15:16]
.LBB449_33:
	s_or_b64 exec, exec, s[0:1]
	v_mov_b32_e32 v16, v12
	v_mov_b32_e32 v14, v10
	;; [unrolled: 1-line block ×4, first 2 shown]
.LBB449_34:
	v_cmp_gt_u32_e32 vcc, 18, v0
	s_and_b64 exec, exec, vcc
	s_cbranch_execz .LBB449_39
; %bb.35:
	v_mul_f64 v[9:10], v[15:16], -v[7:8]
	v_mul_f64 v[11:12], v[5:6], v[15:16]
	v_cmp_eq_f64_e32 vcc, 0, v[1:2]
	v_cmp_eq_f64_e64 s[0:1], 0, v[3:4]
	v_fma_f64 v[5:6], v[5:6], v[13:14], v[9:10]
	v_fma_f64 v[7:8], v[7:8], v[13:14], v[11:12]
	s_and_b64 s[0:1], vcc, s[0:1]
	s_and_saveexec_b64 s[2:3], s[0:1]
	s_xor_b64 s[0:1], exec, s[2:3]
	s_cbranch_execz .LBB449_37
; %bb.36:
	v_mad_u64_u32 v[0:1], s[2:3], s6, 18, v[0:1]
	v_mov_b32_e32 v1, 0
	v_mov_b32_e32 v2, s9
	v_lshlrev_b64 v[0:1], 4, v[0:1]
	v_add_co_u32_e32 v0, vcc, s8, v0
	v_addc_co_u32_e32 v1, vcc, v2, v1, vcc
	global_store_dwordx4 v[0:1], v[5:8], off
                                        ; implicit-def: $vgpr0
                                        ; implicit-def: $vgpr1_vgpr2
                                        ; implicit-def: $vgpr5_vgpr6
.LBB449_37:
	s_andn2_saveexec_b64 s[0:1], s[0:1]
	s_cbranch_execz .LBB449_39
; %bb.38:
	v_mad_u64_u32 v[9:10], s[0:1], s6, 18, v[0:1]
	v_mov_b32_e32 v10, 0
	v_mov_b32_e32 v0, s9
	v_lshlrev_b64 v[9:10], 4, v[9:10]
	v_add_co_u32_e32 v13, vcc, s8, v9
	v_addc_co_u32_e32 v14, vcc, v0, v10, vcc
	global_load_dwordx4 v[9:12], v[13:14], off
	s_waitcnt vmcnt(0)
	v_fma_f64 v[5:6], v[1:2], v[9:10], v[5:6]
	v_fma_f64 v[7:8], v[3:4], v[9:10], v[7:8]
	v_fma_f64 v[3:4], -v[3:4], v[11:12], v[5:6]
	v_fma_f64 v[5:6], v[1:2], v[11:12], v[7:8]
	global_store_dwordx4 v[13:14], v[3:6], off
.LBB449_39:
	s_endpgm
	.section	.rodata,"a",@progbits
	.p2align	6, 0x0
	.amdhsa_kernel _ZN9rocsparseL20bsrxmvn_17_32_kernelILj18E21rocsparse_complex_numIdElidS2_S2_EEvT2_20rocsparse_direction_NS_24const_host_device_scalarIT0_EES3_PKS3_PKT1_SC_S9_PKT3_PKT4_S7_PT5_21rocsparse_index_base_b
		.amdhsa_group_segment_fixed_size 5184
		.amdhsa_private_segment_fixed_size 0
		.amdhsa_kernarg_size 112
		.amdhsa_user_sgpr_count 6
		.amdhsa_user_sgpr_private_segment_buffer 1
		.amdhsa_user_sgpr_dispatch_ptr 0
		.amdhsa_user_sgpr_queue_ptr 0
		.amdhsa_user_sgpr_kernarg_segment_ptr 1
		.amdhsa_user_sgpr_dispatch_id 0
		.amdhsa_user_sgpr_flat_scratch_init 0
		.amdhsa_user_sgpr_private_segment_size 0
		.amdhsa_uses_dynamic_stack 0
		.amdhsa_system_sgpr_private_segment_wavefront_offset 0
		.amdhsa_system_sgpr_workgroup_id_x 1
		.amdhsa_system_sgpr_workgroup_id_y 0
		.amdhsa_system_sgpr_workgroup_id_z 0
		.amdhsa_system_sgpr_workgroup_info 0
		.amdhsa_system_vgpr_workitem_id 0
		.amdhsa_next_free_vgpr 28
		.amdhsa_next_free_sgpr 61
		.amdhsa_reserve_vcc 1
		.amdhsa_reserve_flat_scratch 0
		.amdhsa_float_round_mode_32 0
		.amdhsa_float_round_mode_16_64 0
		.amdhsa_float_denorm_mode_32 3
		.amdhsa_float_denorm_mode_16_64 3
		.amdhsa_dx10_clamp 1
		.amdhsa_ieee_mode 1
		.amdhsa_fp16_overflow 0
		.amdhsa_exception_fp_ieee_invalid_op 0
		.amdhsa_exception_fp_denorm_src 0
		.amdhsa_exception_fp_ieee_div_zero 0
		.amdhsa_exception_fp_ieee_overflow 0
		.amdhsa_exception_fp_ieee_underflow 0
		.amdhsa_exception_fp_ieee_inexact 0
		.amdhsa_exception_int_div_zero 0
	.end_amdhsa_kernel
	.section	.text._ZN9rocsparseL20bsrxmvn_17_32_kernelILj18E21rocsparse_complex_numIdElidS2_S2_EEvT2_20rocsparse_direction_NS_24const_host_device_scalarIT0_EES3_PKS3_PKT1_SC_S9_PKT3_PKT4_S7_PT5_21rocsparse_index_base_b,"axG",@progbits,_ZN9rocsparseL20bsrxmvn_17_32_kernelILj18E21rocsparse_complex_numIdElidS2_S2_EEvT2_20rocsparse_direction_NS_24const_host_device_scalarIT0_EES3_PKS3_PKT1_SC_S9_PKT3_PKT4_S7_PT5_21rocsparse_index_base_b,comdat
.Lfunc_end449:
	.size	_ZN9rocsparseL20bsrxmvn_17_32_kernelILj18E21rocsparse_complex_numIdElidS2_S2_EEvT2_20rocsparse_direction_NS_24const_host_device_scalarIT0_EES3_PKS3_PKT1_SC_S9_PKT3_PKT4_S7_PT5_21rocsparse_index_base_b, .Lfunc_end449-_ZN9rocsparseL20bsrxmvn_17_32_kernelILj18E21rocsparse_complex_numIdElidS2_S2_EEvT2_20rocsparse_direction_NS_24const_host_device_scalarIT0_EES3_PKS3_PKT1_SC_S9_PKT3_PKT4_S7_PT5_21rocsparse_index_base_b
                                        ; -- End function
	.set _ZN9rocsparseL20bsrxmvn_17_32_kernelILj18E21rocsparse_complex_numIdElidS2_S2_EEvT2_20rocsparse_direction_NS_24const_host_device_scalarIT0_EES3_PKS3_PKT1_SC_S9_PKT3_PKT4_S7_PT5_21rocsparse_index_base_b.num_vgpr, 28
	.set _ZN9rocsparseL20bsrxmvn_17_32_kernelILj18E21rocsparse_complex_numIdElidS2_S2_EEvT2_20rocsparse_direction_NS_24const_host_device_scalarIT0_EES3_PKS3_PKT1_SC_S9_PKT3_PKT4_S7_PT5_21rocsparse_index_base_b.num_agpr, 0
	.set _ZN9rocsparseL20bsrxmvn_17_32_kernelILj18E21rocsparse_complex_numIdElidS2_S2_EEvT2_20rocsparse_direction_NS_24const_host_device_scalarIT0_EES3_PKS3_PKT1_SC_S9_PKT3_PKT4_S7_PT5_21rocsparse_index_base_b.numbered_sgpr, 24
	.set _ZN9rocsparseL20bsrxmvn_17_32_kernelILj18E21rocsparse_complex_numIdElidS2_S2_EEvT2_20rocsparse_direction_NS_24const_host_device_scalarIT0_EES3_PKS3_PKT1_SC_S9_PKT3_PKT4_S7_PT5_21rocsparse_index_base_b.num_named_barrier, 0
	.set _ZN9rocsparseL20bsrxmvn_17_32_kernelILj18E21rocsparse_complex_numIdElidS2_S2_EEvT2_20rocsparse_direction_NS_24const_host_device_scalarIT0_EES3_PKS3_PKT1_SC_S9_PKT3_PKT4_S7_PT5_21rocsparse_index_base_b.private_seg_size, 0
	.set _ZN9rocsparseL20bsrxmvn_17_32_kernelILj18E21rocsparse_complex_numIdElidS2_S2_EEvT2_20rocsparse_direction_NS_24const_host_device_scalarIT0_EES3_PKS3_PKT1_SC_S9_PKT3_PKT4_S7_PT5_21rocsparse_index_base_b.uses_vcc, 1
	.set _ZN9rocsparseL20bsrxmvn_17_32_kernelILj18E21rocsparse_complex_numIdElidS2_S2_EEvT2_20rocsparse_direction_NS_24const_host_device_scalarIT0_EES3_PKS3_PKT1_SC_S9_PKT3_PKT4_S7_PT5_21rocsparse_index_base_b.uses_flat_scratch, 0
	.set _ZN9rocsparseL20bsrxmvn_17_32_kernelILj18E21rocsparse_complex_numIdElidS2_S2_EEvT2_20rocsparse_direction_NS_24const_host_device_scalarIT0_EES3_PKS3_PKT1_SC_S9_PKT3_PKT4_S7_PT5_21rocsparse_index_base_b.has_dyn_sized_stack, 0
	.set _ZN9rocsparseL20bsrxmvn_17_32_kernelILj18E21rocsparse_complex_numIdElidS2_S2_EEvT2_20rocsparse_direction_NS_24const_host_device_scalarIT0_EES3_PKS3_PKT1_SC_S9_PKT3_PKT4_S7_PT5_21rocsparse_index_base_b.has_recursion, 0
	.set _ZN9rocsparseL20bsrxmvn_17_32_kernelILj18E21rocsparse_complex_numIdElidS2_S2_EEvT2_20rocsparse_direction_NS_24const_host_device_scalarIT0_EES3_PKS3_PKT1_SC_S9_PKT3_PKT4_S7_PT5_21rocsparse_index_base_b.has_indirect_call, 0
	.section	.AMDGPU.csdata,"",@progbits
; Kernel info:
; codeLenInByte = 1736
; TotalNumSgprs: 28
; NumVgprs: 28
; ScratchSize: 0
; MemoryBound: 0
; FloatMode: 240
; IeeeMode: 1
; LDSByteSize: 5184 bytes/workgroup (compile time only)
; SGPRBlocks: 8
; VGPRBlocks: 6
; NumSGPRsForWavesPerEU: 65
; NumVGPRsForWavesPerEU: 28
; Occupancy: 9
; WaveLimiterHint : 1
; COMPUTE_PGM_RSRC2:SCRATCH_EN: 0
; COMPUTE_PGM_RSRC2:USER_SGPR: 6
; COMPUTE_PGM_RSRC2:TRAP_HANDLER: 0
; COMPUTE_PGM_RSRC2:TGID_X_EN: 1
; COMPUTE_PGM_RSRC2:TGID_Y_EN: 0
; COMPUTE_PGM_RSRC2:TGID_Z_EN: 0
; COMPUTE_PGM_RSRC2:TIDIG_COMP_CNT: 0
	.section	.text._ZN9rocsparseL20bsrxmvn_17_32_kernelILj19E21rocsparse_complex_numIdElidS2_S2_EEvT2_20rocsparse_direction_NS_24const_host_device_scalarIT0_EES3_PKS3_PKT1_SC_S9_PKT3_PKT4_S7_PT5_21rocsparse_index_base_b,"axG",@progbits,_ZN9rocsparseL20bsrxmvn_17_32_kernelILj19E21rocsparse_complex_numIdElidS2_S2_EEvT2_20rocsparse_direction_NS_24const_host_device_scalarIT0_EES3_PKS3_PKT1_SC_S9_PKT3_PKT4_S7_PT5_21rocsparse_index_base_b,comdat
	.globl	_ZN9rocsparseL20bsrxmvn_17_32_kernelILj19E21rocsparse_complex_numIdElidS2_S2_EEvT2_20rocsparse_direction_NS_24const_host_device_scalarIT0_EES3_PKS3_PKT1_SC_S9_PKT3_PKT4_S7_PT5_21rocsparse_index_base_b ; -- Begin function _ZN9rocsparseL20bsrxmvn_17_32_kernelILj19E21rocsparse_complex_numIdElidS2_S2_EEvT2_20rocsparse_direction_NS_24const_host_device_scalarIT0_EES3_PKS3_PKT1_SC_S9_PKT3_PKT4_S7_PT5_21rocsparse_index_base_b
	.p2align	8
	.type	_ZN9rocsparseL20bsrxmvn_17_32_kernelILj19E21rocsparse_complex_numIdElidS2_S2_EEvT2_20rocsparse_direction_NS_24const_host_device_scalarIT0_EES3_PKS3_PKT1_SC_S9_PKT3_PKT4_S7_PT5_21rocsparse_index_base_b,@function
_ZN9rocsparseL20bsrxmvn_17_32_kernelILj19E21rocsparse_complex_numIdElidS2_S2_EEvT2_20rocsparse_direction_NS_24const_host_device_scalarIT0_EES3_PKS3_PKT1_SC_S9_PKT3_PKT4_S7_PT5_21rocsparse_index_base_b: ; @_ZN9rocsparseL20bsrxmvn_17_32_kernelILj19E21rocsparse_complex_numIdElidS2_S2_EEvT2_20rocsparse_direction_NS_24const_host_device_scalarIT0_EES3_PKS3_PKT1_SC_S9_PKT3_PKT4_S7_PT5_21rocsparse_index_base_b
; %bb.0:
	s_load_dwordx2 s[0:1], s[4:5], 0x8
	s_load_dwordx2 s[10:11], s[4:5], 0x68
	s_add_u32 s7, s4, 8
	s_addc_u32 s8, s5, 0
	s_add_u32 s9, s4, 0x50
	s_addc_u32 s12, s5, 0
	s_waitcnt lgkmcnt(0)
	s_bitcmp1_b32 s11, 0
	s_cselect_b32 s1, s8, s1
	s_cselect_b32 s0, s7, s0
	v_mov_b32_e32 v1, s0
	v_mov_b32_e32 v2, s1
	flat_load_dwordx4 v[5:8], v[1:2]
	s_load_dwordx2 s[2:3], s[4:5], 0x50
	s_waitcnt lgkmcnt(0)
	s_cselect_b32 s0, s12, s3
	s_cselect_b32 s1, s9, s2
	v_mov_b32_e32 v1, s1
	v_mov_b32_e32 v2, s0
	flat_load_dwordx4 v[1:4], v[1:2]
	s_waitcnt vmcnt(0)
	v_cmp_eq_f64_e32 vcc, 0, v[5:6]
	v_cmp_eq_f64_e64 s[0:1], 0, v[7:8]
	s_and_b64 s[8:9], vcc, s[0:1]
	s_mov_b64 s[0:1], -1
	s_and_saveexec_b64 s[2:3], s[8:9]
	s_cbranch_execz .LBB450_2
; %bb.1:
	s_waitcnt lgkmcnt(0)
	v_cmp_neq_f64_e32 vcc, 1.0, v[1:2]
	v_cmp_neq_f64_e64 s[0:1], 0, v[3:4]
	s_or_b64 s[0:1], vcc, s[0:1]
	s_orn2_b64 s[0:1], s[0:1], exec
.LBB450_2:
	s_or_b64 exec, exec, s[2:3]
	s_and_saveexec_b64 s[2:3], s[0:1]
	s_cbranch_execz .LBB450_39
; %bb.3:
	s_load_dwordx4 s[0:3], s[4:5], 0x20
	s_load_dwordx2 s[14:15], s[4:5], 0x30
	s_waitcnt lgkmcnt(0)
	s_cmp_eq_u64 s[0:1], 0
	s_cbranch_scc1 .LBB450_5
; %bb.4:
	s_ashr_i32 s7, s6, 31
	s_lshl_b64 s[6:7], s[6:7], 2
	s_add_u32 s0, s0, s6
	s_addc_u32 s1, s1, s7
	s_load_dword s0, s[0:1], 0x0
	s_waitcnt lgkmcnt(0)
	s_sub_i32 s6, s0, s10
.LBB450_5:
	s_load_dword s7, s[4:5], 0x4
	s_load_dwordx2 s[8:9], s[4:5], 0x60
	v_mul_u32_u24_e32 v13, 0xd7a, v0
	v_mov_b32_e32 v14, 19
	v_mul_lo_u16_sdwa v9, v13, v14 dst_sel:DWORD dst_unused:UNUSED_PAD src0_sel:WORD_1 src1_sel:DWORD
	s_waitcnt lgkmcnt(0)
	s_cmp_eq_u32 s7, 1
	s_cselect_b64 s[0:1], -1, 0
	s_cmp_lg_u32 s7, 1
	s_cselect_b64 s[12:13], -1, 0
	s_ashr_i32 s7, s6, 31
	s_lshl_b64 s[16:17], s[6:7], 3
	s_add_u32 s2, s2, s16
	s_addc_u32 s3, s3, s17
	s_add_u32 s7, s2, 8
	s_addc_u32 s11, s3, 0
	;; [unrolled: 2-line block ×3, first 2 shown]
	s_cmp_eq_u64 s[14:15], 0
	s_cselect_b32 s19, s11, s17
	s_cselect_b32 s18, s7, s16
	s_load_dwordx2 s[14:15], s[18:19], 0x0
	s_load_dwordx2 s[16:17], s[2:3], 0x0
	v_sub_u16_e32 v20, v0, v9
	v_mov_b32_e32 v11, 0
	v_mov_b32_e32 v12, 0
	s_waitcnt lgkmcnt(0)
	v_mov_b32_e32 v9, s14
	v_mov_b32_e32 v10, s15
	v_cmp_ge_i64_e32 vcc, s[16:17], v[9:10]
	v_mov_b32_e32 v9, 0
	v_mov_b32_e32 v10, 0
	s_cbranch_vccnz .LBB450_10
; %bb.6:
	v_mov_b32_e32 v9, 14
	s_load_dwordx2 s[2:3], s[4:5], 0x48
	s_load_dwordx4 s[20:23], s[4:5], 0x38
	s_sub_u32 s4, s14, s10
	v_mul_lo_u16_sdwa v9, v13, v9 dst_sel:DWORD dst_unused:UNUSED_PAD src0_sel:WORD_1 src1_sel:DWORD
	s_subb_u32 s5, s15, 0
	v_mul_lo_u16_sdwa v9, v9, v14 dst_sel:DWORD dst_unused:UNUSED_PAD src0_sel:BYTE_1 src1_sel:DWORD
	v_sub_u16_sdwa v9, v13, v9 dst_sel:DWORD dst_unused:UNUSED_PAD src0_sel:WORD_1 src1_sel:DWORD
	s_sub_u32 s14, s16, s10
	v_and_b32_e32 v9, 0xff, v9
	s_subb_u32 s15, s17, 0
	v_cndmask_b32_e64 v13, v20, v9, s[0:1]
	s_mul_i32 s0, s15, 0xb48
	s_mul_hi_u32 s1, s14, 0xb48
	s_add_i32 s1, s1, s0
	s_mul_i32 s0, s14, 0xb48
	s_waitcnt lgkmcnt(0)
	s_add_u32 s0, s22, s0
	v_lshlrev_b32_e32 v9, 3, v0
	s_addc_u32 s1, s23, s1
	v_add_co_u32_e32 v14, vcc, s0, v9
	s_movk_i32 s0, 0xb6
	v_mov_b32_e32 v10, s1
	v_mul_u32_u24_sdwa v9, v0, s0 dst_sel:DWORD dst_unused:UNUSED_PAD src0_sel:WORD_0 src1_sel:DWORD
	v_addc_co_u32_e32 v15, vcc, 0, v10, vcc
	v_lshrrev_b32_e32 v21, 16, v9
	v_mov_b32_e32 v9, s17
	v_add_co_u32_e32 v10, vcc, s16, v21
	v_addc_co_u32_e32 v11, vcc, 0, v9, vcc
	v_subrev_co_u32_e32 v9, vcc, s10, v10
	v_subbrev_co_u32_e32 v10, vcc, 0, v11, vcc
	v_lshlrev_b64 v[9:10], 2, v[9:10]
	v_mov_b32_e32 v11, s21
	v_add_co_u32_e32 v16, vcc, s20, v9
	v_addc_co_u32_e32 v17, vcc, v11, v10, vcc
	v_mov_b32_e32 v11, 0
	v_mov_b32_e32 v12, 0
	s_mov_b32 s16, 0
	v_mov_b32_e32 v19, s5
	v_mov_b32_e32 v9, v11
	s_brev_b32 s17, 1
	v_mov_b32_e32 v18, s4
	v_mov_b32_e32 v10, v12
	s_branch .LBB450_8
.LBB450_7:                              ;   in Loop: Header=BB450_8 Depth=1
	s_or_b64 exec, exec, s[0:1]
	s_add_u32 s14, s14, 1
	s_addc_u32 s15, s15, 0
	v_cmp_lt_i64_e32 vcc, s[14:15], v[18:19]
	v_add_co_u32_e64 v16, s[0:1], 4, v16
	v_addc_co_u32_e64 v17, s[0:1], 0, v17, s[0:1]
	s_cbranch_vccz .LBB450_10
.LBB450_8:                              ; =>This Inner Loop Header: Depth=1
	v_mov_b32_e32 v23, s15
	v_add_co_u32_e32 v22, vcc, s14, v21
	v_addc_co_u32_e32 v23, vcc, 0, v23, vcc
	v_cmp_gt_i64_e32 vcc, s[4:5], v[22:23]
	s_and_saveexec_b64 s[0:1], vcc
	s_cbranch_execz .LBB450_7
; %bb.9:                                ;   in Loop: Header=BB450_8 Depth=1
	global_load_dword v22, v[16:17], off
	v_mov_b32_e32 v24, s3
	global_load_dwordx2 v[26:27], v[14:15], off
	s_waitcnt vmcnt(1)
	v_subrev_u32_e32 v22, s10, v22
	v_mad_u64_u32 v[22:23], s[18:19], v22, 19, v[13:14]
	v_ashrrev_i32_e32 v23, 31, v22
	v_lshlrev_b64 v[22:23], 4, v[22:23]
	v_add_co_u32_e32 v22, vcc, s2, v22
	v_addc_co_u32_e32 v23, vcc, v24, v23, vcc
	global_load_dwordx4 v[22:25], v[22:23], off
	v_add_co_u32_e32 v14, vcc, 0xb48, v14
	v_addc_co_u32_e32 v15, vcc, 0, v15, vcc
	s_waitcnt vmcnt(0)
	v_fma_f64 v[9:10], v[26:27], v[22:23], v[9:10]
	v_fma_f64 v[11:12], v[22:23], 0, v[11:12]
	;; [unrolled: 1-line block ×4, first 2 shown]
	s_branch .LBB450_7
.LBB450_10:
	v_lshlrev_b32_e32 v17, 4, v0
	s_and_b64 vcc, exec, s[12:13]
	ds_write_b128 v17, v[9:12]
	s_waitcnt lgkmcnt(0)
	s_barrier
	s_cbranch_vccz .LBB450_22
; %bb.11:
	v_cmp_gt_u16_e32 vcc, 3, v20
	s_and_saveexec_b64 s[0:1], vcc
	s_cbranch_execz .LBB450_13
; %bb.12:
	ds_read_b128 v[13:16], v17 offset:256
	ds_read_b128 v[21:24], v17
	s_waitcnt lgkmcnt(0)
	v_add_f64 v[13:14], v[13:14], v[21:22]
	v_add_f64 v[15:16], v[15:16], v[23:24]
	ds_write_b128 v17, v[13:16]
.LBB450_13:
	s_or_b64 exec, exec, s[0:1]
	v_cmp_gt_u16_e32 vcc, 8, v20
	s_waitcnt lgkmcnt(0)
	s_barrier
	s_and_saveexec_b64 s[0:1], vcc
	s_cbranch_execz .LBB450_15
; %bb.14:
	ds_read_b128 v[13:16], v17 offset:128
	ds_read_b128 v[21:24], v17
	s_waitcnt lgkmcnt(0)
	v_add_f64 v[13:14], v[13:14], v[21:22]
	v_add_f64 v[15:16], v[15:16], v[23:24]
	ds_write_b128 v17, v[13:16]
.LBB450_15:
	s_or_b64 exec, exec, s[0:1]
	v_cmp_gt_u16_e32 vcc, 4, v20
	s_waitcnt lgkmcnt(0)
	s_barrier
	;; [unrolled: 14-line block ×3, first 2 shown]
	s_and_saveexec_b64 s[0:1], vcc
	s_cbranch_execz .LBB450_19
; %bb.18:
	ds_read_b128 v[13:16], v17
	ds_read_b128 v[18:21], v17 offset:32
	s_waitcnt lgkmcnt(0)
	v_add_f64 v[13:14], v[18:19], v[13:14]
	v_add_f64 v[15:16], v[20:21], v[15:16]
	ds_write_b128 v17, v[13:16]
.LBB450_19:
	s_or_b64 exec, exec, s[0:1]
	v_mov_b32_e32 v16, v12
	v_mov_b32_e32 v14, v10
	v_cmp_gt_u32_e32 vcc, 19, v0
	v_mov_b32_e32 v15, v11
	v_mov_b32_e32 v13, v9
	s_waitcnt lgkmcnt(0)
	s_barrier
	s_and_saveexec_b64 s[0:1], vcc
	s_cbranch_execz .LBB450_21
; %bb.20:
	s_movk_i32 s2, 0x120
	v_mad_u32_u24 v18, v0, s2, v17
	ds_read_b128 v[13:16], v18
	ds_read_b128 v[18:21], v18 offset:16
	s_waitcnt lgkmcnt(0)
	v_add_f64 v[13:14], v[18:19], v[13:14]
	v_add_f64 v[15:16], v[20:21], v[15:16]
.LBB450_21:
	s_or_b64 exec, exec, s[0:1]
	s_branch .LBB450_34
.LBB450_22:
                                        ; implicit-def: $vgpr15_vgpr16
                                        ; implicit-def: $vgpr13_vgpr14
	s_cbranch_execz .LBB450_34
; %bb.23:
	v_cmp_gt_u32_e32 vcc, 57, v0
	s_and_saveexec_b64 s[0:1], vcc
	s_cbranch_execz .LBB450_25
; %bb.24:
	ds_read_b128 v[13:16], v17 offset:4864
	ds_read_b128 v[18:21], v17
	s_waitcnt lgkmcnt(0)
	v_add_f64 v[13:14], v[13:14], v[18:19]
	v_add_f64 v[15:16], v[15:16], v[20:21]
	ds_write_b128 v17, v[13:16]
.LBB450_25:
	s_or_b64 exec, exec, s[0:1]
	s_movk_i32 s0, 0x98
	v_cmp_gt_u32_e32 vcc, s0, v0
	s_waitcnt lgkmcnt(0)
	s_barrier
	s_and_saveexec_b64 s[0:1], vcc
	s_cbranch_execz .LBB450_27
; %bb.26:
	ds_read_b128 v[13:16], v17 offset:2432
	ds_read_b128 v[18:21], v17
	s_waitcnt lgkmcnt(0)
	v_add_f64 v[13:14], v[13:14], v[18:19]
	v_add_f64 v[15:16], v[15:16], v[20:21]
	ds_write_b128 v17, v[13:16]
.LBB450_27:
	s_or_b64 exec, exec, s[0:1]
	s_movk_i32 s0, 0x4c
	v_cmp_gt_u32_e32 vcc, s0, v0
	s_waitcnt lgkmcnt(0)
	s_barrier
	s_and_saveexec_b64 s[0:1], vcc
	s_cbranch_execz .LBB450_29
; %bb.28:
	ds_read_b128 v[13:16], v17 offset:1216
	ds_read_b128 v[18:21], v17
	s_waitcnt lgkmcnt(0)
	v_add_f64 v[13:14], v[13:14], v[18:19]
	v_add_f64 v[15:16], v[15:16], v[20:21]
	ds_write_b128 v17, v[13:16]
.LBB450_29:
	s_or_b64 exec, exec, s[0:1]
	v_cmp_gt_u32_e32 vcc, 38, v0
	s_waitcnt lgkmcnt(0)
	s_barrier
	s_and_saveexec_b64 s[0:1], vcc
	s_cbranch_execz .LBB450_31
; %bb.30:
	ds_read_b128 v[13:16], v17 offset:608
	ds_read_b128 v[18:21], v17
	s_waitcnt lgkmcnt(0)
	v_add_f64 v[13:14], v[13:14], v[18:19]
	v_add_f64 v[15:16], v[15:16], v[20:21]
	ds_write_b128 v17, v[13:16]
.LBB450_31:
	s_or_b64 exec, exec, s[0:1]
	v_cmp_gt_u32_e32 vcc, 19, v0
	s_waitcnt lgkmcnt(0)
	s_and_saveexec_b64 s[0:1], vcc
	s_cbranch_execz .LBB450_33
; %bb.32:
	ds_read_b128 v[9:12], v17 offset:304
	ds_read_b128 v[13:16], v17
	s_waitcnt lgkmcnt(0)
	v_add_f64 v[9:10], v[9:10], v[13:14]
	v_add_f64 v[11:12], v[11:12], v[15:16]
.LBB450_33:
	s_or_b64 exec, exec, s[0:1]
	v_mov_b32_e32 v16, v12
	v_mov_b32_e32 v14, v10
	;; [unrolled: 1-line block ×4, first 2 shown]
.LBB450_34:
	v_cmp_gt_u32_e32 vcc, 19, v0
	s_and_b64 exec, exec, vcc
	s_cbranch_execz .LBB450_39
; %bb.35:
	v_mul_f64 v[9:10], v[15:16], -v[7:8]
	v_mul_f64 v[11:12], v[5:6], v[15:16]
	v_cmp_eq_f64_e32 vcc, 0, v[1:2]
	v_cmp_eq_f64_e64 s[0:1], 0, v[3:4]
	v_fma_f64 v[5:6], v[5:6], v[13:14], v[9:10]
	v_fma_f64 v[7:8], v[7:8], v[13:14], v[11:12]
	s_and_b64 s[0:1], vcc, s[0:1]
	s_and_saveexec_b64 s[2:3], s[0:1]
	s_xor_b64 s[0:1], exec, s[2:3]
	s_cbranch_execz .LBB450_37
; %bb.36:
	v_mad_u64_u32 v[0:1], s[2:3], s6, 19, v[0:1]
	v_mov_b32_e32 v1, 0
	v_mov_b32_e32 v2, s9
	v_lshlrev_b64 v[0:1], 4, v[0:1]
	v_add_co_u32_e32 v0, vcc, s8, v0
	v_addc_co_u32_e32 v1, vcc, v2, v1, vcc
	global_store_dwordx4 v[0:1], v[5:8], off
                                        ; implicit-def: $vgpr0
                                        ; implicit-def: $vgpr1_vgpr2
                                        ; implicit-def: $vgpr5_vgpr6
.LBB450_37:
	s_andn2_saveexec_b64 s[0:1], s[0:1]
	s_cbranch_execz .LBB450_39
; %bb.38:
	v_mad_u64_u32 v[9:10], s[0:1], s6, 19, v[0:1]
	v_mov_b32_e32 v10, 0
	v_mov_b32_e32 v0, s9
	v_lshlrev_b64 v[9:10], 4, v[9:10]
	v_add_co_u32_e32 v13, vcc, s8, v9
	v_addc_co_u32_e32 v14, vcc, v0, v10, vcc
	global_load_dwordx4 v[9:12], v[13:14], off
	s_waitcnt vmcnt(0)
	v_fma_f64 v[5:6], v[1:2], v[9:10], v[5:6]
	v_fma_f64 v[7:8], v[3:4], v[9:10], v[7:8]
	v_fma_f64 v[3:4], -v[3:4], v[11:12], v[5:6]
	v_fma_f64 v[5:6], v[1:2], v[11:12], v[7:8]
	global_store_dwordx4 v[13:14], v[3:6], off
.LBB450_39:
	s_endpgm
	.section	.rodata,"a",@progbits
	.p2align	6, 0x0
	.amdhsa_kernel _ZN9rocsparseL20bsrxmvn_17_32_kernelILj19E21rocsparse_complex_numIdElidS2_S2_EEvT2_20rocsparse_direction_NS_24const_host_device_scalarIT0_EES3_PKS3_PKT1_SC_S9_PKT3_PKT4_S7_PT5_21rocsparse_index_base_b
		.amdhsa_group_segment_fixed_size 5776
		.amdhsa_private_segment_fixed_size 0
		.amdhsa_kernarg_size 112
		.amdhsa_user_sgpr_count 6
		.amdhsa_user_sgpr_private_segment_buffer 1
		.amdhsa_user_sgpr_dispatch_ptr 0
		.amdhsa_user_sgpr_queue_ptr 0
		.amdhsa_user_sgpr_kernarg_segment_ptr 1
		.amdhsa_user_sgpr_dispatch_id 0
		.amdhsa_user_sgpr_flat_scratch_init 0
		.amdhsa_user_sgpr_private_segment_size 0
		.amdhsa_uses_dynamic_stack 0
		.amdhsa_system_sgpr_private_segment_wavefront_offset 0
		.amdhsa_system_sgpr_workgroup_id_x 1
		.amdhsa_system_sgpr_workgroup_id_y 0
		.amdhsa_system_sgpr_workgroup_id_z 0
		.amdhsa_system_sgpr_workgroup_info 0
		.amdhsa_system_vgpr_workitem_id 0
		.amdhsa_next_free_vgpr 28
		.amdhsa_next_free_sgpr 61
		.amdhsa_reserve_vcc 1
		.amdhsa_reserve_flat_scratch 0
		.amdhsa_float_round_mode_32 0
		.amdhsa_float_round_mode_16_64 0
		.amdhsa_float_denorm_mode_32 3
		.amdhsa_float_denorm_mode_16_64 3
		.amdhsa_dx10_clamp 1
		.amdhsa_ieee_mode 1
		.amdhsa_fp16_overflow 0
		.amdhsa_exception_fp_ieee_invalid_op 0
		.amdhsa_exception_fp_denorm_src 0
		.amdhsa_exception_fp_ieee_div_zero 0
		.amdhsa_exception_fp_ieee_overflow 0
		.amdhsa_exception_fp_ieee_underflow 0
		.amdhsa_exception_fp_ieee_inexact 0
		.amdhsa_exception_int_div_zero 0
	.end_amdhsa_kernel
	.section	.text._ZN9rocsparseL20bsrxmvn_17_32_kernelILj19E21rocsparse_complex_numIdElidS2_S2_EEvT2_20rocsparse_direction_NS_24const_host_device_scalarIT0_EES3_PKS3_PKT1_SC_S9_PKT3_PKT4_S7_PT5_21rocsparse_index_base_b,"axG",@progbits,_ZN9rocsparseL20bsrxmvn_17_32_kernelILj19E21rocsparse_complex_numIdElidS2_S2_EEvT2_20rocsparse_direction_NS_24const_host_device_scalarIT0_EES3_PKS3_PKT1_SC_S9_PKT3_PKT4_S7_PT5_21rocsparse_index_base_b,comdat
.Lfunc_end450:
	.size	_ZN9rocsparseL20bsrxmvn_17_32_kernelILj19E21rocsparse_complex_numIdElidS2_S2_EEvT2_20rocsparse_direction_NS_24const_host_device_scalarIT0_EES3_PKS3_PKT1_SC_S9_PKT3_PKT4_S7_PT5_21rocsparse_index_base_b, .Lfunc_end450-_ZN9rocsparseL20bsrxmvn_17_32_kernelILj19E21rocsparse_complex_numIdElidS2_S2_EEvT2_20rocsparse_direction_NS_24const_host_device_scalarIT0_EES3_PKS3_PKT1_SC_S9_PKT3_PKT4_S7_PT5_21rocsparse_index_base_b
                                        ; -- End function
	.set _ZN9rocsparseL20bsrxmvn_17_32_kernelILj19E21rocsparse_complex_numIdElidS2_S2_EEvT2_20rocsparse_direction_NS_24const_host_device_scalarIT0_EES3_PKS3_PKT1_SC_S9_PKT3_PKT4_S7_PT5_21rocsparse_index_base_b.num_vgpr, 28
	.set _ZN9rocsparseL20bsrxmvn_17_32_kernelILj19E21rocsparse_complex_numIdElidS2_S2_EEvT2_20rocsparse_direction_NS_24const_host_device_scalarIT0_EES3_PKS3_PKT1_SC_S9_PKT3_PKT4_S7_PT5_21rocsparse_index_base_b.num_agpr, 0
	.set _ZN9rocsparseL20bsrxmvn_17_32_kernelILj19E21rocsparse_complex_numIdElidS2_S2_EEvT2_20rocsparse_direction_NS_24const_host_device_scalarIT0_EES3_PKS3_PKT1_SC_S9_PKT3_PKT4_S7_PT5_21rocsparse_index_base_b.numbered_sgpr, 24
	.set _ZN9rocsparseL20bsrxmvn_17_32_kernelILj19E21rocsparse_complex_numIdElidS2_S2_EEvT2_20rocsparse_direction_NS_24const_host_device_scalarIT0_EES3_PKS3_PKT1_SC_S9_PKT3_PKT4_S7_PT5_21rocsparse_index_base_b.num_named_barrier, 0
	.set _ZN9rocsparseL20bsrxmvn_17_32_kernelILj19E21rocsparse_complex_numIdElidS2_S2_EEvT2_20rocsparse_direction_NS_24const_host_device_scalarIT0_EES3_PKS3_PKT1_SC_S9_PKT3_PKT4_S7_PT5_21rocsparse_index_base_b.private_seg_size, 0
	.set _ZN9rocsparseL20bsrxmvn_17_32_kernelILj19E21rocsparse_complex_numIdElidS2_S2_EEvT2_20rocsparse_direction_NS_24const_host_device_scalarIT0_EES3_PKS3_PKT1_SC_S9_PKT3_PKT4_S7_PT5_21rocsparse_index_base_b.uses_vcc, 1
	.set _ZN9rocsparseL20bsrxmvn_17_32_kernelILj19E21rocsparse_complex_numIdElidS2_S2_EEvT2_20rocsparse_direction_NS_24const_host_device_scalarIT0_EES3_PKS3_PKT1_SC_S9_PKT3_PKT4_S7_PT5_21rocsparse_index_base_b.uses_flat_scratch, 0
	.set _ZN9rocsparseL20bsrxmvn_17_32_kernelILj19E21rocsparse_complex_numIdElidS2_S2_EEvT2_20rocsparse_direction_NS_24const_host_device_scalarIT0_EES3_PKS3_PKT1_SC_S9_PKT3_PKT4_S7_PT5_21rocsparse_index_base_b.has_dyn_sized_stack, 0
	.set _ZN9rocsparseL20bsrxmvn_17_32_kernelILj19E21rocsparse_complex_numIdElidS2_S2_EEvT2_20rocsparse_direction_NS_24const_host_device_scalarIT0_EES3_PKS3_PKT1_SC_S9_PKT3_PKT4_S7_PT5_21rocsparse_index_base_b.has_recursion, 0
	.set _ZN9rocsparseL20bsrxmvn_17_32_kernelILj19E21rocsparse_complex_numIdElidS2_S2_EEvT2_20rocsparse_direction_NS_24const_host_device_scalarIT0_EES3_PKS3_PKT1_SC_S9_PKT3_PKT4_S7_PT5_21rocsparse_index_base_b.has_indirect_call, 0
	.section	.AMDGPU.csdata,"",@progbits
; Kernel info:
; codeLenInByte = 1728
; TotalNumSgprs: 28
; NumVgprs: 28
; ScratchSize: 0
; MemoryBound: 0
; FloatMode: 240
; IeeeMode: 1
; LDSByteSize: 5776 bytes/workgroup (compile time only)
; SGPRBlocks: 8
; VGPRBlocks: 6
; NumSGPRsForWavesPerEU: 65
; NumVGPRsForWavesPerEU: 28
; Occupancy: 9
; WaveLimiterHint : 1
; COMPUTE_PGM_RSRC2:SCRATCH_EN: 0
; COMPUTE_PGM_RSRC2:USER_SGPR: 6
; COMPUTE_PGM_RSRC2:TRAP_HANDLER: 0
; COMPUTE_PGM_RSRC2:TGID_X_EN: 1
; COMPUTE_PGM_RSRC2:TGID_Y_EN: 0
; COMPUTE_PGM_RSRC2:TGID_Z_EN: 0
; COMPUTE_PGM_RSRC2:TIDIG_COMP_CNT: 0
	.section	.text._ZN9rocsparseL20bsrxmvn_17_32_kernelILj20E21rocsparse_complex_numIdElidS2_S2_EEvT2_20rocsparse_direction_NS_24const_host_device_scalarIT0_EES3_PKS3_PKT1_SC_S9_PKT3_PKT4_S7_PT5_21rocsparse_index_base_b,"axG",@progbits,_ZN9rocsparseL20bsrxmvn_17_32_kernelILj20E21rocsparse_complex_numIdElidS2_S2_EEvT2_20rocsparse_direction_NS_24const_host_device_scalarIT0_EES3_PKS3_PKT1_SC_S9_PKT3_PKT4_S7_PT5_21rocsparse_index_base_b,comdat
	.globl	_ZN9rocsparseL20bsrxmvn_17_32_kernelILj20E21rocsparse_complex_numIdElidS2_S2_EEvT2_20rocsparse_direction_NS_24const_host_device_scalarIT0_EES3_PKS3_PKT1_SC_S9_PKT3_PKT4_S7_PT5_21rocsparse_index_base_b ; -- Begin function _ZN9rocsparseL20bsrxmvn_17_32_kernelILj20E21rocsparse_complex_numIdElidS2_S2_EEvT2_20rocsparse_direction_NS_24const_host_device_scalarIT0_EES3_PKS3_PKT1_SC_S9_PKT3_PKT4_S7_PT5_21rocsparse_index_base_b
	.p2align	8
	.type	_ZN9rocsparseL20bsrxmvn_17_32_kernelILj20E21rocsparse_complex_numIdElidS2_S2_EEvT2_20rocsparse_direction_NS_24const_host_device_scalarIT0_EES3_PKS3_PKT1_SC_S9_PKT3_PKT4_S7_PT5_21rocsparse_index_base_b,@function
_ZN9rocsparseL20bsrxmvn_17_32_kernelILj20E21rocsparse_complex_numIdElidS2_S2_EEvT2_20rocsparse_direction_NS_24const_host_device_scalarIT0_EES3_PKS3_PKT1_SC_S9_PKT3_PKT4_S7_PT5_21rocsparse_index_base_b: ; @_ZN9rocsparseL20bsrxmvn_17_32_kernelILj20E21rocsparse_complex_numIdElidS2_S2_EEvT2_20rocsparse_direction_NS_24const_host_device_scalarIT0_EES3_PKS3_PKT1_SC_S9_PKT3_PKT4_S7_PT5_21rocsparse_index_base_b
; %bb.0:
	s_load_dwordx2 s[0:1], s[4:5], 0x8
	s_load_dwordx2 s[10:11], s[4:5], 0x68
	s_add_u32 s7, s4, 8
	s_addc_u32 s8, s5, 0
	s_add_u32 s9, s4, 0x50
	s_addc_u32 s12, s5, 0
	s_waitcnt lgkmcnt(0)
	s_bitcmp1_b32 s11, 0
	s_cselect_b32 s1, s8, s1
	s_cselect_b32 s0, s7, s0
	v_mov_b32_e32 v1, s0
	v_mov_b32_e32 v2, s1
	flat_load_dwordx4 v[5:8], v[1:2]
	s_load_dwordx2 s[2:3], s[4:5], 0x50
	s_waitcnt lgkmcnt(0)
	s_cselect_b32 s0, s12, s3
	s_cselect_b32 s1, s9, s2
	v_mov_b32_e32 v1, s1
	v_mov_b32_e32 v2, s0
	flat_load_dwordx4 v[1:4], v[1:2]
	s_waitcnt vmcnt(0)
	v_cmp_eq_f64_e32 vcc, 0, v[5:6]
	v_cmp_eq_f64_e64 s[0:1], 0, v[7:8]
	s_and_b64 s[8:9], vcc, s[0:1]
	s_mov_b64 s[0:1], -1
	s_and_saveexec_b64 s[2:3], s[8:9]
	s_cbranch_execz .LBB451_2
; %bb.1:
	s_waitcnt lgkmcnt(0)
	v_cmp_neq_f64_e32 vcc, 1.0, v[1:2]
	v_cmp_neq_f64_e64 s[0:1], 0, v[3:4]
	s_or_b64 s[0:1], vcc, s[0:1]
	s_orn2_b64 s[0:1], s[0:1], exec
.LBB451_2:
	s_or_b64 exec, exec, s[2:3]
	s_and_saveexec_b64 s[2:3], s[0:1]
	s_cbranch_execz .LBB451_39
; %bb.3:
	s_load_dwordx4 s[0:3], s[4:5], 0x20
	s_load_dwordx2 s[14:15], s[4:5], 0x30
	s_waitcnt lgkmcnt(0)
	s_cmp_eq_u64 s[0:1], 0
	s_cbranch_scc1 .LBB451_5
; %bb.4:
	s_ashr_i32 s7, s6, 31
	s_lshl_b64 s[6:7], s[6:7], 2
	s_add_u32 s0, s0, s6
	s_addc_u32 s1, s1, s7
	s_load_dword s0, s[0:1], 0x0
	s_waitcnt lgkmcnt(0)
	s_sub_i32 s6, s0, s10
.LBB451_5:
	s_load_dword s7, s[4:5], 0x4
	s_load_dwordx2 s[8:9], s[4:5], 0x60
	v_mul_u32_u24_e32 v13, 0xccd, v0
	v_mov_b32_e32 v14, 20
	v_mul_lo_u16_sdwa v9, v13, v14 dst_sel:DWORD dst_unused:UNUSED_PAD src0_sel:WORD_1 src1_sel:DWORD
	s_waitcnt lgkmcnt(0)
	s_cmp_eq_u32 s7, 1
	s_cselect_b64 s[0:1], -1, 0
	s_cmp_lg_u32 s7, 1
	s_cselect_b64 s[12:13], -1, 0
	s_ashr_i32 s7, s6, 31
	s_lshl_b64 s[16:17], s[6:7], 3
	s_add_u32 s2, s2, s16
	s_addc_u32 s3, s3, s17
	s_add_u32 s7, s2, 8
	s_addc_u32 s11, s3, 0
	;; [unrolled: 2-line block ×3, first 2 shown]
	s_cmp_eq_u64 s[14:15], 0
	s_cselect_b32 s19, s11, s17
	s_cselect_b32 s18, s7, s16
	s_load_dwordx2 s[14:15], s[18:19], 0x0
	s_load_dwordx2 s[16:17], s[2:3], 0x0
	v_sub_u16_e32 v20, v0, v9
	v_mov_b32_e32 v11, 0
	v_mov_b32_e32 v12, 0
	s_waitcnt lgkmcnt(0)
	v_mov_b32_e32 v9, s14
	v_mov_b32_e32 v10, s15
	v_cmp_ge_i64_e32 vcc, s[16:17], v[9:10]
	v_mov_b32_e32 v9, 0
	v_mov_b32_e32 v10, 0
	s_cbranch_vccnz .LBB451_10
; %bb.6:
	v_mov_b32_e32 v9, 13
	s_load_dwordx2 s[2:3], s[4:5], 0x48
	s_load_dwordx4 s[20:23], s[4:5], 0x38
	s_sub_u32 s4, s14, s10
	v_mul_lo_u16_sdwa v9, v13, v9 dst_sel:DWORD dst_unused:UNUSED_PAD src0_sel:WORD_1 src1_sel:DWORD
	s_subb_u32 s5, s15, 0
	v_mul_lo_u16_sdwa v9, v9, v14 dst_sel:DWORD dst_unused:UNUSED_PAD src0_sel:BYTE_1 src1_sel:DWORD
	v_sub_u16_sdwa v9, v13, v9 dst_sel:DWORD dst_unused:UNUSED_PAD src0_sel:WORD_1 src1_sel:DWORD
	s_sub_u32 s14, s16, s10
	v_and_b32_e32 v9, 0xff, v9
	s_subb_u32 s15, s17, 0
	v_cndmask_b32_e64 v13, v20, v9, s[0:1]
	s_mul_i32 s0, s15, 0xc80
	s_mul_hi_u32 s1, s14, 0xc80
	s_add_i32 s1, s1, s0
	s_mul_i32 s0, s14, 0xc80
	s_waitcnt lgkmcnt(0)
	s_add_u32 s0, s22, s0
	v_lshlrev_b32_e32 v9, 3, v0
	s_addc_u32 s1, s23, s1
	v_add_co_u32_e32 v14, vcc, s0, v9
	s_movk_i32 s0, 0xa4
	v_mov_b32_e32 v10, s1
	v_mul_u32_u24_sdwa v9, v0, s0 dst_sel:DWORD dst_unused:UNUSED_PAD src0_sel:WORD_0 src1_sel:DWORD
	v_addc_co_u32_e32 v15, vcc, 0, v10, vcc
	v_lshrrev_b32_e32 v21, 16, v9
	v_mov_b32_e32 v9, s17
	v_add_co_u32_e32 v10, vcc, s16, v21
	v_addc_co_u32_e32 v11, vcc, 0, v9, vcc
	v_subrev_co_u32_e32 v9, vcc, s10, v10
	v_subbrev_co_u32_e32 v10, vcc, 0, v11, vcc
	v_lshlrev_b64 v[9:10], 2, v[9:10]
	v_mov_b32_e32 v11, s21
	v_add_co_u32_e32 v16, vcc, s20, v9
	v_addc_co_u32_e32 v17, vcc, v11, v10, vcc
	v_mov_b32_e32 v11, 0
	v_mov_b32_e32 v12, 0
	s_mov_b32 s16, 0
	v_mov_b32_e32 v19, s5
	v_mov_b32_e32 v9, v11
	s_brev_b32 s17, 1
	v_mov_b32_e32 v18, s4
	v_mov_b32_e32 v10, v12
	s_branch .LBB451_8
.LBB451_7:                              ;   in Loop: Header=BB451_8 Depth=1
	s_or_b64 exec, exec, s[0:1]
	s_add_u32 s14, s14, 1
	s_addc_u32 s15, s15, 0
	v_cmp_lt_i64_e32 vcc, s[14:15], v[18:19]
	v_add_co_u32_e64 v16, s[0:1], 4, v16
	v_addc_co_u32_e64 v17, s[0:1], 0, v17, s[0:1]
	s_cbranch_vccz .LBB451_10
.LBB451_8:                              ; =>This Inner Loop Header: Depth=1
	v_mov_b32_e32 v23, s15
	v_add_co_u32_e32 v22, vcc, s14, v21
	v_addc_co_u32_e32 v23, vcc, 0, v23, vcc
	v_cmp_gt_i64_e32 vcc, s[4:5], v[22:23]
	s_and_saveexec_b64 s[0:1], vcc
	s_cbranch_execz .LBB451_7
; %bb.9:                                ;   in Loop: Header=BB451_8 Depth=1
	global_load_dword v22, v[16:17], off
	v_mov_b32_e32 v24, s3
	global_load_dwordx2 v[26:27], v[14:15], off
	s_waitcnt vmcnt(1)
	v_subrev_u32_e32 v22, s10, v22
	v_mad_u64_u32 v[22:23], s[18:19], v22, 20, v[13:14]
	v_ashrrev_i32_e32 v23, 31, v22
	v_lshlrev_b64 v[22:23], 4, v[22:23]
	v_add_co_u32_e32 v22, vcc, s2, v22
	v_addc_co_u32_e32 v23, vcc, v24, v23, vcc
	global_load_dwordx4 v[22:25], v[22:23], off
	v_add_co_u32_e32 v14, vcc, 0xc80, v14
	v_addc_co_u32_e32 v15, vcc, 0, v15, vcc
	s_waitcnt vmcnt(0)
	v_fma_f64 v[9:10], v[26:27], v[22:23], v[9:10]
	v_fma_f64 v[11:12], v[22:23], 0, v[11:12]
	;; [unrolled: 1-line block ×4, first 2 shown]
	s_branch .LBB451_7
.LBB451_10:
	v_lshlrev_b32_e32 v17, 4, v0
	s_and_b64 vcc, exec, s[12:13]
	ds_write_b128 v17, v[9:12]
	s_waitcnt lgkmcnt(0)
	s_barrier
	s_cbranch_vccz .LBB451_22
; %bb.11:
	v_cmp_gt_u16_e32 vcc, 4, v20
	s_and_saveexec_b64 s[0:1], vcc
	s_cbranch_execz .LBB451_13
; %bb.12:
	ds_read_b128 v[13:16], v17 offset:256
	ds_read_b128 v[21:24], v17
	s_waitcnt lgkmcnt(0)
	v_add_f64 v[13:14], v[13:14], v[21:22]
	v_add_f64 v[15:16], v[15:16], v[23:24]
	ds_write_b128 v17, v[13:16]
.LBB451_13:
	s_or_b64 exec, exec, s[0:1]
	v_cmp_gt_u16_e64 s[0:1], 8, v20
	s_waitcnt lgkmcnt(0)
	s_barrier
	s_and_saveexec_b64 s[2:3], s[0:1]
	s_cbranch_execz .LBB451_15
; %bb.14:
	ds_read_b128 v[13:16], v17 offset:128
	ds_read_b128 v[21:24], v17
	s_waitcnt lgkmcnt(0)
	v_add_f64 v[13:14], v[13:14], v[21:22]
	v_add_f64 v[15:16], v[15:16], v[23:24]
	ds_write_b128 v17, v[13:16]
.LBB451_15:
	s_or_b64 exec, exec, s[2:3]
	s_waitcnt lgkmcnt(0)
	s_barrier
	s_and_saveexec_b64 s[0:1], vcc
	s_cbranch_execz .LBB451_17
; %bb.16:
	ds_read_b128 v[13:16], v17 offset:64
	ds_read_b128 v[21:24], v17
	s_waitcnt lgkmcnt(0)
	v_add_f64 v[13:14], v[13:14], v[21:22]
	v_add_f64 v[15:16], v[15:16], v[23:24]
	ds_write_b128 v17, v[13:16]
.LBB451_17:
	s_or_b64 exec, exec, s[0:1]
	v_cmp_gt_u16_e32 vcc, 2, v20
	s_waitcnt lgkmcnt(0)
	s_barrier
	s_and_saveexec_b64 s[0:1], vcc
	s_cbranch_execz .LBB451_19
; %bb.18:
	ds_read_b128 v[13:16], v17
	ds_read_b128 v[18:21], v17 offset:32
	s_waitcnt lgkmcnt(0)
	v_add_f64 v[13:14], v[18:19], v[13:14]
	v_add_f64 v[15:16], v[20:21], v[15:16]
	ds_write_b128 v17, v[13:16]
.LBB451_19:
	s_or_b64 exec, exec, s[0:1]
	v_mov_b32_e32 v16, v12
	v_mov_b32_e32 v14, v10
	v_cmp_gt_u32_e32 vcc, 20, v0
	v_mov_b32_e32 v15, v11
	v_mov_b32_e32 v13, v9
	s_waitcnt lgkmcnt(0)
	s_barrier
	s_and_saveexec_b64 s[0:1], vcc
	s_cbranch_execz .LBB451_21
; %bb.20:
	s_movk_i32 s2, 0x130
	v_mad_u32_u24 v18, v0, s2, v17
	ds_read_b128 v[13:16], v18
	ds_read_b128 v[18:21], v18 offset:16
	s_waitcnt lgkmcnt(0)
	v_add_f64 v[13:14], v[18:19], v[13:14]
	v_add_f64 v[15:16], v[20:21], v[15:16]
.LBB451_21:
	s_or_b64 exec, exec, s[0:1]
	s_branch .LBB451_34
.LBB451_22:
                                        ; implicit-def: $vgpr15_vgpr16
                                        ; implicit-def: $vgpr13_vgpr14
	s_cbranch_execz .LBB451_34
; %bb.23:
	s_movk_i32 s0, 0x50
	v_cmp_gt_u32_e32 vcc, s0, v0
	s_and_saveexec_b64 s[0:1], vcc
	s_cbranch_execz .LBB451_25
; %bb.24:
	ds_read_b128 v[13:16], v17 offset:5120
	ds_read_b128 v[18:21], v17
	s_waitcnt lgkmcnt(0)
	v_add_f64 v[13:14], v[13:14], v[18:19]
	v_add_f64 v[15:16], v[15:16], v[20:21]
	ds_write_b128 v17, v[13:16]
.LBB451_25:
	s_or_b64 exec, exec, s[0:1]
	s_movk_i32 s0, 0xa0
	v_cmp_gt_u32_e64 s[0:1], s0, v0
	s_waitcnt lgkmcnt(0)
	s_barrier
	s_and_saveexec_b64 s[2:3], s[0:1]
	s_cbranch_execz .LBB451_27
; %bb.26:
	ds_read_b128 v[13:16], v17 offset:2560
	ds_read_b128 v[18:21], v17
	s_waitcnt lgkmcnt(0)
	v_add_f64 v[13:14], v[13:14], v[18:19]
	v_add_f64 v[15:16], v[15:16], v[20:21]
	ds_write_b128 v17, v[13:16]
.LBB451_27:
	s_or_b64 exec, exec, s[2:3]
	s_waitcnt lgkmcnt(0)
	s_barrier
	s_and_saveexec_b64 s[0:1], vcc
	s_cbranch_execz .LBB451_29
; %bb.28:
	ds_read_b128 v[13:16], v17 offset:1280
	ds_read_b128 v[18:21], v17
	s_waitcnt lgkmcnt(0)
	v_add_f64 v[13:14], v[13:14], v[18:19]
	v_add_f64 v[15:16], v[15:16], v[20:21]
	ds_write_b128 v17, v[13:16]
.LBB451_29:
	s_or_b64 exec, exec, s[0:1]
	v_cmp_gt_u32_e32 vcc, 40, v0
	s_waitcnt lgkmcnt(0)
	s_barrier
	s_and_saveexec_b64 s[0:1], vcc
	s_cbranch_execz .LBB451_31
; %bb.30:
	ds_read_b128 v[13:16], v17 offset:640
	ds_read_b128 v[18:21], v17
	s_waitcnt lgkmcnt(0)
	v_add_f64 v[13:14], v[13:14], v[18:19]
	v_add_f64 v[15:16], v[15:16], v[20:21]
	ds_write_b128 v17, v[13:16]
.LBB451_31:
	s_or_b64 exec, exec, s[0:1]
	v_cmp_gt_u32_e32 vcc, 20, v0
	s_waitcnt lgkmcnt(0)
	s_and_saveexec_b64 s[0:1], vcc
	s_cbranch_execz .LBB451_33
; %bb.32:
	ds_read_b128 v[9:12], v17 offset:320
	ds_read_b128 v[13:16], v17
	s_waitcnt lgkmcnt(0)
	v_add_f64 v[9:10], v[9:10], v[13:14]
	v_add_f64 v[11:12], v[11:12], v[15:16]
.LBB451_33:
	s_or_b64 exec, exec, s[0:1]
	v_mov_b32_e32 v16, v12
	v_mov_b32_e32 v14, v10
	;; [unrolled: 1-line block ×4, first 2 shown]
.LBB451_34:
	v_cmp_gt_u32_e32 vcc, 20, v0
	s_and_b64 exec, exec, vcc
	s_cbranch_execz .LBB451_39
; %bb.35:
	v_mul_f64 v[9:10], v[15:16], -v[7:8]
	v_mul_f64 v[11:12], v[5:6], v[15:16]
	v_cmp_eq_f64_e32 vcc, 0, v[1:2]
	v_cmp_eq_f64_e64 s[0:1], 0, v[3:4]
	v_fma_f64 v[5:6], v[5:6], v[13:14], v[9:10]
	v_fma_f64 v[7:8], v[7:8], v[13:14], v[11:12]
	s_and_b64 s[0:1], vcc, s[0:1]
	s_and_saveexec_b64 s[2:3], s[0:1]
	s_xor_b64 s[0:1], exec, s[2:3]
	s_cbranch_execz .LBB451_37
; %bb.36:
	v_mad_u64_u32 v[0:1], s[2:3], s6, 20, v[0:1]
	v_mov_b32_e32 v1, 0
	v_mov_b32_e32 v2, s9
	v_lshlrev_b64 v[0:1], 4, v[0:1]
	v_add_co_u32_e32 v0, vcc, s8, v0
	v_addc_co_u32_e32 v1, vcc, v2, v1, vcc
	global_store_dwordx4 v[0:1], v[5:8], off
                                        ; implicit-def: $vgpr0
                                        ; implicit-def: $vgpr1_vgpr2
                                        ; implicit-def: $vgpr5_vgpr6
.LBB451_37:
	s_andn2_saveexec_b64 s[0:1], s[0:1]
	s_cbranch_execz .LBB451_39
; %bb.38:
	v_mad_u64_u32 v[9:10], s[0:1], s6, 20, v[0:1]
	v_mov_b32_e32 v10, 0
	v_mov_b32_e32 v0, s9
	v_lshlrev_b64 v[9:10], 4, v[9:10]
	v_add_co_u32_e32 v13, vcc, s8, v9
	v_addc_co_u32_e32 v14, vcc, v0, v10, vcc
	global_load_dwordx4 v[9:12], v[13:14], off
	s_waitcnt vmcnt(0)
	v_fma_f64 v[5:6], v[1:2], v[9:10], v[5:6]
	v_fma_f64 v[7:8], v[3:4], v[9:10], v[7:8]
	v_fma_f64 v[3:4], -v[3:4], v[11:12], v[5:6]
	v_fma_f64 v[5:6], v[1:2], v[11:12], v[7:8]
	global_store_dwordx4 v[13:14], v[3:6], off
.LBB451_39:
	s_endpgm
	.section	.rodata,"a",@progbits
	.p2align	6, 0x0
	.amdhsa_kernel _ZN9rocsparseL20bsrxmvn_17_32_kernelILj20E21rocsparse_complex_numIdElidS2_S2_EEvT2_20rocsparse_direction_NS_24const_host_device_scalarIT0_EES3_PKS3_PKT1_SC_S9_PKT3_PKT4_S7_PT5_21rocsparse_index_base_b
		.amdhsa_group_segment_fixed_size 6400
		.amdhsa_private_segment_fixed_size 0
		.amdhsa_kernarg_size 112
		.amdhsa_user_sgpr_count 6
		.amdhsa_user_sgpr_private_segment_buffer 1
		.amdhsa_user_sgpr_dispatch_ptr 0
		.amdhsa_user_sgpr_queue_ptr 0
		.amdhsa_user_sgpr_kernarg_segment_ptr 1
		.amdhsa_user_sgpr_dispatch_id 0
		.amdhsa_user_sgpr_flat_scratch_init 0
		.amdhsa_user_sgpr_private_segment_size 0
		.amdhsa_uses_dynamic_stack 0
		.amdhsa_system_sgpr_private_segment_wavefront_offset 0
		.amdhsa_system_sgpr_workgroup_id_x 1
		.amdhsa_system_sgpr_workgroup_id_y 0
		.amdhsa_system_sgpr_workgroup_id_z 0
		.amdhsa_system_sgpr_workgroup_info 0
		.amdhsa_system_vgpr_workitem_id 0
		.amdhsa_next_free_vgpr 28
		.amdhsa_next_free_sgpr 61
		.amdhsa_reserve_vcc 1
		.amdhsa_reserve_flat_scratch 0
		.amdhsa_float_round_mode_32 0
		.amdhsa_float_round_mode_16_64 0
		.amdhsa_float_denorm_mode_32 3
		.amdhsa_float_denorm_mode_16_64 3
		.amdhsa_dx10_clamp 1
		.amdhsa_ieee_mode 1
		.amdhsa_fp16_overflow 0
		.amdhsa_exception_fp_ieee_invalid_op 0
		.amdhsa_exception_fp_denorm_src 0
		.amdhsa_exception_fp_ieee_div_zero 0
		.amdhsa_exception_fp_ieee_overflow 0
		.amdhsa_exception_fp_ieee_underflow 0
		.amdhsa_exception_fp_ieee_inexact 0
		.amdhsa_exception_int_div_zero 0
	.end_amdhsa_kernel
	.section	.text._ZN9rocsparseL20bsrxmvn_17_32_kernelILj20E21rocsparse_complex_numIdElidS2_S2_EEvT2_20rocsparse_direction_NS_24const_host_device_scalarIT0_EES3_PKS3_PKT1_SC_S9_PKT3_PKT4_S7_PT5_21rocsparse_index_base_b,"axG",@progbits,_ZN9rocsparseL20bsrxmvn_17_32_kernelILj20E21rocsparse_complex_numIdElidS2_S2_EEvT2_20rocsparse_direction_NS_24const_host_device_scalarIT0_EES3_PKS3_PKT1_SC_S9_PKT3_PKT4_S7_PT5_21rocsparse_index_base_b,comdat
.Lfunc_end451:
	.size	_ZN9rocsparseL20bsrxmvn_17_32_kernelILj20E21rocsparse_complex_numIdElidS2_S2_EEvT2_20rocsparse_direction_NS_24const_host_device_scalarIT0_EES3_PKS3_PKT1_SC_S9_PKT3_PKT4_S7_PT5_21rocsparse_index_base_b, .Lfunc_end451-_ZN9rocsparseL20bsrxmvn_17_32_kernelILj20E21rocsparse_complex_numIdElidS2_S2_EEvT2_20rocsparse_direction_NS_24const_host_device_scalarIT0_EES3_PKS3_PKT1_SC_S9_PKT3_PKT4_S7_PT5_21rocsparse_index_base_b
                                        ; -- End function
	.set _ZN9rocsparseL20bsrxmvn_17_32_kernelILj20E21rocsparse_complex_numIdElidS2_S2_EEvT2_20rocsparse_direction_NS_24const_host_device_scalarIT0_EES3_PKS3_PKT1_SC_S9_PKT3_PKT4_S7_PT5_21rocsparse_index_base_b.num_vgpr, 28
	.set _ZN9rocsparseL20bsrxmvn_17_32_kernelILj20E21rocsparse_complex_numIdElidS2_S2_EEvT2_20rocsparse_direction_NS_24const_host_device_scalarIT0_EES3_PKS3_PKT1_SC_S9_PKT3_PKT4_S7_PT5_21rocsparse_index_base_b.num_agpr, 0
	.set _ZN9rocsparseL20bsrxmvn_17_32_kernelILj20E21rocsparse_complex_numIdElidS2_S2_EEvT2_20rocsparse_direction_NS_24const_host_device_scalarIT0_EES3_PKS3_PKT1_SC_S9_PKT3_PKT4_S7_PT5_21rocsparse_index_base_b.numbered_sgpr, 24
	.set _ZN9rocsparseL20bsrxmvn_17_32_kernelILj20E21rocsparse_complex_numIdElidS2_S2_EEvT2_20rocsparse_direction_NS_24const_host_device_scalarIT0_EES3_PKS3_PKT1_SC_S9_PKT3_PKT4_S7_PT5_21rocsparse_index_base_b.num_named_barrier, 0
	.set _ZN9rocsparseL20bsrxmvn_17_32_kernelILj20E21rocsparse_complex_numIdElidS2_S2_EEvT2_20rocsparse_direction_NS_24const_host_device_scalarIT0_EES3_PKS3_PKT1_SC_S9_PKT3_PKT4_S7_PT5_21rocsparse_index_base_b.private_seg_size, 0
	.set _ZN9rocsparseL20bsrxmvn_17_32_kernelILj20E21rocsparse_complex_numIdElidS2_S2_EEvT2_20rocsparse_direction_NS_24const_host_device_scalarIT0_EES3_PKS3_PKT1_SC_S9_PKT3_PKT4_S7_PT5_21rocsparse_index_base_b.uses_vcc, 1
	.set _ZN9rocsparseL20bsrxmvn_17_32_kernelILj20E21rocsparse_complex_numIdElidS2_S2_EEvT2_20rocsparse_direction_NS_24const_host_device_scalarIT0_EES3_PKS3_PKT1_SC_S9_PKT3_PKT4_S7_PT5_21rocsparse_index_base_b.uses_flat_scratch, 0
	.set _ZN9rocsparseL20bsrxmvn_17_32_kernelILj20E21rocsparse_complex_numIdElidS2_S2_EEvT2_20rocsparse_direction_NS_24const_host_device_scalarIT0_EES3_PKS3_PKT1_SC_S9_PKT3_PKT4_S7_PT5_21rocsparse_index_base_b.has_dyn_sized_stack, 0
	.set _ZN9rocsparseL20bsrxmvn_17_32_kernelILj20E21rocsparse_complex_numIdElidS2_S2_EEvT2_20rocsparse_direction_NS_24const_host_device_scalarIT0_EES3_PKS3_PKT1_SC_S9_PKT3_PKT4_S7_PT5_21rocsparse_index_base_b.has_recursion, 0
	.set _ZN9rocsparseL20bsrxmvn_17_32_kernelILj20E21rocsparse_complex_numIdElidS2_S2_EEvT2_20rocsparse_direction_NS_24const_host_device_scalarIT0_EES3_PKS3_PKT1_SC_S9_PKT3_PKT4_S7_PT5_21rocsparse_index_base_b.has_indirect_call, 0
	.section	.AMDGPU.csdata,"",@progbits
; Kernel info:
; codeLenInByte = 1728
; TotalNumSgprs: 28
; NumVgprs: 28
; ScratchSize: 0
; MemoryBound: 0
; FloatMode: 240
; IeeeMode: 1
; LDSByteSize: 6400 bytes/workgroup (compile time only)
; SGPRBlocks: 8
; VGPRBlocks: 6
; NumSGPRsForWavesPerEU: 65
; NumVGPRsForWavesPerEU: 28
; Occupancy: 9
; WaveLimiterHint : 1
; COMPUTE_PGM_RSRC2:SCRATCH_EN: 0
; COMPUTE_PGM_RSRC2:USER_SGPR: 6
; COMPUTE_PGM_RSRC2:TRAP_HANDLER: 0
; COMPUTE_PGM_RSRC2:TGID_X_EN: 1
; COMPUTE_PGM_RSRC2:TGID_Y_EN: 0
; COMPUTE_PGM_RSRC2:TGID_Z_EN: 0
; COMPUTE_PGM_RSRC2:TIDIG_COMP_CNT: 0
	.section	.text._ZN9rocsparseL20bsrxmvn_17_32_kernelILj21E21rocsparse_complex_numIdElidS2_S2_EEvT2_20rocsparse_direction_NS_24const_host_device_scalarIT0_EES3_PKS3_PKT1_SC_S9_PKT3_PKT4_S7_PT5_21rocsparse_index_base_b,"axG",@progbits,_ZN9rocsparseL20bsrxmvn_17_32_kernelILj21E21rocsparse_complex_numIdElidS2_S2_EEvT2_20rocsparse_direction_NS_24const_host_device_scalarIT0_EES3_PKS3_PKT1_SC_S9_PKT3_PKT4_S7_PT5_21rocsparse_index_base_b,comdat
	.globl	_ZN9rocsparseL20bsrxmvn_17_32_kernelILj21E21rocsparse_complex_numIdElidS2_S2_EEvT2_20rocsparse_direction_NS_24const_host_device_scalarIT0_EES3_PKS3_PKT1_SC_S9_PKT3_PKT4_S7_PT5_21rocsparse_index_base_b ; -- Begin function _ZN9rocsparseL20bsrxmvn_17_32_kernelILj21E21rocsparse_complex_numIdElidS2_S2_EEvT2_20rocsparse_direction_NS_24const_host_device_scalarIT0_EES3_PKS3_PKT1_SC_S9_PKT3_PKT4_S7_PT5_21rocsparse_index_base_b
	.p2align	8
	.type	_ZN9rocsparseL20bsrxmvn_17_32_kernelILj21E21rocsparse_complex_numIdElidS2_S2_EEvT2_20rocsparse_direction_NS_24const_host_device_scalarIT0_EES3_PKS3_PKT1_SC_S9_PKT3_PKT4_S7_PT5_21rocsparse_index_base_b,@function
_ZN9rocsparseL20bsrxmvn_17_32_kernelILj21E21rocsparse_complex_numIdElidS2_S2_EEvT2_20rocsparse_direction_NS_24const_host_device_scalarIT0_EES3_PKS3_PKT1_SC_S9_PKT3_PKT4_S7_PT5_21rocsparse_index_base_b: ; @_ZN9rocsparseL20bsrxmvn_17_32_kernelILj21E21rocsparse_complex_numIdElidS2_S2_EEvT2_20rocsparse_direction_NS_24const_host_device_scalarIT0_EES3_PKS3_PKT1_SC_S9_PKT3_PKT4_S7_PT5_21rocsparse_index_base_b
; %bb.0:
	s_load_dwordx2 s[0:1], s[4:5], 0x8
	s_load_dwordx2 s[14:15], s[4:5], 0x68
	s_add_u32 s7, s4, 8
	s_addc_u32 s8, s5, 0
	s_add_u32 s9, s4, 0x50
	s_addc_u32 s10, s5, 0
	s_waitcnt lgkmcnt(0)
	s_bitcmp1_b32 s15, 0
	s_cselect_b32 s1, s8, s1
	s_cselect_b32 s0, s7, s0
	v_mov_b32_e32 v1, s0
	v_mov_b32_e32 v2, s1
	flat_load_dwordx4 v[5:8], v[1:2]
	s_load_dwordx2 s[2:3], s[4:5], 0x50
	s_waitcnt lgkmcnt(0)
	s_cselect_b32 s0, s10, s3
	s_cselect_b32 s1, s9, s2
	v_mov_b32_e32 v1, s1
	v_mov_b32_e32 v2, s0
	flat_load_dwordx4 v[1:4], v[1:2]
	s_waitcnt vmcnt(0)
	v_cmp_eq_f64_e32 vcc, 0, v[5:6]
	v_cmp_eq_f64_e64 s[0:1], 0, v[7:8]
	s_and_b64 s[8:9], vcc, s[0:1]
	s_mov_b64 s[0:1], -1
	s_and_saveexec_b64 s[2:3], s[8:9]
	s_cbranch_execz .LBB452_2
; %bb.1:
	s_waitcnt lgkmcnt(0)
	v_cmp_neq_f64_e32 vcc, 1.0, v[1:2]
	v_cmp_neq_f64_e64 s[0:1], 0, v[3:4]
	s_or_b64 s[0:1], vcc, s[0:1]
	s_orn2_b64 s[0:1], s[0:1], exec
.LBB452_2:
	s_or_b64 exec, exec, s[2:3]
	s_and_saveexec_b64 s[2:3], s[0:1]
	s_cbranch_execz .LBB452_39
; %bb.3:
	s_load_dwordx4 s[0:3], s[4:5], 0x20
	s_load_dwordx2 s[8:9], s[4:5], 0x30
	s_waitcnt lgkmcnt(0)
	s_cmp_eq_u64 s[0:1], 0
	s_cbranch_scc1 .LBB452_5
; %bb.4:
	s_ashr_i32 s7, s6, 31
	s_lshl_b64 s[6:7], s[6:7], 2
	s_add_u32 s0, s0, s6
	s_addc_u32 s1, s1, s7
	s_load_dword s0, s[0:1], 0x0
	s_waitcnt lgkmcnt(0)
	s_sub_i32 s6, s0, s14
.LBB452_5:
	s_load_dword s7, s[4:5], 0x4
	s_load_dwordx2 s[12:13], s[4:5], 0x60
	v_mul_u32_u24_e32 v13, 0xc31, v0
	v_mov_b32_e32 v9, 21
	v_mul_lo_u16_sdwa v9, v13, v9 dst_sel:DWORD dst_unused:UNUSED_PAD src0_sel:WORD_1 src1_sel:DWORD
	s_waitcnt lgkmcnt(0)
	s_cmp_eq_u32 s7, 1
	s_cselect_b64 s[0:1], -1, 0
	s_cmp_lg_u32 s7, 1
	s_cselect_b64 s[16:17], -1, 0
	s_ashr_i32 s7, s6, 31
	s_lshl_b64 s[10:11], s[6:7], 3
	s_add_u32 s2, s2, s10
	s_addc_u32 s3, s3, s11
	s_add_u32 s7, s2, 8
	s_addc_u32 s15, s3, 0
	;; [unrolled: 2-line block ×3, first 2 shown]
	s_cmp_eq_u64 s[8:9], 0
	s_cselect_b32 s9, s15, s11
	s_cselect_b32 s8, s7, s10
	s_load_dwordx2 s[18:19], s[8:9], 0x0
	s_load_dwordx2 s[20:21], s[2:3], 0x0
	v_sub_u16_e32 v20, v0, v9
	v_mov_b32_e32 v11, 0
	v_mov_b32_e32 v12, 0
	s_waitcnt lgkmcnt(0)
	v_mov_b32_e32 v9, s18
	v_mov_b32_e32 v10, s19
	v_cmp_ge_i64_e32 vcc, s[20:21], v[9:10]
	v_mov_b32_e32 v9, 0
	v_mov_b32_e32 v10, 0
	s_cbranch_vccnz .LBB452_10
; %bb.6:
	v_mov_b32_e32 v9, 25
	v_mul_lo_u16_sdwa v9, v13, v9 dst_sel:DWORD dst_unused:UNUSED_PAD src0_sel:WORD_1 src1_sel:DWORD
	s_load_dwordx2 s[2:3], s[4:5], 0x48
	s_load_dwordx4 s[8:11], s[4:5], 0x38
	s_sub_u32 s4, s18, s14
	v_lshrrev_b16_e32 v9, 9, v9
	s_subb_u32 s5, s19, 0
	v_mul_lo_u16_e32 v9, 21, v9
	v_sub_u16_sdwa v9, v13, v9 dst_sel:DWORD dst_unused:UNUSED_PAD src0_sel:WORD_1 src1_sel:DWORD
	s_sub_u32 s18, s20, s14
	v_and_b32_e32 v9, 0xff, v9
	s_subb_u32 s19, s21, 0
	v_cndmask_b32_e64 v13, v20, v9, s[0:1]
	s_mul_i32 s0, s19, 0xdc8
	s_mul_hi_u32 s1, s18, 0xdc8
	s_add_i32 s1, s1, s0
	s_mul_i32 s0, s18, 0xdc8
	s_waitcnt lgkmcnt(0)
	s_add_u32 s0, s10, s0
	v_lshlrev_b32_e32 v9, 3, v0
	s_addc_u32 s1, s11, s1
	v_add_co_u32_e32 v14, vcc, s0, v9
	s_movk_i32 s0, 0x253
	v_mov_b32_e32 v10, s1
	v_mul_u32_u24_sdwa v9, v0, s0 dst_sel:DWORD dst_unused:UNUSED_PAD src0_sel:WORD_0 src1_sel:DWORD
	v_addc_co_u32_e32 v15, vcc, 0, v10, vcc
	v_lshrrev_b32_e32 v21, 18, v9
	v_mov_b32_e32 v9, s21
	v_add_co_u32_e32 v10, vcc, s20, v21
	v_addc_co_u32_e32 v11, vcc, 0, v9, vcc
	v_subrev_co_u32_e32 v9, vcc, s14, v10
	v_subbrev_co_u32_e32 v10, vcc, 0, v11, vcc
	v_lshlrev_b64 v[9:10], 2, v[9:10]
	v_mov_b32_e32 v11, s9
	v_add_co_u32_e32 v16, vcc, s8, v9
	v_addc_co_u32_e32 v17, vcc, v11, v10, vcc
	v_mov_b32_e32 v11, 0
	v_mov_b32_e32 v12, 0
	s_mov_b32 s8, 0
	v_mov_b32_e32 v19, s5
	v_mov_b32_e32 v9, v11
	s_brev_b32 s9, 1
	v_mov_b32_e32 v18, s4
	v_mov_b32_e32 v10, v12
	s_branch .LBB452_8
.LBB452_7:                              ;   in Loop: Header=BB452_8 Depth=1
	s_or_b64 exec, exec, s[0:1]
	s_add_u32 s18, s18, 1
	s_addc_u32 s19, s19, 0
	v_cmp_lt_i64_e32 vcc, s[18:19], v[18:19]
	v_add_co_u32_e64 v16, s[0:1], 4, v16
	v_addc_co_u32_e64 v17, s[0:1], 0, v17, s[0:1]
	s_cbranch_vccz .LBB452_10
.LBB452_8:                              ; =>This Inner Loop Header: Depth=1
	v_mov_b32_e32 v23, s19
	v_add_co_u32_e32 v22, vcc, s18, v21
	v_addc_co_u32_e32 v23, vcc, 0, v23, vcc
	v_cmp_gt_i64_e32 vcc, s[4:5], v[22:23]
	s_and_saveexec_b64 s[0:1], vcc
	s_cbranch_execz .LBB452_7
; %bb.9:                                ;   in Loop: Header=BB452_8 Depth=1
	global_load_dword v22, v[16:17], off
	v_mov_b32_e32 v24, s3
	global_load_dwordx2 v[26:27], v[14:15], off
	s_waitcnt vmcnt(1)
	v_subrev_u32_e32 v22, s14, v22
	v_mad_u64_u32 v[22:23], s[10:11], v22, 21, v[13:14]
	v_ashrrev_i32_e32 v23, 31, v22
	v_lshlrev_b64 v[22:23], 4, v[22:23]
	v_add_co_u32_e32 v22, vcc, s2, v22
	v_addc_co_u32_e32 v23, vcc, v24, v23, vcc
	global_load_dwordx4 v[22:25], v[22:23], off
	v_add_co_u32_e32 v14, vcc, 0xdc8, v14
	v_addc_co_u32_e32 v15, vcc, 0, v15, vcc
	s_waitcnt vmcnt(0)
	v_fma_f64 v[9:10], v[26:27], v[22:23], v[9:10]
	v_fma_f64 v[11:12], v[22:23], 0, v[11:12]
	;; [unrolled: 1-line block ×4, first 2 shown]
	s_branch .LBB452_7
.LBB452_10:
	v_lshlrev_b32_e32 v17, 4, v0
	s_and_b64 vcc, exec, s[16:17]
	ds_write_b128 v17, v[9:12]
	s_waitcnt lgkmcnt(0)
	s_barrier
	s_cbranch_vccz .LBB452_22
; %bb.11:
	v_cmp_gt_u16_e32 vcc, 5, v20
	s_and_saveexec_b64 s[0:1], vcc
	s_cbranch_execz .LBB452_13
; %bb.12:
	ds_read_b128 v[13:16], v17 offset:256
	ds_read_b128 v[21:24], v17
	s_waitcnt lgkmcnt(0)
	v_add_f64 v[13:14], v[13:14], v[21:22]
	v_add_f64 v[15:16], v[15:16], v[23:24]
	ds_write_b128 v17, v[13:16]
.LBB452_13:
	s_or_b64 exec, exec, s[0:1]
	v_cmp_gt_u16_e32 vcc, 8, v20
	s_waitcnt lgkmcnt(0)
	s_barrier
	s_and_saveexec_b64 s[0:1], vcc
	s_cbranch_execz .LBB452_15
; %bb.14:
	ds_read_b128 v[13:16], v17 offset:128
	ds_read_b128 v[21:24], v17
	s_waitcnt lgkmcnt(0)
	v_add_f64 v[13:14], v[13:14], v[21:22]
	v_add_f64 v[15:16], v[15:16], v[23:24]
	ds_write_b128 v17, v[13:16]
.LBB452_15:
	s_or_b64 exec, exec, s[0:1]
	v_cmp_gt_u16_e32 vcc, 4, v20
	s_waitcnt lgkmcnt(0)
	s_barrier
	;; [unrolled: 14-line block ×3, first 2 shown]
	s_and_saveexec_b64 s[0:1], vcc
	s_cbranch_execz .LBB452_19
; %bb.18:
	ds_read_b128 v[13:16], v17
	ds_read_b128 v[18:21], v17 offset:32
	s_waitcnt lgkmcnt(0)
	v_add_f64 v[13:14], v[18:19], v[13:14]
	v_add_f64 v[15:16], v[20:21], v[15:16]
	ds_write_b128 v17, v[13:16]
.LBB452_19:
	s_or_b64 exec, exec, s[0:1]
	v_mov_b32_e32 v16, v12
	v_mov_b32_e32 v14, v10
	v_cmp_gt_u32_e32 vcc, 21, v0
	v_mov_b32_e32 v15, v11
	v_mov_b32_e32 v13, v9
	s_waitcnt lgkmcnt(0)
	s_barrier
	s_and_saveexec_b64 s[0:1], vcc
	s_cbranch_execz .LBB452_21
; %bb.20:
	s_movk_i32 s2, 0x140
	v_mad_u32_u24 v18, v0, s2, v17
	ds_read_b128 v[13:16], v18
	ds_read_b128 v[18:21], v18 offset:16
	s_waitcnt lgkmcnt(0)
	v_add_f64 v[13:14], v[18:19], v[13:14]
	v_add_f64 v[15:16], v[20:21], v[15:16]
.LBB452_21:
	s_or_b64 exec, exec, s[0:1]
	s_branch .LBB452_34
.LBB452_22:
                                        ; implicit-def: $vgpr15_vgpr16
                                        ; implicit-def: $vgpr13_vgpr14
	s_cbranch_execz .LBB452_34
; %bb.23:
	s_movk_i32 s0, 0x69
	v_cmp_gt_u32_e32 vcc, s0, v0
	s_and_saveexec_b64 s[0:1], vcc
	s_cbranch_execz .LBB452_25
; %bb.24:
	ds_read_b128 v[13:16], v17 offset:5376
	ds_read_b128 v[18:21], v17
	s_waitcnt lgkmcnt(0)
	v_add_f64 v[13:14], v[13:14], v[18:19]
	v_add_f64 v[15:16], v[15:16], v[20:21]
	ds_write_b128 v17, v[13:16]
.LBB452_25:
	s_or_b64 exec, exec, s[0:1]
	s_movk_i32 s0, 0xa8
	v_cmp_gt_u32_e32 vcc, s0, v0
	s_waitcnt lgkmcnt(0)
	s_barrier
	s_and_saveexec_b64 s[0:1], vcc
	s_cbranch_execz .LBB452_27
; %bb.26:
	ds_read_b128 v[13:16], v17 offset:2688
	ds_read_b128 v[18:21], v17
	s_waitcnt lgkmcnt(0)
	v_add_f64 v[13:14], v[13:14], v[18:19]
	v_add_f64 v[15:16], v[15:16], v[20:21]
	ds_write_b128 v17, v[13:16]
.LBB452_27:
	s_or_b64 exec, exec, s[0:1]
	s_movk_i32 s0, 0x54
	v_cmp_gt_u32_e32 vcc, s0, v0
	s_waitcnt lgkmcnt(0)
	s_barrier
	s_and_saveexec_b64 s[0:1], vcc
	s_cbranch_execz .LBB452_29
; %bb.28:
	ds_read_b128 v[13:16], v17 offset:1344
	ds_read_b128 v[18:21], v17
	s_waitcnt lgkmcnt(0)
	v_add_f64 v[13:14], v[13:14], v[18:19]
	v_add_f64 v[15:16], v[15:16], v[20:21]
	ds_write_b128 v17, v[13:16]
.LBB452_29:
	s_or_b64 exec, exec, s[0:1]
	v_cmp_gt_u32_e32 vcc, 42, v0
	s_waitcnt lgkmcnt(0)
	s_barrier
	s_and_saveexec_b64 s[0:1], vcc
	s_cbranch_execz .LBB452_31
; %bb.30:
	ds_read_b128 v[13:16], v17 offset:672
	ds_read_b128 v[18:21], v17
	s_waitcnt lgkmcnt(0)
	v_add_f64 v[13:14], v[13:14], v[18:19]
	v_add_f64 v[15:16], v[15:16], v[20:21]
	ds_write_b128 v17, v[13:16]
.LBB452_31:
	s_or_b64 exec, exec, s[0:1]
	v_cmp_gt_u32_e32 vcc, 21, v0
	s_waitcnt lgkmcnt(0)
	s_and_saveexec_b64 s[0:1], vcc
	s_cbranch_execz .LBB452_33
; %bb.32:
	ds_read_b128 v[9:12], v17 offset:336
	ds_read_b128 v[13:16], v17
	s_waitcnt lgkmcnt(0)
	v_add_f64 v[9:10], v[9:10], v[13:14]
	v_add_f64 v[11:12], v[11:12], v[15:16]
.LBB452_33:
	s_or_b64 exec, exec, s[0:1]
	v_mov_b32_e32 v16, v12
	v_mov_b32_e32 v14, v10
	;; [unrolled: 1-line block ×4, first 2 shown]
.LBB452_34:
	v_cmp_gt_u32_e32 vcc, 21, v0
	s_and_b64 exec, exec, vcc
	s_cbranch_execz .LBB452_39
; %bb.35:
	v_mul_f64 v[9:10], v[15:16], -v[7:8]
	v_mul_f64 v[11:12], v[5:6], v[15:16]
	v_cmp_eq_f64_e32 vcc, 0, v[1:2]
	v_cmp_eq_f64_e64 s[0:1], 0, v[3:4]
	v_fma_f64 v[5:6], v[5:6], v[13:14], v[9:10]
	v_fma_f64 v[7:8], v[7:8], v[13:14], v[11:12]
	s_and_b64 s[0:1], vcc, s[0:1]
	s_and_saveexec_b64 s[2:3], s[0:1]
	s_xor_b64 s[0:1], exec, s[2:3]
	s_cbranch_execz .LBB452_37
; %bb.36:
	v_mad_u64_u32 v[0:1], s[2:3], s6, 21, v[0:1]
	v_mov_b32_e32 v1, 0
	v_mov_b32_e32 v2, s13
	v_lshlrev_b64 v[0:1], 4, v[0:1]
	v_add_co_u32_e32 v0, vcc, s12, v0
	v_addc_co_u32_e32 v1, vcc, v2, v1, vcc
	global_store_dwordx4 v[0:1], v[5:8], off
                                        ; implicit-def: $vgpr0
                                        ; implicit-def: $vgpr1_vgpr2
                                        ; implicit-def: $vgpr5_vgpr6
.LBB452_37:
	s_andn2_saveexec_b64 s[0:1], s[0:1]
	s_cbranch_execz .LBB452_39
; %bb.38:
	v_mad_u64_u32 v[9:10], s[0:1], s6, 21, v[0:1]
	v_mov_b32_e32 v10, 0
	v_mov_b32_e32 v0, s13
	v_lshlrev_b64 v[9:10], 4, v[9:10]
	v_add_co_u32_e32 v13, vcc, s12, v9
	v_addc_co_u32_e32 v14, vcc, v0, v10, vcc
	global_load_dwordx4 v[9:12], v[13:14], off
	s_waitcnt vmcnt(0)
	v_fma_f64 v[5:6], v[1:2], v[9:10], v[5:6]
	v_fma_f64 v[7:8], v[3:4], v[9:10], v[7:8]
	v_fma_f64 v[3:4], -v[3:4], v[11:12], v[5:6]
	v_fma_f64 v[5:6], v[1:2], v[11:12], v[7:8]
	global_store_dwordx4 v[13:14], v[3:6], off
.LBB452_39:
	s_endpgm
	.section	.rodata,"a",@progbits
	.p2align	6, 0x0
	.amdhsa_kernel _ZN9rocsparseL20bsrxmvn_17_32_kernelILj21E21rocsparse_complex_numIdElidS2_S2_EEvT2_20rocsparse_direction_NS_24const_host_device_scalarIT0_EES3_PKS3_PKT1_SC_S9_PKT3_PKT4_S7_PT5_21rocsparse_index_base_b
		.amdhsa_group_segment_fixed_size 7056
		.amdhsa_private_segment_fixed_size 0
		.amdhsa_kernarg_size 112
		.amdhsa_user_sgpr_count 6
		.amdhsa_user_sgpr_private_segment_buffer 1
		.amdhsa_user_sgpr_dispatch_ptr 0
		.amdhsa_user_sgpr_queue_ptr 0
		.amdhsa_user_sgpr_kernarg_segment_ptr 1
		.amdhsa_user_sgpr_dispatch_id 0
		.amdhsa_user_sgpr_flat_scratch_init 0
		.amdhsa_user_sgpr_private_segment_size 0
		.amdhsa_uses_dynamic_stack 0
		.amdhsa_system_sgpr_private_segment_wavefront_offset 0
		.amdhsa_system_sgpr_workgroup_id_x 1
		.amdhsa_system_sgpr_workgroup_id_y 0
		.amdhsa_system_sgpr_workgroup_id_z 0
		.amdhsa_system_sgpr_workgroup_info 0
		.amdhsa_system_vgpr_workitem_id 0
		.amdhsa_next_free_vgpr 28
		.amdhsa_next_free_sgpr 61
		.amdhsa_reserve_vcc 1
		.amdhsa_reserve_flat_scratch 0
		.amdhsa_float_round_mode_32 0
		.amdhsa_float_round_mode_16_64 0
		.amdhsa_float_denorm_mode_32 3
		.amdhsa_float_denorm_mode_16_64 3
		.amdhsa_dx10_clamp 1
		.amdhsa_ieee_mode 1
		.amdhsa_fp16_overflow 0
		.amdhsa_exception_fp_ieee_invalid_op 0
		.amdhsa_exception_fp_denorm_src 0
		.amdhsa_exception_fp_ieee_div_zero 0
		.amdhsa_exception_fp_ieee_overflow 0
		.amdhsa_exception_fp_ieee_underflow 0
		.amdhsa_exception_fp_ieee_inexact 0
		.amdhsa_exception_int_div_zero 0
	.end_amdhsa_kernel
	.section	.text._ZN9rocsparseL20bsrxmvn_17_32_kernelILj21E21rocsparse_complex_numIdElidS2_S2_EEvT2_20rocsparse_direction_NS_24const_host_device_scalarIT0_EES3_PKS3_PKT1_SC_S9_PKT3_PKT4_S7_PT5_21rocsparse_index_base_b,"axG",@progbits,_ZN9rocsparseL20bsrxmvn_17_32_kernelILj21E21rocsparse_complex_numIdElidS2_S2_EEvT2_20rocsparse_direction_NS_24const_host_device_scalarIT0_EES3_PKS3_PKT1_SC_S9_PKT3_PKT4_S7_PT5_21rocsparse_index_base_b,comdat
.Lfunc_end452:
	.size	_ZN9rocsparseL20bsrxmvn_17_32_kernelILj21E21rocsparse_complex_numIdElidS2_S2_EEvT2_20rocsparse_direction_NS_24const_host_device_scalarIT0_EES3_PKS3_PKT1_SC_S9_PKT3_PKT4_S7_PT5_21rocsparse_index_base_b, .Lfunc_end452-_ZN9rocsparseL20bsrxmvn_17_32_kernelILj21E21rocsparse_complex_numIdElidS2_S2_EEvT2_20rocsparse_direction_NS_24const_host_device_scalarIT0_EES3_PKS3_PKT1_SC_S9_PKT3_PKT4_S7_PT5_21rocsparse_index_base_b
                                        ; -- End function
	.set _ZN9rocsparseL20bsrxmvn_17_32_kernelILj21E21rocsparse_complex_numIdElidS2_S2_EEvT2_20rocsparse_direction_NS_24const_host_device_scalarIT0_EES3_PKS3_PKT1_SC_S9_PKT3_PKT4_S7_PT5_21rocsparse_index_base_b.num_vgpr, 28
	.set _ZN9rocsparseL20bsrxmvn_17_32_kernelILj21E21rocsparse_complex_numIdElidS2_S2_EEvT2_20rocsparse_direction_NS_24const_host_device_scalarIT0_EES3_PKS3_PKT1_SC_S9_PKT3_PKT4_S7_PT5_21rocsparse_index_base_b.num_agpr, 0
	.set _ZN9rocsparseL20bsrxmvn_17_32_kernelILj21E21rocsparse_complex_numIdElidS2_S2_EEvT2_20rocsparse_direction_NS_24const_host_device_scalarIT0_EES3_PKS3_PKT1_SC_S9_PKT3_PKT4_S7_PT5_21rocsparse_index_base_b.numbered_sgpr, 22
	.set _ZN9rocsparseL20bsrxmvn_17_32_kernelILj21E21rocsparse_complex_numIdElidS2_S2_EEvT2_20rocsparse_direction_NS_24const_host_device_scalarIT0_EES3_PKS3_PKT1_SC_S9_PKT3_PKT4_S7_PT5_21rocsparse_index_base_b.num_named_barrier, 0
	.set _ZN9rocsparseL20bsrxmvn_17_32_kernelILj21E21rocsparse_complex_numIdElidS2_S2_EEvT2_20rocsparse_direction_NS_24const_host_device_scalarIT0_EES3_PKS3_PKT1_SC_S9_PKT3_PKT4_S7_PT5_21rocsparse_index_base_b.private_seg_size, 0
	.set _ZN9rocsparseL20bsrxmvn_17_32_kernelILj21E21rocsparse_complex_numIdElidS2_S2_EEvT2_20rocsparse_direction_NS_24const_host_device_scalarIT0_EES3_PKS3_PKT1_SC_S9_PKT3_PKT4_S7_PT5_21rocsparse_index_base_b.uses_vcc, 1
	.set _ZN9rocsparseL20bsrxmvn_17_32_kernelILj21E21rocsparse_complex_numIdElidS2_S2_EEvT2_20rocsparse_direction_NS_24const_host_device_scalarIT0_EES3_PKS3_PKT1_SC_S9_PKT3_PKT4_S7_PT5_21rocsparse_index_base_b.uses_flat_scratch, 0
	.set _ZN9rocsparseL20bsrxmvn_17_32_kernelILj21E21rocsparse_complex_numIdElidS2_S2_EEvT2_20rocsparse_direction_NS_24const_host_device_scalarIT0_EES3_PKS3_PKT1_SC_S9_PKT3_PKT4_S7_PT5_21rocsparse_index_base_b.has_dyn_sized_stack, 0
	.set _ZN9rocsparseL20bsrxmvn_17_32_kernelILj21E21rocsparse_complex_numIdElidS2_S2_EEvT2_20rocsparse_direction_NS_24const_host_device_scalarIT0_EES3_PKS3_PKT1_SC_S9_PKT3_PKT4_S7_PT5_21rocsparse_index_base_b.has_recursion, 0
	.set _ZN9rocsparseL20bsrxmvn_17_32_kernelILj21E21rocsparse_complex_numIdElidS2_S2_EEvT2_20rocsparse_direction_NS_24const_host_device_scalarIT0_EES3_PKS3_PKT1_SC_S9_PKT3_PKT4_S7_PT5_21rocsparse_index_base_b.has_indirect_call, 0
	.section	.AMDGPU.csdata,"",@progbits
; Kernel info:
; codeLenInByte = 1732
; TotalNumSgprs: 26
; NumVgprs: 28
; ScratchSize: 0
; MemoryBound: 0
; FloatMode: 240
; IeeeMode: 1
; LDSByteSize: 7056 bytes/workgroup (compile time only)
; SGPRBlocks: 8
; VGPRBlocks: 6
; NumSGPRsForWavesPerEU: 65
; NumVGPRsForWavesPerEU: 28
; Occupancy: 9
; WaveLimiterHint : 1
; COMPUTE_PGM_RSRC2:SCRATCH_EN: 0
; COMPUTE_PGM_RSRC2:USER_SGPR: 6
; COMPUTE_PGM_RSRC2:TRAP_HANDLER: 0
; COMPUTE_PGM_RSRC2:TGID_X_EN: 1
; COMPUTE_PGM_RSRC2:TGID_Y_EN: 0
; COMPUTE_PGM_RSRC2:TGID_Z_EN: 0
; COMPUTE_PGM_RSRC2:TIDIG_COMP_CNT: 0
	.section	.text._ZN9rocsparseL20bsrxmvn_17_32_kernelILj22E21rocsparse_complex_numIdElidS2_S2_EEvT2_20rocsparse_direction_NS_24const_host_device_scalarIT0_EES3_PKS3_PKT1_SC_S9_PKT3_PKT4_S7_PT5_21rocsparse_index_base_b,"axG",@progbits,_ZN9rocsparseL20bsrxmvn_17_32_kernelILj22E21rocsparse_complex_numIdElidS2_S2_EEvT2_20rocsparse_direction_NS_24const_host_device_scalarIT0_EES3_PKS3_PKT1_SC_S9_PKT3_PKT4_S7_PT5_21rocsparse_index_base_b,comdat
	.globl	_ZN9rocsparseL20bsrxmvn_17_32_kernelILj22E21rocsparse_complex_numIdElidS2_S2_EEvT2_20rocsparse_direction_NS_24const_host_device_scalarIT0_EES3_PKS3_PKT1_SC_S9_PKT3_PKT4_S7_PT5_21rocsparse_index_base_b ; -- Begin function _ZN9rocsparseL20bsrxmvn_17_32_kernelILj22E21rocsparse_complex_numIdElidS2_S2_EEvT2_20rocsparse_direction_NS_24const_host_device_scalarIT0_EES3_PKS3_PKT1_SC_S9_PKT3_PKT4_S7_PT5_21rocsparse_index_base_b
	.p2align	8
	.type	_ZN9rocsparseL20bsrxmvn_17_32_kernelILj22E21rocsparse_complex_numIdElidS2_S2_EEvT2_20rocsparse_direction_NS_24const_host_device_scalarIT0_EES3_PKS3_PKT1_SC_S9_PKT3_PKT4_S7_PT5_21rocsparse_index_base_b,@function
_ZN9rocsparseL20bsrxmvn_17_32_kernelILj22E21rocsparse_complex_numIdElidS2_S2_EEvT2_20rocsparse_direction_NS_24const_host_device_scalarIT0_EES3_PKS3_PKT1_SC_S9_PKT3_PKT4_S7_PT5_21rocsparse_index_base_b: ; @_ZN9rocsparseL20bsrxmvn_17_32_kernelILj22E21rocsparse_complex_numIdElidS2_S2_EEvT2_20rocsparse_direction_NS_24const_host_device_scalarIT0_EES3_PKS3_PKT1_SC_S9_PKT3_PKT4_S7_PT5_21rocsparse_index_base_b
; %bb.0:
	s_load_dwordx2 s[0:1], s[4:5], 0x8
	s_load_dwordx2 s[10:11], s[4:5], 0x68
	s_add_u32 s7, s4, 8
	s_addc_u32 s8, s5, 0
	s_add_u32 s9, s4, 0x50
	s_addc_u32 s12, s5, 0
	s_waitcnt lgkmcnt(0)
	s_bitcmp1_b32 s11, 0
	s_cselect_b32 s1, s8, s1
	s_cselect_b32 s0, s7, s0
	v_mov_b32_e32 v1, s0
	v_mov_b32_e32 v2, s1
	flat_load_dwordx4 v[5:8], v[1:2]
	s_load_dwordx2 s[2:3], s[4:5], 0x50
	s_waitcnt lgkmcnt(0)
	s_cselect_b32 s0, s12, s3
	s_cselect_b32 s1, s9, s2
	v_mov_b32_e32 v1, s1
	v_mov_b32_e32 v2, s0
	flat_load_dwordx4 v[1:4], v[1:2]
	s_waitcnt vmcnt(0)
	v_cmp_eq_f64_e32 vcc, 0, v[5:6]
	v_cmp_eq_f64_e64 s[0:1], 0, v[7:8]
	s_and_b64 s[8:9], vcc, s[0:1]
	s_mov_b64 s[0:1], -1
	s_and_saveexec_b64 s[2:3], s[8:9]
	s_cbranch_execz .LBB453_2
; %bb.1:
	s_waitcnt lgkmcnt(0)
	v_cmp_neq_f64_e32 vcc, 1.0, v[1:2]
	v_cmp_neq_f64_e64 s[0:1], 0, v[3:4]
	s_or_b64 s[0:1], vcc, s[0:1]
	s_orn2_b64 s[0:1], s[0:1], exec
.LBB453_2:
	s_or_b64 exec, exec, s[2:3]
	s_and_saveexec_b64 s[2:3], s[0:1]
	s_cbranch_execz .LBB453_39
; %bb.3:
	s_load_dwordx4 s[0:3], s[4:5], 0x20
	s_load_dwordx2 s[14:15], s[4:5], 0x30
	s_waitcnt lgkmcnt(0)
	s_cmp_eq_u64 s[0:1], 0
	s_cbranch_scc1 .LBB453_5
; %bb.4:
	s_ashr_i32 s7, s6, 31
	s_lshl_b64 s[6:7], s[6:7], 2
	s_add_u32 s0, s0, s6
	s_addc_u32 s1, s1, s7
	s_load_dword s0, s[0:1], 0x0
	s_waitcnt lgkmcnt(0)
	s_sub_i32 s6, s0, s10
.LBB453_5:
	s_load_dword s7, s[4:5], 0x4
	s_load_dwordx2 s[8:9], s[4:5], 0x60
	v_mul_u32_u24_e32 v13, 0xba3, v0
	v_mov_b32_e32 v14, 22
	v_mul_lo_u16_sdwa v9, v13, v14 dst_sel:DWORD dst_unused:UNUSED_PAD src0_sel:WORD_1 src1_sel:DWORD
	s_waitcnt lgkmcnt(0)
	s_cmp_eq_u32 s7, 1
	s_cselect_b64 s[0:1], -1, 0
	s_cmp_lg_u32 s7, 1
	s_cselect_b64 s[12:13], -1, 0
	s_ashr_i32 s7, s6, 31
	s_lshl_b64 s[16:17], s[6:7], 3
	s_add_u32 s2, s2, s16
	s_addc_u32 s3, s3, s17
	s_add_u32 s7, s2, 8
	s_addc_u32 s11, s3, 0
	;; [unrolled: 2-line block ×3, first 2 shown]
	s_cmp_eq_u64 s[14:15], 0
	s_cselect_b32 s19, s11, s17
	s_cselect_b32 s18, s7, s16
	s_load_dwordx2 s[14:15], s[18:19], 0x0
	s_load_dwordx2 s[16:17], s[2:3], 0x0
	v_sub_u16_e32 v20, v0, v9
	v_mov_b32_e32 v11, 0
	v_mov_b32_e32 v12, 0
	s_waitcnt lgkmcnt(0)
	v_mov_b32_e32 v9, s14
	v_mov_b32_e32 v10, s15
	v_cmp_ge_i64_e32 vcc, s[16:17], v[9:10]
	v_mov_b32_e32 v9, 0
	v_mov_b32_e32 v10, 0
	s_cbranch_vccnz .LBB453_10
; %bb.6:
	v_mov_b32_e32 v9, 12
	s_load_dwordx2 s[2:3], s[4:5], 0x48
	s_load_dwordx4 s[20:23], s[4:5], 0x38
	s_sub_u32 s4, s14, s10
	v_mul_lo_u16_sdwa v9, v13, v9 dst_sel:DWORD dst_unused:UNUSED_PAD src0_sel:WORD_1 src1_sel:DWORD
	s_subb_u32 s5, s15, 0
	v_mul_lo_u16_sdwa v9, v9, v14 dst_sel:DWORD dst_unused:UNUSED_PAD src0_sel:BYTE_1 src1_sel:DWORD
	v_sub_u16_sdwa v9, v13, v9 dst_sel:DWORD dst_unused:UNUSED_PAD src0_sel:WORD_1 src1_sel:DWORD
	s_sub_u32 s14, s16, s10
	v_and_b32_e32 v9, 0xff, v9
	s_subb_u32 s15, s17, 0
	v_cndmask_b32_e64 v13, v20, v9, s[0:1]
	s_mul_i32 s0, s15, 0xf20
	s_mul_hi_u32 s1, s14, 0xf20
	s_add_i32 s1, s1, s0
	s_mul_i32 s0, s14, 0xf20
	s_waitcnt lgkmcnt(0)
	s_add_u32 s0, s22, s0
	v_lshlrev_b32_e32 v9, 3, v0
	s_addc_u32 s1, s23, s1
	v_add_co_u32_e32 v14, vcc, s0, v9
	s_movk_i32 s0, 0x10f
	v_mov_b32_e32 v10, s1
	v_mul_u32_u24_sdwa v9, v0, s0 dst_sel:DWORD dst_unused:UNUSED_PAD src0_sel:WORD_0 src1_sel:DWORD
	v_addc_co_u32_e32 v15, vcc, 0, v10, vcc
	v_lshrrev_b32_e32 v21, 17, v9
	v_mov_b32_e32 v9, s17
	v_add_co_u32_e32 v10, vcc, s16, v21
	v_addc_co_u32_e32 v11, vcc, 0, v9, vcc
	v_subrev_co_u32_e32 v9, vcc, s10, v10
	v_subbrev_co_u32_e32 v10, vcc, 0, v11, vcc
	v_lshlrev_b64 v[9:10], 2, v[9:10]
	v_mov_b32_e32 v11, s21
	v_add_co_u32_e32 v16, vcc, s20, v9
	v_addc_co_u32_e32 v17, vcc, v11, v10, vcc
	v_mov_b32_e32 v11, 0
	v_mov_b32_e32 v12, 0
	s_mov_b32 s16, 0
	v_mov_b32_e32 v19, s5
	v_mov_b32_e32 v9, v11
	s_brev_b32 s17, 1
	v_mov_b32_e32 v18, s4
	v_mov_b32_e32 v10, v12
	s_branch .LBB453_8
.LBB453_7:                              ;   in Loop: Header=BB453_8 Depth=1
	s_or_b64 exec, exec, s[0:1]
	s_add_u32 s14, s14, 1
	s_addc_u32 s15, s15, 0
	v_cmp_lt_i64_e32 vcc, s[14:15], v[18:19]
	v_add_co_u32_e64 v16, s[0:1], 4, v16
	v_addc_co_u32_e64 v17, s[0:1], 0, v17, s[0:1]
	s_cbranch_vccz .LBB453_10
.LBB453_8:                              ; =>This Inner Loop Header: Depth=1
	v_mov_b32_e32 v23, s15
	v_add_co_u32_e32 v22, vcc, s14, v21
	v_addc_co_u32_e32 v23, vcc, 0, v23, vcc
	v_cmp_gt_i64_e32 vcc, s[4:5], v[22:23]
	s_and_saveexec_b64 s[0:1], vcc
	s_cbranch_execz .LBB453_7
; %bb.9:                                ;   in Loop: Header=BB453_8 Depth=1
	global_load_dword v22, v[16:17], off
	v_mov_b32_e32 v24, s3
	global_load_dwordx2 v[26:27], v[14:15], off
	s_waitcnt vmcnt(1)
	v_subrev_u32_e32 v22, s10, v22
	v_mad_u64_u32 v[22:23], s[18:19], v22, 22, v[13:14]
	v_ashrrev_i32_e32 v23, 31, v22
	v_lshlrev_b64 v[22:23], 4, v[22:23]
	v_add_co_u32_e32 v22, vcc, s2, v22
	v_addc_co_u32_e32 v23, vcc, v24, v23, vcc
	global_load_dwordx4 v[22:25], v[22:23], off
	v_add_co_u32_e32 v14, vcc, 0xf20, v14
	v_addc_co_u32_e32 v15, vcc, 0, v15, vcc
	s_waitcnt vmcnt(0)
	v_fma_f64 v[9:10], v[26:27], v[22:23], v[9:10]
	v_fma_f64 v[11:12], v[22:23], 0, v[11:12]
	;; [unrolled: 1-line block ×4, first 2 shown]
	s_branch .LBB453_7
.LBB453_10:
	v_lshlrev_b32_e32 v17, 4, v0
	s_and_b64 vcc, exec, s[12:13]
	ds_write_b128 v17, v[9:12]
	s_waitcnt lgkmcnt(0)
	s_barrier
	s_cbranch_vccz .LBB453_22
; %bb.11:
	v_cmp_gt_u16_e32 vcc, 6, v20
	s_and_saveexec_b64 s[0:1], vcc
	s_cbranch_execz .LBB453_13
; %bb.12:
	ds_read_b128 v[13:16], v17 offset:256
	ds_read_b128 v[21:24], v17
	s_waitcnt lgkmcnt(0)
	v_add_f64 v[13:14], v[13:14], v[21:22]
	v_add_f64 v[15:16], v[15:16], v[23:24]
	ds_write_b128 v17, v[13:16]
.LBB453_13:
	s_or_b64 exec, exec, s[0:1]
	v_cmp_gt_u16_e32 vcc, 8, v20
	s_waitcnt lgkmcnt(0)
	s_barrier
	s_and_saveexec_b64 s[0:1], vcc
	s_cbranch_execz .LBB453_15
; %bb.14:
	ds_read_b128 v[13:16], v17 offset:128
	ds_read_b128 v[21:24], v17
	s_waitcnt lgkmcnt(0)
	v_add_f64 v[13:14], v[13:14], v[21:22]
	v_add_f64 v[15:16], v[15:16], v[23:24]
	ds_write_b128 v17, v[13:16]
.LBB453_15:
	s_or_b64 exec, exec, s[0:1]
	v_cmp_gt_u16_e32 vcc, 4, v20
	s_waitcnt lgkmcnt(0)
	s_barrier
	;; [unrolled: 14-line block ×3, first 2 shown]
	s_and_saveexec_b64 s[0:1], vcc
	s_cbranch_execz .LBB453_19
; %bb.18:
	ds_read_b128 v[13:16], v17
	ds_read_b128 v[18:21], v17 offset:32
	s_waitcnt lgkmcnt(0)
	v_add_f64 v[13:14], v[18:19], v[13:14]
	v_add_f64 v[15:16], v[20:21], v[15:16]
	ds_write_b128 v17, v[13:16]
.LBB453_19:
	s_or_b64 exec, exec, s[0:1]
	v_mov_b32_e32 v16, v12
	v_mov_b32_e32 v14, v10
	v_cmp_gt_u32_e32 vcc, 22, v0
	v_mov_b32_e32 v15, v11
	v_mov_b32_e32 v13, v9
	s_waitcnt lgkmcnt(0)
	s_barrier
	s_and_saveexec_b64 s[0:1], vcc
	s_cbranch_execz .LBB453_21
; %bb.20:
	s_movk_i32 s2, 0x150
	v_mad_u32_u24 v18, v0, s2, v17
	ds_read_b128 v[13:16], v18
	ds_read_b128 v[18:21], v18 offset:16
	s_waitcnt lgkmcnt(0)
	v_add_f64 v[13:14], v[18:19], v[13:14]
	v_add_f64 v[15:16], v[20:21], v[15:16]
.LBB453_21:
	s_or_b64 exec, exec, s[0:1]
	s_branch .LBB453_34
.LBB453_22:
                                        ; implicit-def: $vgpr15_vgpr16
                                        ; implicit-def: $vgpr13_vgpr14
	s_cbranch_execz .LBB453_34
; %bb.23:
	s_movk_i32 s0, 0x84
	v_cmp_gt_u32_e32 vcc, s0, v0
	s_and_saveexec_b64 s[0:1], vcc
	s_cbranch_execz .LBB453_25
; %bb.24:
	ds_read_b128 v[13:16], v17 offset:5632
	ds_read_b128 v[18:21], v17
	s_waitcnt lgkmcnt(0)
	v_add_f64 v[13:14], v[13:14], v[18:19]
	v_add_f64 v[15:16], v[15:16], v[20:21]
	ds_write_b128 v17, v[13:16]
.LBB453_25:
	s_or_b64 exec, exec, s[0:1]
	s_movk_i32 s0, 0xb0
	v_cmp_gt_u32_e32 vcc, s0, v0
	s_waitcnt lgkmcnt(0)
	s_barrier
	s_and_saveexec_b64 s[0:1], vcc
	s_cbranch_execz .LBB453_27
; %bb.26:
	ds_read_b128 v[13:16], v17 offset:2816
	ds_read_b128 v[18:21], v17
	s_waitcnt lgkmcnt(0)
	v_add_f64 v[13:14], v[13:14], v[18:19]
	v_add_f64 v[15:16], v[15:16], v[20:21]
	ds_write_b128 v17, v[13:16]
.LBB453_27:
	s_or_b64 exec, exec, s[0:1]
	s_movk_i32 s0, 0x58
	v_cmp_gt_u32_e32 vcc, s0, v0
	s_waitcnt lgkmcnt(0)
	s_barrier
	s_and_saveexec_b64 s[0:1], vcc
	s_cbranch_execz .LBB453_29
; %bb.28:
	ds_read_b128 v[13:16], v17 offset:1408
	ds_read_b128 v[18:21], v17
	s_waitcnt lgkmcnt(0)
	v_add_f64 v[13:14], v[13:14], v[18:19]
	v_add_f64 v[15:16], v[15:16], v[20:21]
	ds_write_b128 v17, v[13:16]
.LBB453_29:
	s_or_b64 exec, exec, s[0:1]
	v_cmp_gt_u32_e32 vcc, 44, v0
	s_waitcnt lgkmcnt(0)
	s_barrier
	s_and_saveexec_b64 s[0:1], vcc
	s_cbranch_execz .LBB453_31
; %bb.30:
	ds_read_b128 v[13:16], v17 offset:704
	ds_read_b128 v[18:21], v17
	s_waitcnt lgkmcnt(0)
	v_add_f64 v[13:14], v[13:14], v[18:19]
	v_add_f64 v[15:16], v[15:16], v[20:21]
	ds_write_b128 v17, v[13:16]
.LBB453_31:
	s_or_b64 exec, exec, s[0:1]
	v_cmp_gt_u32_e32 vcc, 22, v0
	s_waitcnt lgkmcnt(0)
	s_and_saveexec_b64 s[0:1], vcc
	s_cbranch_execz .LBB453_33
; %bb.32:
	ds_read_b128 v[9:12], v17 offset:352
	ds_read_b128 v[13:16], v17
	s_waitcnt lgkmcnt(0)
	v_add_f64 v[9:10], v[9:10], v[13:14]
	v_add_f64 v[11:12], v[11:12], v[15:16]
.LBB453_33:
	s_or_b64 exec, exec, s[0:1]
	v_mov_b32_e32 v16, v12
	v_mov_b32_e32 v14, v10
	;; [unrolled: 1-line block ×4, first 2 shown]
.LBB453_34:
	v_cmp_gt_u32_e32 vcc, 22, v0
	s_and_b64 exec, exec, vcc
	s_cbranch_execz .LBB453_39
; %bb.35:
	v_mul_f64 v[9:10], v[15:16], -v[7:8]
	v_mul_f64 v[11:12], v[5:6], v[15:16]
	v_cmp_eq_f64_e32 vcc, 0, v[1:2]
	v_cmp_eq_f64_e64 s[0:1], 0, v[3:4]
	v_fma_f64 v[5:6], v[5:6], v[13:14], v[9:10]
	v_fma_f64 v[7:8], v[7:8], v[13:14], v[11:12]
	s_and_b64 s[0:1], vcc, s[0:1]
	s_and_saveexec_b64 s[2:3], s[0:1]
	s_xor_b64 s[0:1], exec, s[2:3]
	s_cbranch_execz .LBB453_37
; %bb.36:
	v_mad_u64_u32 v[0:1], s[2:3], s6, 22, v[0:1]
	v_mov_b32_e32 v1, 0
	v_mov_b32_e32 v2, s9
	v_lshlrev_b64 v[0:1], 4, v[0:1]
	v_add_co_u32_e32 v0, vcc, s8, v0
	v_addc_co_u32_e32 v1, vcc, v2, v1, vcc
	global_store_dwordx4 v[0:1], v[5:8], off
                                        ; implicit-def: $vgpr0
                                        ; implicit-def: $vgpr1_vgpr2
                                        ; implicit-def: $vgpr5_vgpr6
.LBB453_37:
	s_andn2_saveexec_b64 s[0:1], s[0:1]
	s_cbranch_execz .LBB453_39
; %bb.38:
	v_mad_u64_u32 v[9:10], s[0:1], s6, 22, v[0:1]
	v_mov_b32_e32 v10, 0
	v_mov_b32_e32 v0, s9
	v_lshlrev_b64 v[9:10], 4, v[9:10]
	v_add_co_u32_e32 v13, vcc, s8, v9
	v_addc_co_u32_e32 v14, vcc, v0, v10, vcc
	global_load_dwordx4 v[9:12], v[13:14], off
	s_waitcnt vmcnt(0)
	v_fma_f64 v[5:6], v[1:2], v[9:10], v[5:6]
	v_fma_f64 v[7:8], v[3:4], v[9:10], v[7:8]
	v_fma_f64 v[3:4], -v[3:4], v[11:12], v[5:6]
	v_fma_f64 v[5:6], v[1:2], v[11:12], v[7:8]
	global_store_dwordx4 v[13:14], v[3:6], off
.LBB453_39:
	s_endpgm
	.section	.rodata,"a",@progbits
	.p2align	6, 0x0
	.amdhsa_kernel _ZN9rocsparseL20bsrxmvn_17_32_kernelILj22E21rocsparse_complex_numIdElidS2_S2_EEvT2_20rocsparse_direction_NS_24const_host_device_scalarIT0_EES3_PKS3_PKT1_SC_S9_PKT3_PKT4_S7_PT5_21rocsparse_index_base_b
		.amdhsa_group_segment_fixed_size 7744
		.amdhsa_private_segment_fixed_size 0
		.amdhsa_kernarg_size 112
		.amdhsa_user_sgpr_count 6
		.amdhsa_user_sgpr_private_segment_buffer 1
		.amdhsa_user_sgpr_dispatch_ptr 0
		.amdhsa_user_sgpr_queue_ptr 0
		.amdhsa_user_sgpr_kernarg_segment_ptr 1
		.amdhsa_user_sgpr_dispatch_id 0
		.amdhsa_user_sgpr_flat_scratch_init 0
		.amdhsa_user_sgpr_private_segment_size 0
		.amdhsa_uses_dynamic_stack 0
		.amdhsa_system_sgpr_private_segment_wavefront_offset 0
		.amdhsa_system_sgpr_workgroup_id_x 1
		.amdhsa_system_sgpr_workgroup_id_y 0
		.amdhsa_system_sgpr_workgroup_id_z 0
		.amdhsa_system_sgpr_workgroup_info 0
		.amdhsa_system_vgpr_workitem_id 0
		.amdhsa_next_free_vgpr 28
		.amdhsa_next_free_sgpr 24
		.amdhsa_reserve_vcc 1
		.amdhsa_reserve_flat_scratch 0
		.amdhsa_float_round_mode_32 0
		.amdhsa_float_round_mode_16_64 0
		.amdhsa_float_denorm_mode_32 3
		.amdhsa_float_denorm_mode_16_64 3
		.amdhsa_dx10_clamp 1
		.amdhsa_ieee_mode 1
		.amdhsa_fp16_overflow 0
		.amdhsa_exception_fp_ieee_invalid_op 0
		.amdhsa_exception_fp_denorm_src 0
		.amdhsa_exception_fp_ieee_div_zero 0
		.amdhsa_exception_fp_ieee_overflow 0
		.amdhsa_exception_fp_ieee_underflow 0
		.amdhsa_exception_fp_ieee_inexact 0
		.amdhsa_exception_int_div_zero 0
	.end_amdhsa_kernel
	.section	.text._ZN9rocsparseL20bsrxmvn_17_32_kernelILj22E21rocsparse_complex_numIdElidS2_S2_EEvT2_20rocsparse_direction_NS_24const_host_device_scalarIT0_EES3_PKS3_PKT1_SC_S9_PKT3_PKT4_S7_PT5_21rocsparse_index_base_b,"axG",@progbits,_ZN9rocsparseL20bsrxmvn_17_32_kernelILj22E21rocsparse_complex_numIdElidS2_S2_EEvT2_20rocsparse_direction_NS_24const_host_device_scalarIT0_EES3_PKS3_PKT1_SC_S9_PKT3_PKT4_S7_PT5_21rocsparse_index_base_b,comdat
.Lfunc_end453:
	.size	_ZN9rocsparseL20bsrxmvn_17_32_kernelILj22E21rocsparse_complex_numIdElidS2_S2_EEvT2_20rocsparse_direction_NS_24const_host_device_scalarIT0_EES3_PKS3_PKT1_SC_S9_PKT3_PKT4_S7_PT5_21rocsparse_index_base_b, .Lfunc_end453-_ZN9rocsparseL20bsrxmvn_17_32_kernelILj22E21rocsparse_complex_numIdElidS2_S2_EEvT2_20rocsparse_direction_NS_24const_host_device_scalarIT0_EES3_PKS3_PKT1_SC_S9_PKT3_PKT4_S7_PT5_21rocsparse_index_base_b
                                        ; -- End function
	.set _ZN9rocsparseL20bsrxmvn_17_32_kernelILj22E21rocsparse_complex_numIdElidS2_S2_EEvT2_20rocsparse_direction_NS_24const_host_device_scalarIT0_EES3_PKS3_PKT1_SC_S9_PKT3_PKT4_S7_PT5_21rocsparse_index_base_b.num_vgpr, 28
	.set _ZN9rocsparseL20bsrxmvn_17_32_kernelILj22E21rocsparse_complex_numIdElidS2_S2_EEvT2_20rocsparse_direction_NS_24const_host_device_scalarIT0_EES3_PKS3_PKT1_SC_S9_PKT3_PKT4_S7_PT5_21rocsparse_index_base_b.num_agpr, 0
	.set _ZN9rocsparseL20bsrxmvn_17_32_kernelILj22E21rocsparse_complex_numIdElidS2_S2_EEvT2_20rocsparse_direction_NS_24const_host_device_scalarIT0_EES3_PKS3_PKT1_SC_S9_PKT3_PKT4_S7_PT5_21rocsparse_index_base_b.numbered_sgpr, 24
	.set _ZN9rocsparseL20bsrxmvn_17_32_kernelILj22E21rocsparse_complex_numIdElidS2_S2_EEvT2_20rocsparse_direction_NS_24const_host_device_scalarIT0_EES3_PKS3_PKT1_SC_S9_PKT3_PKT4_S7_PT5_21rocsparse_index_base_b.num_named_barrier, 0
	.set _ZN9rocsparseL20bsrxmvn_17_32_kernelILj22E21rocsparse_complex_numIdElidS2_S2_EEvT2_20rocsparse_direction_NS_24const_host_device_scalarIT0_EES3_PKS3_PKT1_SC_S9_PKT3_PKT4_S7_PT5_21rocsparse_index_base_b.private_seg_size, 0
	.set _ZN9rocsparseL20bsrxmvn_17_32_kernelILj22E21rocsparse_complex_numIdElidS2_S2_EEvT2_20rocsparse_direction_NS_24const_host_device_scalarIT0_EES3_PKS3_PKT1_SC_S9_PKT3_PKT4_S7_PT5_21rocsparse_index_base_b.uses_vcc, 1
	.set _ZN9rocsparseL20bsrxmvn_17_32_kernelILj22E21rocsparse_complex_numIdElidS2_S2_EEvT2_20rocsparse_direction_NS_24const_host_device_scalarIT0_EES3_PKS3_PKT1_SC_S9_PKT3_PKT4_S7_PT5_21rocsparse_index_base_b.uses_flat_scratch, 0
	.set _ZN9rocsparseL20bsrxmvn_17_32_kernelILj22E21rocsparse_complex_numIdElidS2_S2_EEvT2_20rocsparse_direction_NS_24const_host_device_scalarIT0_EES3_PKS3_PKT1_SC_S9_PKT3_PKT4_S7_PT5_21rocsparse_index_base_b.has_dyn_sized_stack, 0
	.set _ZN9rocsparseL20bsrxmvn_17_32_kernelILj22E21rocsparse_complex_numIdElidS2_S2_EEvT2_20rocsparse_direction_NS_24const_host_device_scalarIT0_EES3_PKS3_PKT1_SC_S9_PKT3_PKT4_S7_PT5_21rocsparse_index_base_b.has_recursion, 0
	.set _ZN9rocsparseL20bsrxmvn_17_32_kernelILj22E21rocsparse_complex_numIdElidS2_S2_EEvT2_20rocsparse_direction_NS_24const_host_device_scalarIT0_EES3_PKS3_PKT1_SC_S9_PKT3_PKT4_S7_PT5_21rocsparse_index_base_b.has_indirect_call, 0
	.section	.AMDGPU.csdata,"",@progbits
; Kernel info:
; codeLenInByte = 1732
; TotalNumSgprs: 28
; NumVgprs: 28
; ScratchSize: 0
; MemoryBound: 0
; FloatMode: 240
; IeeeMode: 1
; LDSByteSize: 7744 bytes/workgroup (compile time only)
; SGPRBlocks: 3
; VGPRBlocks: 6
; NumSGPRsForWavesPerEU: 28
; NumVGPRsForWavesPerEU: 28
; Occupancy: 9
; WaveLimiterHint : 1
; COMPUTE_PGM_RSRC2:SCRATCH_EN: 0
; COMPUTE_PGM_RSRC2:USER_SGPR: 6
; COMPUTE_PGM_RSRC2:TRAP_HANDLER: 0
; COMPUTE_PGM_RSRC2:TGID_X_EN: 1
; COMPUTE_PGM_RSRC2:TGID_Y_EN: 0
; COMPUTE_PGM_RSRC2:TGID_Z_EN: 0
; COMPUTE_PGM_RSRC2:TIDIG_COMP_CNT: 0
	.section	.text._ZN9rocsparseL20bsrxmvn_17_32_kernelILj23E21rocsparse_complex_numIdElidS2_S2_EEvT2_20rocsparse_direction_NS_24const_host_device_scalarIT0_EES3_PKS3_PKT1_SC_S9_PKT3_PKT4_S7_PT5_21rocsparse_index_base_b,"axG",@progbits,_ZN9rocsparseL20bsrxmvn_17_32_kernelILj23E21rocsparse_complex_numIdElidS2_S2_EEvT2_20rocsparse_direction_NS_24const_host_device_scalarIT0_EES3_PKS3_PKT1_SC_S9_PKT3_PKT4_S7_PT5_21rocsparse_index_base_b,comdat
	.globl	_ZN9rocsparseL20bsrxmvn_17_32_kernelILj23E21rocsparse_complex_numIdElidS2_S2_EEvT2_20rocsparse_direction_NS_24const_host_device_scalarIT0_EES3_PKS3_PKT1_SC_S9_PKT3_PKT4_S7_PT5_21rocsparse_index_base_b ; -- Begin function _ZN9rocsparseL20bsrxmvn_17_32_kernelILj23E21rocsparse_complex_numIdElidS2_S2_EEvT2_20rocsparse_direction_NS_24const_host_device_scalarIT0_EES3_PKS3_PKT1_SC_S9_PKT3_PKT4_S7_PT5_21rocsparse_index_base_b
	.p2align	8
	.type	_ZN9rocsparseL20bsrxmvn_17_32_kernelILj23E21rocsparse_complex_numIdElidS2_S2_EEvT2_20rocsparse_direction_NS_24const_host_device_scalarIT0_EES3_PKS3_PKT1_SC_S9_PKT3_PKT4_S7_PT5_21rocsparse_index_base_b,@function
_ZN9rocsparseL20bsrxmvn_17_32_kernelILj23E21rocsparse_complex_numIdElidS2_S2_EEvT2_20rocsparse_direction_NS_24const_host_device_scalarIT0_EES3_PKS3_PKT1_SC_S9_PKT3_PKT4_S7_PT5_21rocsparse_index_base_b: ; @_ZN9rocsparseL20bsrxmvn_17_32_kernelILj23E21rocsparse_complex_numIdElidS2_S2_EEvT2_20rocsparse_direction_NS_24const_host_device_scalarIT0_EES3_PKS3_PKT1_SC_S9_PKT3_PKT4_S7_PT5_21rocsparse_index_base_b
; %bb.0:
	s_load_dwordx2 s[0:1], s[4:5], 0x8
	s_load_dwordx2 s[14:15], s[4:5], 0x68
	s_add_u32 s7, s4, 8
	s_addc_u32 s8, s5, 0
	s_add_u32 s9, s4, 0x50
	s_addc_u32 s10, s5, 0
	s_waitcnt lgkmcnt(0)
	s_bitcmp1_b32 s15, 0
	s_cselect_b32 s1, s8, s1
	s_cselect_b32 s0, s7, s0
	v_mov_b32_e32 v1, s0
	v_mov_b32_e32 v2, s1
	flat_load_dwordx4 v[5:8], v[1:2]
	s_load_dwordx2 s[2:3], s[4:5], 0x50
	s_waitcnt lgkmcnt(0)
	s_cselect_b32 s0, s10, s3
	s_cselect_b32 s1, s9, s2
	v_mov_b32_e32 v1, s1
	v_mov_b32_e32 v2, s0
	flat_load_dwordx4 v[1:4], v[1:2]
	s_waitcnt vmcnt(0)
	v_cmp_eq_f64_e32 vcc, 0, v[5:6]
	v_cmp_eq_f64_e64 s[0:1], 0, v[7:8]
	s_and_b64 s[8:9], vcc, s[0:1]
	s_mov_b64 s[0:1], -1
	s_and_saveexec_b64 s[2:3], s[8:9]
	s_cbranch_execz .LBB454_2
; %bb.1:
	s_waitcnt lgkmcnt(0)
	v_cmp_neq_f64_e32 vcc, 1.0, v[1:2]
	v_cmp_neq_f64_e64 s[0:1], 0, v[3:4]
	s_or_b64 s[0:1], vcc, s[0:1]
	s_orn2_b64 s[0:1], s[0:1], exec
.LBB454_2:
	s_or_b64 exec, exec, s[2:3]
	s_and_saveexec_b64 s[2:3], s[0:1]
	s_cbranch_execz .LBB454_39
; %bb.3:
	s_load_dwordx4 s[0:3], s[4:5], 0x20
	s_load_dwordx2 s[8:9], s[4:5], 0x30
	s_waitcnt lgkmcnt(0)
	s_cmp_eq_u64 s[0:1], 0
	s_cbranch_scc1 .LBB454_5
; %bb.4:
	s_ashr_i32 s7, s6, 31
	s_lshl_b64 s[6:7], s[6:7], 2
	s_add_u32 s0, s0, s6
	s_addc_u32 s1, s1, s7
	s_load_dword s0, s[0:1], 0x0
	s_waitcnt lgkmcnt(0)
	s_sub_i32 s6, s0, s14
.LBB454_5:
	s_load_dword s7, s[4:5], 0x4
	s_load_dwordx2 s[12:13], s[4:5], 0x60
	v_mul_u32_u24_e32 v13, 0xb22, v0
	v_mov_b32_e32 v9, 23
	v_mul_lo_u16_sdwa v9, v13, v9 dst_sel:DWORD dst_unused:UNUSED_PAD src0_sel:WORD_1 src1_sel:DWORD
	s_waitcnt lgkmcnt(0)
	s_cmp_eq_u32 s7, 1
	s_cselect_b64 s[0:1], -1, 0
	s_cmp_lg_u32 s7, 1
	s_cselect_b64 s[16:17], -1, 0
	s_ashr_i32 s7, s6, 31
	s_lshl_b64 s[10:11], s[6:7], 3
	s_add_u32 s2, s2, s10
	s_addc_u32 s3, s3, s11
	s_add_u32 s7, s2, 8
	s_addc_u32 s15, s3, 0
	;; [unrolled: 2-line block ×3, first 2 shown]
	s_cmp_eq_u64 s[8:9], 0
	s_cselect_b32 s9, s15, s11
	s_cselect_b32 s8, s7, s10
	s_load_dwordx2 s[18:19], s[8:9], 0x0
	s_load_dwordx2 s[20:21], s[2:3], 0x0
	v_sub_u16_e32 v20, v0, v9
	v_mov_b32_e32 v11, 0
	v_mov_b32_e32 v12, 0
	s_waitcnt lgkmcnt(0)
	v_mov_b32_e32 v9, s18
	v_mov_b32_e32 v10, s19
	v_cmp_ge_i64_e32 vcc, s[20:21], v[9:10]
	v_mov_b32_e32 v9, 0
	v_mov_b32_e32 v10, 0
	s_cbranch_vccnz .LBB454_10
; %bb.6:
	s_load_dwordx2 s[2:3], s[4:5], 0x48
	s_load_dwordx4 s[8:11], s[4:5], 0x38
	s_sub_u32 s4, s18, s14
	s_mov_b32 s7, 0xffff
	s_subb_u32 s5, s19, 0
	s_movk_i32 s15, 0x211
	v_and_b32_sdwa v9, s7, v13 dst_sel:DWORD dst_unused:UNUSED_PAD src0_sel:DWORD src1_sel:WORD_1
	v_subrev_u32_e32 v10, 23, v9
	v_cmp_gt_u32_e32 vcc, s15, v0
	s_sub_u32 s18, s20, s14
	v_cndmask_b32_e32 v9, v10, v9, vcc
	s_subb_u32 s19, s21, 0
	v_cndmask_b32_e64 v13, v20, v9, s[0:1]
	s_mul_i32 s0, s19, 0x1088
	s_mul_hi_u32 s1, s18, 0x1088
	s_add_i32 s1, s1, s0
	s_mul_i32 s0, s18, 0x1088
	s_waitcnt lgkmcnt(0)
	s_add_u32 s0, s10, s0
	s_addc_u32 s1, s11, s1
	v_lshlrev_b32_e32 v9, 3, v0
	v_mov_b32_e32 v10, s1
	v_add_co_u32_e32 v14, vcc, s0, v9
	v_addc_co_u32_e32 v15, vcc, 0, v10, vcc
	s_movk_i32 s0, 0x210
	v_cmp_lt_u32_e32 vcc, s0, v0
	v_cndmask_b32_e64 v21, 0, 1, vcc
	v_mov_b32_e32 v9, s21
	v_add_co_u32_e32 v10, vcc, s20, v21
	v_addc_co_u32_e32 v11, vcc, 0, v9, vcc
	v_subrev_co_u32_e32 v9, vcc, s14, v10
	v_subbrev_co_u32_e32 v10, vcc, 0, v11, vcc
	v_lshlrev_b64 v[9:10], 2, v[9:10]
	v_mov_b32_e32 v11, s9
	v_add_co_u32_e32 v16, vcc, s8, v9
	v_addc_co_u32_e32 v17, vcc, v11, v10, vcc
	v_mov_b32_e32 v11, 0
	v_mov_b32_e32 v12, 0
	s_mov_b32 s8, 0
	v_mov_b32_e32 v19, s5
	v_mov_b32_e32 v9, v11
	s_brev_b32 s9, 1
	v_mov_b32_e32 v18, s4
	v_mov_b32_e32 v10, v12
	s_branch .LBB454_8
.LBB454_7:                              ;   in Loop: Header=BB454_8 Depth=1
	s_or_b64 exec, exec, s[0:1]
	s_add_u32 s18, s18, 1
	s_addc_u32 s19, s19, 0
	v_cmp_lt_i64_e32 vcc, s[18:19], v[18:19]
	v_add_co_u32_e64 v16, s[0:1], 4, v16
	v_addc_co_u32_e64 v17, s[0:1], 0, v17, s[0:1]
	s_cbranch_vccz .LBB454_10
.LBB454_8:                              ; =>This Inner Loop Header: Depth=1
	v_mov_b32_e32 v23, s19
	v_add_co_u32_e32 v22, vcc, s18, v21
	v_addc_co_u32_e32 v23, vcc, 0, v23, vcc
	v_cmp_gt_i64_e32 vcc, s[4:5], v[22:23]
	s_and_saveexec_b64 s[0:1], vcc
	s_cbranch_execz .LBB454_7
; %bb.9:                                ;   in Loop: Header=BB454_8 Depth=1
	global_load_dword v22, v[16:17], off
	v_mov_b32_e32 v24, s3
	global_load_dwordx2 v[26:27], v[14:15], off
	s_waitcnt vmcnt(1)
	v_subrev_u32_e32 v22, s14, v22
	v_mad_u64_u32 v[22:23], s[10:11], v22, 23, v[13:14]
	v_ashrrev_i32_e32 v23, 31, v22
	v_lshlrev_b64 v[22:23], 4, v[22:23]
	v_add_co_u32_e32 v22, vcc, s2, v22
	v_addc_co_u32_e32 v23, vcc, v24, v23, vcc
	global_load_dwordx4 v[22:25], v[22:23], off
	v_add_co_u32_e32 v14, vcc, 0x1088, v14
	v_addc_co_u32_e32 v15, vcc, 0, v15, vcc
	s_waitcnt vmcnt(0)
	v_fma_f64 v[9:10], v[26:27], v[22:23], v[9:10]
	v_fma_f64 v[11:12], v[22:23], 0, v[11:12]
	;; [unrolled: 1-line block ×4, first 2 shown]
	s_branch .LBB454_7
.LBB454_10:
	v_lshlrev_b32_e32 v17, 4, v0
	s_and_b64 vcc, exec, s[16:17]
	ds_write_b128 v17, v[9:12]
	s_waitcnt lgkmcnt(0)
	s_barrier
	s_cbranch_vccz .LBB454_22
; %bb.11:
	v_cmp_gt_u16_e32 vcc, 7, v20
	s_and_saveexec_b64 s[0:1], vcc
	s_cbranch_execz .LBB454_13
; %bb.12:
	ds_read_b128 v[13:16], v17 offset:256
	ds_read_b128 v[21:24], v17
	s_waitcnt lgkmcnt(0)
	v_add_f64 v[13:14], v[13:14], v[21:22]
	v_add_f64 v[15:16], v[15:16], v[23:24]
	ds_write_b128 v17, v[13:16]
.LBB454_13:
	s_or_b64 exec, exec, s[0:1]
	v_cmp_gt_u16_e32 vcc, 8, v20
	s_waitcnt lgkmcnt(0)
	s_barrier
	s_and_saveexec_b64 s[0:1], vcc
	s_cbranch_execz .LBB454_15
; %bb.14:
	ds_read_b128 v[13:16], v17 offset:128
	ds_read_b128 v[21:24], v17
	s_waitcnt lgkmcnt(0)
	v_add_f64 v[13:14], v[13:14], v[21:22]
	v_add_f64 v[15:16], v[15:16], v[23:24]
	ds_write_b128 v17, v[13:16]
.LBB454_15:
	s_or_b64 exec, exec, s[0:1]
	v_cmp_gt_u16_e32 vcc, 4, v20
	s_waitcnt lgkmcnt(0)
	s_barrier
	;; [unrolled: 14-line block ×3, first 2 shown]
	s_and_saveexec_b64 s[0:1], vcc
	s_cbranch_execz .LBB454_19
; %bb.18:
	ds_read_b128 v[13:16], v17
	ds_read_b128 v[18:21], v17 offset:32
	s_waitcnt lgkmcnt(0)
	v_add_f64 v[13:14], v[18:19], v[13:14]
	v_add_f64 v[15:16], v[20:21], v[15:16]
	ds_write_b128 v17, v[13:16]
.LBB454_19:
	s_or_b64 exec, exec, s[0:1]
	v_mov_b32_e32 v16, v12
	v_mov_b32_e32 v14, v10
	v_cmp_gt_u32_e32 vcc, 23, v0
	v_mov_b32_e32 v15, v11
	v_mov_b32_e32 v13, v9
	s_waitcnt lgkmcnt(0)
	s_barrier
	s_and_saveexec_b64 s[0:1], vcc
	s_cbranch_execz .LBB454_21
; %bb.20:
	s_movk_i32 s2, 0x160
	v_mad_u32_u24 v18, v0, s2, v17
	ds_read_b128 v[13:16], v18
	ds_read_b128 v[18:21], v18 offset:16
	s_waitcnt lgkmcnt(0)
	v_add_f64 v[13:14], v[18:19], v[13:14]
	v_add_f64 v[15:16], v[20:21], v[15:16]
.LBB454_21:
	s_or_b64 exec, exec, s[0:1]
	s_branch .LBB454_34
.LBB454_22:
                                        ; implicit-def: $vgpr15_vgpr16
                                        ; implicit-def: $vgpr13_vgpr14
	s_cbranch_execz .LBB454_34
; %bb.23:
	s_movk_i32 s0, 0xa1
	v_cmp_gt_u32_e32 vcc, s0, v0
	s_and_saveexec_b64 s[0:1], vcc
	s_cbranch_execz .LBB454_25
; %bb.24:
	ds_read_b128 v[13:16], v17 offset:5888
	ds_read_b128 v[18:21], v17
	s_waitcnt lgkmcnt(0)
	v_add_f64 v[13:14], v[13:14], v[18:19]
	v_add_f64 v[15:16], v[15:16], v[20:21]
	ds_write_b128 v17, v[13:16]
.LBB454_25:
	s_or_b64 exec, exec, s[0:1]
	s_movk_i32 s0, 0xb8
	v_cmp_gt_u32_e32 vcc, s0, v0
	s_waitcnt lgkmcnt(0)
	s_barrier
	s_and_saveexec_b64 s[0:1], vcc
	s_cbranch_execz .LBB454_27
; %bb.26:
	ds_read_b128 v[13:16], v17 offset:2944
	ds_read_b128 v[18:21], v17
	s_waitcnt lgkmcnt(0)
	v_add_f64 v[13:14], v[13:14], v[18:19]
	v_add_f64 v[15:16], v[15:16], v[20:21]
	ds_write_b128 v17, v[13:16]
.LBB454_27:
	s_or_b64 exec, exec, s[0:1]
	s_movk_i32 s0, 0x5c
	v_cmp_gt_u32_e32 vcc, s0, v0
	s_waitcnt lgkmcnt(0)
	s_barrier
	s_and_saveexec_b64 s[0:1], vcc
	s_cbranch_execz .LBB454_29
; %bb.28:
	ds_read_b128 v[13:16], v17 offset:1472
	ds_read_b128 v[18:21], v17
	s_waitcnt lgkmcnt(0)
	v_add_f64 v[13:14], v[13:14], v[18:19]
	v_add_f64 v[15:16], v[15:16], v[20:21]
	ds_write_b128 v17, v[13:16]
.LBB454_29:
	s_or_b64 exec, exec, s[0:1]
	v_cmp_gt_u32_e32 vcc, 46, v0
	s_waitcnt lgkmcnt(0)
	s_barrier
	s_and_saveexec_b64 s[0:1], vcc
	s_cbranch_execz .LBB454_31
; %bb.30:
	ds_read_b128 v[13:16], v17 offset:736
	ds_read_b128 v[18:21], v17
	s_waitcnt lgkmcnt(0)
	v_add_f64 v[13:14], v[13:14], v[18:19]
	v_add_f64 v[15:16], v[15:16], v[20:21]
	ds_write_b128 v17, v[13:16]
.LBB454_31:
	s_or_b64 exec, exec, s[0:1]
	v_cmp_gt_u32_e32 vcc, 23, v0
	s_waitcnt lgkmcnt(0)
	s_and_saveexec_b64 s[0:1], vcc
	s_cbranch_execz .LBB454_33
; %bb.32:
	ds_read_b128 v[9:12], v17 offset:368
	ds_read_b128 v[13:16], v17
	s_waitcnt lgkmcnt(0)
	v_add_f64 v[9:10], v[9:10], v[13:14]
	v_add_f64 v[11:12], v[11:12], v[15:16]
.LBB454_33:
	s_or_b64 exec, exec, s[0:1]
	v_mov_b32_e32 v16, v12
	v_mov_b32_e32 v14, v10
	;; [unrolled: 1-line block ×4, first 2 shown]
.LBB454_34:
	v_cmp_gt_u32_e32 vcc, 23, v0
	s_and_b64 exec, exec, vcc
	s_cbranch_execz .LBB454_39
; %bb.35:
	v_mul_f64 v[9:10], v[15:16], -v[7:8]
	v_mul_f64 v[11:12], v[5:6], v[15:16]
	v_cmp_eq_f64_e32 vcc, 0, v[1:2]
	v_cmp_eq_f64_e64 s[0:1], 0, v[3:4]
	v_fma_f64 v[5:6], v[5:6], v[13:14], v[9:10]
	v_fma_f64 v[7:8], v[7:8], v[13:14], v[11:12]
	s_and_b64 s[0:1], vcc, s[0:1]
	s_and_saveexec_b64 s[2:3], s[0:1]
	s_xor_b64 s[0:1], exec, s[2:3]
	s_cbranch_execz .LBB454_37
; %bb.36:
	v_mad_u64_u32 v[0:1], s[2:3], s6, 23, v[0:1]
	v_mov_b32_e32 v1, 0
	v_mov_b32_e32 v2, s13
	v_lshlrev_b64 v[0:1], 4, v[0:1]
	v_add_co_u32_e32 v0, vcc, s12, v0
	v_addc_co_u32_e32 v1, vcc, v2, v1, vcc
	global_store_dwordx4 v[0:1], v[5:8], off
                                        ; implicit-def: $vgpr0
                                        ; implicit-def: $vgpr1_vgpr2
                                        ; implicit-def: $vgpr5_vgpr6
.LBB454_37:
	s_andn2_saveexec_b64 s[0:1], s[0:1]
	s_cbranch_execz .LBB454_39
; %bb.38:
	v_mad_u64_u32 v[9:10], s[0:1], s6, 23, v[0:1]
	v_mov_b32_e32 v10, 0
	v_mov_b32_e32 v0, s13
	v_lshlrev_b64 v[9:10], 4, v[9:10]
	v_add_co_u32_e32 v13, vcc, s12, v9
	v_addc_co_u32_e32 v14, vcc, v0, v10, vcc
	global_load_dwordx4 v[9:12], v[13:14], off
	s_waitcnt vmcnt(0)
	v_fma_f64 v[5:6], v[1:2], v[9:10], v[5:6]
	v_fma_f64 v[7:8], v[3:4], v[9:10], v[7:8]
	v_fma_f64 v[3:4], -v[3:4], v[11:12], v[5:6]
	v_fma_f64 v[5:6], v[1:2], v[11:12], v[7:8]
	global_store_dwordx4 v[13:14], v[3:6], off
.LBB454_39:
	s_endpgm
	.section	.rodata,"a",@progbits
	.p2align	6, 0x0
	.amdhsa_kernel _ZN9rocsparseL20bsrxmvn_17_32_kernelILj23E21rocsparse_complex_numIdElidS2_S2_EEvT2_20rocsparse_direction_NS_24const_host_device_scalarIT0_EES3_PKS3_PKT1_SC_S9_PKT3_PKT4_S7_PT5_21rocsparse_index_base_b
		.amdhsa_group_segment_fixed_size 8464
		.amdhsa_private_segment_fixed_size 0
		.amdhsa_kernarg_size 112
		.amdhsa_user_sgpr_count 6
		.amdhsa_user_sgpr_private_segment_buffer 1
		.amdhsa_user_sgpr_dispatch_ptr 0
		.amdhsa_user_sgpr_queue_ptr 0
		.amdhsa_user_sgpr_kernarg_segment_ptr 1
		.amdhsa_user_sgpr_dispatch_id 0
		.amdhsa_user_sgpr_flat_scratch_init 0
		.amdhsa_user_sgpr_private_segment_size 0
		.amdhsa_uses_dynamic_stack 0
		.amdhsa_system_sgpr_private_segment_wavefront_offset 0
		.amdhsa_system_sgpr_workgroup_id_x 1
		.amdhsa_system_sgpr_workgroup_id_y 0
		.amdhsa_system_sgpr_workgroup_id_z 0
		.amdhsa_system_sgpr_workgroup_info 0
		.amdhsa_system_vgpr_workitem_id 0
		.amdhsa_next_free_vgpr 28
		.amdhsa_next_free_sgpr 61
		.amdhsa_reserve_vcc 1
		.amdhsa_reserve_flat_scratch 0
		.amdhsa_float_round_mode_32 0
		.amdhsa_float_round_mode_16_64 0
		.amdhsa_float_denorm_mode_32 3
		.amdhsa_float_denorm_mode_16_64 3
		.amdhsa_dx10_clamp 1
		.amdhsa_ieee_mode 1
		.amdhsa_fp16_overflow 0
		.amdhsa_exception_fp_ieee_invalid_op 0
		.amdhsa_exception_fp_denorm_src 0
		.amdhsa_exception_fp_ieee_div_zero 0
		.amdhsa_exception_fp_ieee_overflow 0
		.amdhsa_exception_fp_ieee_underflow 0
		.amdhsa_exception_fp_ieee_inexact 0
		.amdhsa_exception_int_div_zero 0
	.end_amdhsa_kernel
	.section	.text._ZN9rocsparseL20bsrxmvn_17_32_kernelILj23E21rocsparse_complex_numIdElidS2_S2_EEvT2_20rocsparse_direction_NS_24const_host_device_scalarIT0_EES3_PKS3_PKT1_SC_S9_PKT3_PKT4_S7_PT5_21rocsparse_index_base_b,"axG",@progbits,_ZN9rocsparseL20bsrxmvn_17_32_kernelILj23E21rocsparse_complex_numIdElidS2_S2_EEvT2_20rocsparse_direction_NS_24const_host_device_scalarIT0_EES3_PKS3_PKT1_SC_S9_PKT3_PKT4_S7_PT5_21rocsparse_index_base_b,comdat
.Lfunc_end454:
	.size	_ZN9rocsparseL20bsrxmvn_17_32_kernelILj23E21rocsparse_complex_numIdElidS2_S2_EEvT2_20rocsparse_direction_NS_24const_host_device_scalarIT0_EES3_PKS3_PKT1_SC_S9_PKT3_PKT4_S7_PT5_21rocsparse_index_base_b, .Lfunc_end454-_ZN9rocsparseL20bsrxmvn_17_32_kernelILj23E21rocsparse_complex_numIdElidS2_S2_EEvT2_20rocsparse_direction_NS_24const_host_device_scalarIT0_EES3_PKS3_PKT1_SC_S9_PKT3_PKT4_S7_PT5_21rocsparse_index_base_b
                                        ; -- End function
	.set _ZN9rocsparseL20bsrxmvn_17_32_kernelILj23E21rocsparse_complex_numIdElidS2_S2_EEvT2_20rocsparse_direction_NS_24const_host_device_scalarIT0_EES3_PKS3_PKT1_SC_S9_PKT3_PKT4_S7_PT5_21rocsparse_index_base_b.num_vgpr, 28
	.set _ZN9rocsparseL20bsrxmvn_17_32_kernelILj23E21rocsparse_complex_numIdElidS2_S2_EEvT2_20rocsparse_direction_NS_24const_host_device_scalarIT0_EES3_PKS3_PKT1_SC_S9_PKT3_PKT4_S7_PT5_21rocsparse_index_base_b.num_agpr, 0
	.set _ZN9rocsparseL20bsrxmvn_17_32_kernelILj23E21rocsparse_complex_numIdElidS2_S2_EEvT2_20rocsparse_direction_NS_24const_host_device_scalarIT0_EES3_PKS3_PKT1_SC_S9_PKT3_PKT4_S7_PT5_21rocsparse_index_base_b.numbered_sgpr, 22
	.set _ZN9rocsparseL20bsrxmvn_17_32_kernelILj23E21rocsparse_complex_numIdElidS2_S2_EEvT2_20rocsparse_direction_NS_24const_host_device_scalarIT0_EES3_PKS3_PKT1_SC_S9_PKT3_PKT4_S7_PT5_21rocsparse_index_base_b.num_named_barrier, 0
	.set _ZN9rocsparseL20bsrxmvn_17_32_kernelILj23E21rocsparse_complex_numIdElidS2_S2_EEvT2_20rocsparse_direction_NS_24const_host_device_scalarIT0_EES3_PKS3_PKT1_SC_S9_PKT3_PKT4_S7_PT5_21rocsparse_index_base_b.private_seg_size, 0
	.set _ZN9rocsparseL20bsrxmvn_17_32_kernelILj23E21rocsparse_complex_numIdElidS2_S2_EEvT2_20rocsparse_direction_NS_24const_host_device_scalarIT0_EES3_PKS3_PKT1_SC_S9_PKT3_PKT4_S7_PT5_21rocsparse_index_base_b.uses_vcc, 1
	.set _ZN9rocsparseL20bsrxmvn_17_32_kernelILj23E21rocsparse_complex_numIdElidS2_S2_EEvT2_20rocsparse_direction_NS_24const_host_device_scalarIT0_EES3_PKS3_PKT1_SC_S9_PKT3_PKT4_S7_PT5_21rocsparse_index_base_b.uses_flat_scratch, 0
	.set _ZN9rocsparseL20bsrxmvn_17_32_kernelILj23E21rocsparse_complex_numIdElidS2_S2_EEvT2_20rocsparse_direction_NS_24const_host_device_scalarIT0_EES3_PKS3_PKT1_SC_S9_PKT3_PKT4_S7_PT5_21rocsparse_index_base_b.has_dyn_sized_stack, 0
	.set _ZN9rocsparseL20bsrxmvn_17_32_kernelILj23E21rocsparse_complex_numIdElidS2_S2_EEvT2_20rocsparse_direction_NS_24const_host_device_scalarIT0_EES3_PKS3_PKT1_SC_S9_PKT3_PKT4_S7_PT5_21rocsparse_index_base_b.has_recursion, 0
	.set _ZN9rocsparseL20bsrxmvn_17_32_kernelILj23E21rocsparse_complex_numIdElidS2_S2_EEvT2_20rocsparse_direction_NS_24const_host_device_scalarIT0_EES3_PKS3_PKT1_SC_S9_PKT3_PKT4_S7_PT5_21rocsparse_index_base_b.has_indirect_call, 0
	.section	.AMDGPU.csdata,"",@progbits
; Kernel info:
; codeLenInByte = 1728
; TotalNumSgprs: 26
; NumVgprs: 28
; ScratchSize: 0
; MemoryBound: 0
; FloatMode: 240
; IeeeMode: 1
; LDSByteSize: 8464 bytes/workgroup (compile time only)
; SGPRBlocks: 8
; VGPRBlocks: 6
; NumSGPRsForWavesPerEU: 65
; NumVGPRsForWavesPerEU: 28
; Occupancy: 9
; WaveLimiterHint : 1
; COMPUTE_PGM_RSRC2:SCRATCH_EN: 0
; COMPUTE_PGM_RSRC2:USER_SGPR: 6
; COMPUTE_PGM_RSRC2:TRAP_HANDLER: 0
; COMPUTE_PGM_RSRC2:TGID_X_EN: 1
; COMPUTE_PGM_RSRC2:TGID_Y_EN: 0
; COMPUTE_PGM_RSRC2:TGID_Z_EN: 0
; COMPUTE_PGM_RSRC2:TIDIG_COMP_CNT: 0
	.section	.text._ZN9rocsparseL20bsrxmvn_17_32_kernelILj24E21rocsparse_complex_numIdElidS2_S2_EEvT2_20rocsparse_direction_NS_24const_host_device_scalarIT0_EES3_PKS3_PKT1_SC_S9_PKT3_PKT4_S7_PT5_21rocsparse_index_base_b,"axG",@progbits,_ZN9rocsparseL20bsrxmvn_17_32_kernelILj24E21rocsparse_complex_numIdElidS2_S2_EEvT2_20rocsparse_direction_NS_24const_host_device_scalarIT0_EES3_PKS3_PKT1_SC_S9_PKT3_PKT4_S7_PT5_21rocsparse_index_base_b,comdat
	.globl	_ZN9rocsparseL20bsrxmvn_17_32_kernelILj24E21rocsparse_complex_numIdElidS2_S2_EEvT2_20rocsparse_direction_NS_24const_host_device_scalarIT0_EES3_PKS3_PKT1_SC_S9_PKT3_PKT4_S7_PT5_21rocsparse_index_base_b ; -- Begin function _ZN9rocsparseL20bsrxmvn_17_32_kernelILj24E21rocsparse_complex_numIdElidS2_S2_EEvT2_20rocsparse_direction_NS_24const_host_device_scalarIT0_EES3_PKS3_PKT1_SC_S9_PKT3_PKT4_S7_PT5_21rocsparse_index_base_b
	.p2align	8
	.type	_ZN9rocsparseL20bsrxmvn_17_32_kernelILj24E21rocsparse_complex_numIdElidS2_S2_EEvT2_20rocsparse_direction_NS_24const_host_device_scalarIT0_EES3_PKS3_PKT1_SC_S9_PKT3_PKT4_S7_PT5_21rocsparse_index_base_b,@function
_ZN9rocsparseL20bsrxmvn_17_32_kernelILj24E21rocsparse_complex_numIdElidS2_S2_EEvT2_20rocsparse_direction_NS_24const_host_device_scalarIT0_EES3_PKS3_PKT1_SC_S9_PKT3_PKT4_S7_PT5_21rocsparse_index_base_b: ; @_ZN9rocsparseL20bsrxmvn_17_32_kernelILj24E21rocsparse_complex_numIdElidS2_S2_EEvT2_20rocsparse_direction_NS_24const_host_device_scalarIT0_EES3_PKS3_PKT1_SC_S9_PKT3_PKT4_S7_PT5_21rocsparse_index_base_b
; %bb.0:
	s_load_dwordx2 s[0:1], s[4:5], 0x8
	s_load_dwordx2 s[14:15], s[4:5], 0x68
	s_add_u32 s7, s4, 8
	s_addc_u32 s8, s5, 0
	s_add_u32 s9, s4, 0x50
	s_addc_u32 s10, s5, 0
	s_waitcnt lgkmcnt(0)
	s_bitcmp1_b32 s15, 0
	s_cselect_b32 s1, s8, s1
	s_cselect_b32 s0, s7, s0
	v_mov_b32_e32 v1, s0
	v_mov_b32_e32 v2, s1
	flat_load_dwordx4 v[5:8], v[1:2]
	s_load_dwordx2 s[2:3], s[4:5], 0x50
	s_waitcnt lgkmcnt(0)
	s_cselect_b32 s0, s10, s3
	s_cselect_b32 s1, s9, s2
	v_mov_b32_e32 v1, s1
	v_mov_b32_e32 v2, s0
	flat_load_dwordx4 v[1:4], v[1:2]
	s_waitcnt vmcnt(0)
	v_cmp_eq_f64_e32 vcc, 0, v[5:6]
	v_cmp_eq_f64_e64 s[0:1], 0, v[7:8]
	s_and_b64 s[8:9], vcc, s[0:1]
	s_mov_b64 s[0:1], -1
	s_and_saveexec_b64 s[2:3], s[8:9]
	s_cbranch_execz .LBB455_2
; %bb.1:
	s_waitcnt lgkmcnt(0)
	v_cmp_neq_f64_e32 vcc, 1.0, v[1:2]
	v_cmp_neq_f64_e64 s[0:1], 0, v[3:4]
	s_or_b64 s[0:1], vcc, s[0:1]
	s_orn2_b64 s[0:1], s[0:1], exec
.LBB455_2:
	s_or_b64 exec, exec, s[2:3]
	s_and_saveexec_b64 s[2:3], s[0:1]
	s_cbranch_execz .LBB455_39
; %bb.3:
	s_load_dwordx4 s[0:3], s[4:5], 0x20
	s_load_dwordx2 s[8:9], s[4:5], 0x30
	s_waitcnt lgkmcnt(0)
	s_cmp_eq_u64 s[0:1], 0
	s_cbranch_scc1 .LBB455_5
; %bb.4:
	s_ashr_i32 s7, s6, 31
	s_lshl_b64 s[6:7], s[6:7], 2
	s_add_u32 s0, s0, s6
	s_addc_u32 s1, s1, s7
	s_load_dword s0, s[0:1], 0x0
	s_waitcnt lgkmcnt(0)
	s_sub_i32 s6, s0, s14
.LBB455_5:
	s_load_dword s7, s[4:5], 0x4
	s_load_dwordx2 s[12:13], s[4:5], 0x60
	v_mul_u32_u24_e32 v13, 0xaab, v0
	v_mov_b32_e32 v9, 24
	v_mul_lo_u16_sdwa v9, v13, v9 dst_sel:DWORD dst_unused:UNUSED_PAD src0_sel:WORD_1 src1_sel:DWORD
	s_waitcnt lgkmcnt(0)
	s_cmp_eq_u32 s7, 1
	s_cselect_b64 s[0:1], -1, 0
	s_cmp_lg_u32 s7, 1
	s_cselect_b64 s[16:17], -1, 0
	s_ashr_i32 s7, s6, 31
	s_lshl_b64 s[10:11], s[6:7], 3
	s_add_u32 s2, s2, s10
	s_addc_u32 s3, s3, s11
	s_add_u32 s7, s2, 8
	s_addc_u32 s15, s3, 0
	;; [unrolled: 2-line block ×3, first 2 shown]
	s_cmp_eq_u64 s[8:9], 0
	s_cselect_b32 s9, s15, s11
	s_cselect_b32 s8, s7, s10
	s_load_dwordx2 s[18:19], s[8:9], 0x0
	s_load_dwordx2 s[20:21], s[2:3], 0x0
	v_sub_u16_e32 v20, v0, v9
	v_mov_b32_e32 v11, 0
	v_mov_b32_e32 v12, 0
	s_waitcnt lgkmcnt(0)
	v_mov_b32_e32 v9, s18
	v_mov_b32_e32 v10, s19
	v_cmp_ge_i64_e32 vcc, s[20:21], v[9:10]
	v_mov_b32_e32 v9, 0
	v_mov_b32_e32 v10, 0
	s_cbranch_vccnz .LBB455_10
; %bb.6:
	s_load_dwordx2 s[2:3], s[4:5], 0x48
	s_load_dwordx4 s[8:11], s[4:5], 0x38
	s_sub_u32 s4, s18, s14
	s_mov_b32 s7, 0xffff
	s_subb_u32 s5, s19, 0
	s_movk_i32 s15, 0x240
	v_and_b32_sdwa v9, s7, v13 dst_sel:DWORD dst_unused:UNUSED_PAD src0_sel:DWORD src1_sel:WORD_1
	v_subrev_u32_e32 v10, 24, v9
	v_cmp_gt_u32_e32 vcc, s15, v0
	s_sub_u32 s18, s20, s14
	v_cndmask_b32_e32 v9, v10, v9, vcc
	s_subb_u32 s19, s21, 0
	v_cndmask_b32_e64 v13, v20, v9, s[0:1]
	s_mul_i32 s0, s19, 0x1200
	s_mul_hi_u32 s1, s18, 0x1200
	s_add_i32 s1, s1, s0
	s_mul_i32 s0, s18, 0x1200
	s_waitcnt lgkmcnt(0)
	s_add_u32 s0, s10, s0
	s_addc_u32 s1, s11, s1
	v_lshlrev_b32_e32 v9, 3, v0
	v_mov_b32_e32 v10, s1
	v_add_co_u32_e32 v14, vcc, s0, v9
	v_addc_co_u32_e32 v15, vcc, 0, v10, vcc
	s_movk_i32 s0, 0x23f
	v_cmp_lt_u32_e32 vcc, s0, v0
	v_cndmask_b32_e64 v21, 0, 1, vcc
	v_mov_b32_e32 v9, s21
	v_add_co_u32_e32 v10, vcc, s20, v21
	v_addc_co_u32_e32 v11, vcc, 0, v9, vcc
	v_subrev_co_u32_e32 v9, vcc, s14, v10
	v_subbrev_co_u32_e32 v10, vcc, 0, v11, vcc
	v_lshlrev_b64 v[9:10], 2, v[9:10]
	v_mov_b32_e32 v11, s9
	v_add_co_u32_e32 v16, vcc, s8, v9
	v_addc_co_u32_e32 v17, vcc, v11, v10, vcc
	v_mov_b32_e32 v11, 0
	v_mov_b32_e32 v12, 0
	s_mov_b32 s8, 0
	v_mov_b32_e32 v19, s5
	v_mov_b32_e32 v9, v11
	s_brev_b32 s9, 1
	v_mov_b32_e32 v18, s4
	v_mov_b32_e32 v10, v12
	s_branch .LBB455_8
.LBB455_7:                              ;   in Loop: Header=BB455_8 Depth=1
	s_or_b64 exec, exec, s[0:1]
	s_add_u32 s18, s18, 1
	s_addc_u32 s19, s19, 0
	v_cmp_lt_i64_e32 vcc, s[18:19], v[18:19]
	v_add_co_u32_e64 v16, s[0:1], 4, v16
	v_addc_co_u32_e64 v17, s[0:1], 0, v17, s[0:1]
	s_cbranch_vccz .LBB455_10
.LBB455_8:                              ; =>This Inner Loop Header: Depth=1
	v_mov_b32_e32 v23, s19
	v_add_co_u32_e32 v22, vcc, s18, v21
	v_addc_co_u32_e32 v23, vcc, 0, v23, vcc
	v_cmp_gt_i64_e32 vcc, s[4:5], v[22:23]
	s_and_saveexec_b64 s[0:1], vcc
	s_cbranch_execz .LBB455_7
; %bb.9:                                ;   in Loop: Header=BB455_8 Depth=1
	global_load_dword v22, v[16:17], off
	v_mov_b32_e32 v24, s3
	global_load_dwordx2 v[26:27], v[14:15], off
	s_waitcnt vmcnt(1)
	v_subrev_u32_e32 v22, s14, v22
	v_mad_u64_u32 v[22:23], s[10:11], v22, 24, v[13:14]
	v_ashrrev_i32_e32 v23, 31, v22
	v_lshlrev_b64 v[22:23], 4, v[22:23]
	v_add_co_u32_e32 v22, vcc, s2, v22
	v_addc_co_u32_e32 v23, vcc, v24, v23, vcc
	global_load_dwordx4 v[22:25], v[22:23], off
	v_add_co_u32_e32 v14, vcc, 0x1200, v14
	v_addc_co_u32_e32 v15, vcc, 0, v15, vcc
	s_waitcnt vmcnt(0)
	v_fma_f64 v[9:10], v[26:27], v[22:23], v[9:10]
	v_fma_f64 v[11:12], v[22:23], 0, v[11:12]
	;; [unrolled: 1-line block ×4, first 2 shown]
	s_branch .LBB455_7
.LBB455_10:
	v_lshlrev_b32_e32 v17, 4, v0
	s_and_b64 vcc, exec, s[16:17]
	ds_write_b128 v17, v[9:12]
	s_waitcnt lgkmcnt(0)
	s_barrier
	s_cbranch_vccz .LBB455_22
; %bb.11:
	v_cmp_gt_u16_e32 vcc, 8, v20
	s_and_saveexec_b64 s[0:1], vcc
	s_cbranch_execz .LBB455_13
; %bb.12:
	ds_read_b128 v[13:16], v17 offset:256
	ds_read_b128 v[21:24], v17
	s_waitcnt lgkmcnt(0)
	v_add_f64 v[13:14], v[13:14], v[21:22]
	v_add_f64 v[15:16], v[15:16], v[23:24]
	ds_write_b128 v17, v[13:16]
.LBB455_13:
	s_or_b64 exec, exec, s[0:1]
	s_waitcnt lgkmcnt(0)
	s_barrier
	s_and_saveexec_b64 s[0:1], vcc
	s_cbranch_execz .LBB455_15
; %bb.14:
	ds_read_b128 v[13:16], v17 offset:128
	ds_read_b128 v[21:24], v17
	s_waitcnt lgkmcnt(0)
	v_add_f64 v[13:14], v[13:14], v[21:22]
	v_add_f64 v[15:16], v[15:16], v[23:24]
	ds_write_b128 v17, v[13:16]
.LBB455_15:
	s_or_b64 exec, exec, s[0:1]
	v_cmp_gt_u16_e32 vcc, 4, v20
	s_waitcnt lgkmcnt(0)
	s_barrier
	s_and_saveexec_b64 s[0:1], vcc
	s_cbranch_execz .LBB455_17
; %bb.16:
	ds_read_b128 v[13:16], v17 offset:64
	ds_read_b128 v[21:24], v17
	s_waitcnt lgkmcnt(0)
	v_add_f64 v[13:14], v[13:14], v[21:22]
	v_add_f64 v[15:16], v[15:16], v[23:24]
	ds_write_b128 v17, v[13:16]
.LBB455_17:
	s_or_b64 exec, exec, s[0:1]
	v_cmp_gt_u16_e32 vcc, 2, v20
	s_waitcnt lgkmcnt(0)
	s_barrier
	s_and_saveexec_b64 s[0:1], vcc
	s_cbranch_execz .LBB455_19
; %bb.18:
	ds_read_b128 v[13:16], v17
	ds_read_b128 v[18:21], v17 offset:32
	s_waitcnt lgkmcnt(0)
	v_add_f64 v[13:14], v[18:19], v[13:14]
	v_add_f64 v[15:16], v[20:21], v[15:16]
	ds_write_b128 v17, v[13:16]
.LBB455_19:
	s_or_b64 exec, exec, s[0:1]
	v_mov_b32_e32 v16, v12
	v_mov_b32_e32 v14, v10
	v_cmp_gt_u32_e32 vcc, 24, v0
	v_mov_b32_e32 v15, v11
	v_mov_b32_e32 v13, v9
	s_waitcnt lgkmcnt(0)
	s_barrier
	s_and_saveexec_b64 s[0:1], vcc
	s_cbranch_execz .LBB455_21
; %bb.20:
	s_movk_i32 s2, 0x170
	v_mad_u32_u24 v18, v0, s2, v17
	ds_read_b128 v[13:16], v18
	ds_read_b128 v[18:21], v18 offset:16
	s_waitcnt lgkmcnt(0)
	v_add_f64 v[13:14], v[18:19], v[13:14]
	v_add_f64 v[15:16], v[20:21], v[15:16]
.LBB455_21:
	s_or_b64 exec, exec, s[0:1]
	s_branch .LBB455_34
.LBB455_22:
                                        ; implicit-def: $vgpr15_vgpr16
                                        ; implicit-def: $vgpr13_vgpr14
	s_cbranch_execz .LBB455_34
; %bb.23:
	s_movk_i32 s0, 0xc0
	v_cmp_gt_u32_e32 vcc, s0, v0
	s_and_saveexec_b64 s[0:1], vcc
	s_cbranch_execz .LBB455_25
; %bb.24:
	ds_read_b128 v[13:16], v17 offset:6144
	ds_read_b128 v[18:21], v17
	s_waitcnt lgkmcnt(0)
	v_add_f64 v[13:14], v[13:14], v[18:19]
	v_add_f64 v[15:16], v[15:16], v[20:21]
	ds_write_b128 v17, v[13:16]
.LBB455_25:
	s_or_b64 exec, exec, s[0:1]
	s_waitcnt lgkmcnt(0)
	s_barrier
	s_and_saveexec_b64 s[0:1], vcc
	s_cbranch_execz .LBB455_27
; %bb.26:
	ds_read_b128 v[13:16], v17 offset:3072
	ds_read_b128 v[18:21], v17
	s_waitcnt lgkmcnt(0)
	v_add_f64 v[13:14], v[13:14], v[18:19]
	v_add_f64 v[15:16], v[15:16], v[20:21]
	ds_write_b128 v17, v[13:16]
.LBB455_27:
	s_or_b64 exec, exec, s[0:1]
	s_movk_i32 s0, 0x60
	v_cmp_gt_u32_e32 vcc, s0, v0
	s_waitcnt lgkmcnt(0)
	s_barrier
	s_and_saveexec_b64 s[0:1], vcc
	s_cbranch_execz .LBB455_29
; %bb.28:
	ds_read_b128 v[13:16], v17 offset:1536
	ds_read_b128 v[18:21], v17
	s_waitcnt lgkmcnt(0)
	v_add_f64 v[13:14], v[13:14], v[18:19]
	v_add_f64 v[15:16], v[15:16], v[20:21]
	ds_write_b128 v17, v[13:16]
.LBB455_29:
	s_or_b64 exec, exec, s[0:1]
	v_cmp_gt_u32_e32 vcc, 48, v0
	s_waitcnt lgkmcnt(0)
	s_barrier
	s_and_saveexec_b64 s[0:1], vcc
	s_cbranch_execz .LBB455_31
; %bb.30:
	ds_read_b128 v[13:16], v17 offset:768
	ds_read_b128 v[18:21], v17
	s_waitcnt lgkmcnt(0)
	v_add_f64 v[13:14], v[13:14], v[18:19]
	v_add_f64 v[15:16], v[15:16], v[20:21]
	ds_write_b128 v17, v[13:16]
.LBB455_31:
	s_or_b64 exec, exec, s[0:1]
	v_cmp_gt_u32_e32 vcc, 24, v0
	s_waitcnt lgkmcnt(0)
	s_and_saveexec_b64 s[0:1], vcc
	s_cbranch_execz .LBB455_33
; %bb.32:
	ds_read_b128 v[9:12], v17 offset:384
	ds_read_b128 v[13:16], v17
	s_waitcnt lgkmcnt(0)
	v_add_f64 v[9:10], v[9:10], v[13:14]
	v_add_f64 v[11:12], v[11:12], v[15:16]
.LBB455_33:
	s_or_b64 exec, exec, s[0:1]
	v_mov_b32_e32 v16, v12
	v_mov_b32_e32 v14, v10
	;; [unrolled: 1-line block ×4, first 2 shown]
.LBB455_34:
	v_cmp_gt_u32_e32 vcc, 24, v0
	s_and_b64 exec, exec, vcc
	s_cbranch_execz .LBB455_39
; %bb.35:
	v_mul_f64 v[9:10], v[15:16], -v[7:8]
	v_mul_f64 v[11:12], v[5:6], v[15:16]
	v_cmp_eq_f64_e32 vcc, 0, v[1:2]
	v_cmp_eq_f64_e64 s[0:1], 0, v[3:4]
	v_fma_f64 v[5:6], v[5:6], v[13:14], v[9:10]
	v_fma_f64 v[7:8], v[7:8], v[13:14], v[11:12]
	s_and_b64 s[0:1], vcc, s[0:1]
	s_and_saveexec_b64 s[2:3], s[0:1]
	s_xor_b64 s[0:1], exec, s[2:3]
	s_cbranch_execz .LBB455_37
; %bb.36:
	v_mad_u64_u32 v[0:1], s[2:3], s6, 24, v[0:1]
	v_mov_b32_e32 v1, 0
	v_mov_b32_e32 v2, s13
	v_lshlrev_b64 v[0:1], 4, v[0:1]
	v_add_co_u32_e32 v0, vcc, s12, v0
	v_addc_co_u32_e32 v1, vcc, v2, v1, vcc
	global_store_dwordx4 v[0:1], v[5:8], off
                                        ; implicit-def: $vgpr0
                                        ; implicit-def: $vgpr1_vgpr2
                                        ; implicit-def: $vgpr5_vgpr6
.LBB455_37:
	s_andn2_saveexec_b64 s[0:1], s[0:1]
	s_cbranch_execz .LBB455_39
; %bb.38:
	v_mad_u64_u32 v[9:10], s[0:1], s6, 24, v[0:1]
	v_mov_b32_e32 v10, 0
	v_mov_b32_e32 v0, s13
	v_lshlrev_b64 v[9:10], 4, v[9:10]
	v_add_co_u32_e32 v13, vcc, s12, v9
	v_addc_co_u32_e32 v14, vcc, v0, v10, vcc
	global_load_dwordx4 v[9:12], v[13:14], off
	s_waitcnt vmcnt(0)
	v_fma_f64 v[5:6], v[1:2], v[9:10], v[5:6]
	v_fma_f64 v[7:8], v[3:4], v[9:10], v[7:8]
	v_fma_f64 v[3:4], -v[3:4], v[11:12], v[5:6]
	v_fma_f64 v[5:6], v[1:2], v[11:12], v[7:8]
	global_store_dwordx4 v[13:14], v[3:6], off
.LBB455_39:
	s_endpgm
	.section	.rodata,"a",@progbits
	.p2align	6, 0x0
	.amdhsa_kernel _ZN9rocsparseL20bsrxmvn_17_32_kernelILj24E21rocsparse_complex_numIdElidS2_S2_EEvT2_20rocsparse_direction_NS_24const_host_device_scalarIT0_EES3_PKS3_PKT1_SC_S9_PKT3_PKT4_S7_PT5_21rocsparse_index_base_b
		.amdhsa_group_segment_fixed_size 9216
		.amdhsa_private_segment_fixed_size 0
		.amdhsa_kernarg_size 112
		.amdhsa_user_sgpr_count 6
		.amdhsa_user_sgpr_private_segment_buffer 1
		.amdhsa_user_sgpr_dispatch_ptr 0
		.amdhsa_user_sgpr_queue_ptr 0
		.amdhsa_user_sgpr_kernarg_segment_ptr 1
		.amdhsa_user_sgpr_dispatch_id 0
		.amdhsa_user_sgpr_flat_scratch_init 0
		.amdhsa_user_sgpr_private_segment_size 0
		.amdhsa_uses_dynamic_stack 0
		.amdhsa_system_sgpr_private_segment_wavefront_offset 0
		.amdhsa_system_sgpr_workgroup_id_x 1
		.amdhsa_system_sgpr_workgroup_id_y 0
		.amdhsa_system_sgpr_workgroup_id_z 0
		.amdhsa_system_sgpr_workgroup_info 0
		.amdhsa_system_vgpr_workitem_id 0
		.amdhsa_next_free_vgpr 28
		.amdhsa_next_free_sgpr 61
		.amdhsa_reserve_vcc 1
		.amdhsa_reserve_flat_scratch 0
		.amdhsa_float_round_mode_32 0
		.amdhsa_float_round_mode_16_64 0
		.amdhsa_float_denorm_mode_32 3
		.amdhsa_float_denorm_mode_16_64 3
		.amdhsa_dx10_clamp 1
		.amdhsa_ieee_mode 1
		.amdhsa_fp16_overflow 0
		.amdhsa_exception_fp_ieee_invalid_op 0
		.amdhsa_exception_fp_denorm_src 0
		.amdhsa_exception_fp_ieee_div_zero 0
		.amdhsa_exception_fp_ieee_overflow 0
		.amdhsa_exception_fp_ieee_underflow 0
		.amdhsa_exception_fp_ieee_inexact 0
		.amdhsa_exception_int_div_zero 0
	.end_amdhsa_kernel
	.section	.text._ZN9rocsparseL20bsrxmvn_17_32_kernelILj24E21rocsparse_complex_numIdElidS2_S2_EEvT2_20rocsparse_direction_NS_24const_host_device_scalarIT0_EES3_PKS3_PKT1_SC_S9_PKT3_PKT4_S7_PT5_21rocsparse_index_base_b,"axG",@progbits,_ZN9rocsparseL20bsrxmvn_17_32_kernelILj24E21rocsparse_complex_numIdElidS2_S2_EEvT2_20rocsparse_direction_NS_24const_host_device_scalarIT0_EES3_PKS3_PKT1_SC_S9_PKT3_PKT4_S7_PT5_21rocsparse_index_base_b,comdat
.Lfunc_end455:
	.size	_ZN9rocsparseL20bsrxmvn_17_32_kernelILj24E21rocsparse_complex_numIdElidS2_S2_EEvT2_20rocsparse_direction_NS_24const_host_device_scalarIT0_EES3_PKS3_PKT1_SC_S9_PKT3_PKT4_S7_PT5_21rocsparse_index_base_b, .Lfunc_end455-_ZN9rocsparseL20bsrxmvn_17_32_kernelILj24E21rocsparse_complex_numIdElidS2_S2_EEvT2_20rocsparse_direction_NS_24const_host_device_scalarIT0_EES3_PKS3_PKT1_SC_S9_PKT3_PKT4_S7_PT5_21rocsparse_index_base_b
                                        ; -- End function
	.set _ZN9rocsparseL20bsrxmvn_17_32_kernelILj24E21rocsparse_complex_numIdElidS2_S2_EEvT2_20rocsparse_direction_NS_24const_host_device_scalarIT0_EES3_PKS3_PKT1_SC_S9_PKT3_PKT4_S7_PT5_21rocsparse_index_base_b.num_vgpr, 28
	.set _ZN9rocsparseL20bsrxmvn_17_32_kernelILj24E21rocsparse_complex_numIdElidS2_S2_EEvT2_20rocsparse_direction_NS_24const_host_device_scalarIT0_EES3_PKS3_PKT1_SC_S9_PKT3_PKT4_S7_PT5_21rocsparse_index_base_b.num_agpr, 0
	.set _ZN9rocsparseL20bsrxmvn_17_32_kernelILj24E21rocsparse_complex_numIdElidS2_S2_EEvT2_20rocsparse_direction_NS_24const_host_device_scalarIT0_EES3_PKS3_PKT1_SC_S9_PKT3_PKT4_S7_PT5_21rocsparse_index_base_b.numbered_sgpr, 22
	.set _ZN9rocsparseL20bsrxmvn_17_32_kernelILj24E21rocsparse_complex_numIdElidS2_S2_EEvT2_20rocsparse_direction_NS_24const_host_device_scalarIT0_EES3_PKS3_PKT1_SC_S9_PKT3_PKT4_S7_PT5_21rocsparse_index_base_b.num_named_barrier, 0
	.set _ZN9rocsparseL20bsrxmvn_17_32_kernelILj24E21rocsparse_complex_numIdElidS2_S2_EEvT2_20rocsparse_direction_NS_24const_host_device_scalarIT0_EES3_PKS3_PKT1_SC_S9_PKT3_PKT4_S7_PT5_21rocsparse_index_base_b.private_seg_size, 0
	.set _ZN9rocsparseL20bsrxmvn_17_32_kernelILj24E21rocsparse_complex_numIdElidS2_S2_EEvT2_20rocsparse_direction_NS_24const_host_device_scalarIT0_EES3_PKS3_PKT1_SC_S9_PKT3_PKT4_S7_PT5_21rocsparse_index_base_b.uses_vcc, 1
	.set _ZN9rocsparseL20bsrxmvn_17_32_kernelILj24E21rocsparse_complex_numIdElidS2_S2_EEvT2_20rocsparse_direction_NS_24const_host_device_scalarIT0_EES3_PKS3_PKT1_SC_S9_PKT3_PKT4_S7_PT5_21rocsparse_index_base_b.uses_flat_scratch, 0
	.set _ZN9rocsparseL20bsrxmvn_17_32_kernelILj24E21rocsparse_complex_numIdElidS2_S2_EEvT2_20rocsparse_direction_NS_24const_host_device_scalarIT0_EES3_PKS3_PKT1_SC_S9_PKT3_PKT4_S7_PT5_21rocsparse_index_base_b.has_dyn_sized_stack, 0
	.set _ZN9rocsparseL20bsrxmvn_17_32_kernelILj24E21rocsparse_complex_numIdElidS2_S2_EEvT2_20rocsparse_direction_NS_24const_host_device_scalarIT0_EES3_PKS3_PKT1_SC_S9_PKT3_PKT4_S7_PT5_21rocsparse_index_base_b.has_recursion, 0
	.set _ZN9rocsparseL20bsrxmvn_17_32_kernelILj24E21rocsparse_complex_numIdElidS2_S2_EEvT2_20rocsparse_direction_NS_24const_host_device_scalarIT0_EES3_PKS3_PKT1_SC_S9_PKT3_PKT4_S7_PT5_21rocsparse_index_base_b.has_indirect_call, 0
	.section	.AMDGPU.csdata,"",@progbits
; Kernel info:
; codeLenInByte = 1716
; TotalNumSgprs: 26
; NumVgprs: 28
; ScratchSize: 0
; MemoryBound: 0
; FloatMode: 240
; IeeeMode: 1
; LDSByteSize: 9216 bytes/workgroup (compile time only)
; SGPRBlocks: 8
; VGPRBlocks: 6
; NumSGPRsForWavesPerEU: 65
; NumVGPRsForWavesPerEU: 28
; Occupancy: 9
; WaveLimiterHint : 1
; COMPUTE_PGM_RSRC2:SCRATCH_EN: 0
; COMPUTE_PGM_RSRC2:USER_SGPR: 6
; COMPUTE_PGM_RSRC2:TRAP_HANDLER: 0
; COMPUTE_PGM_RSRC2:TGID_X_EN: 1
; COMPUTE_PGM_RSRC2:TGID_Y_EN: 0
; COMPUTE_PGM_RSRC2:TGID_Z_EN: 0
; COMPUTE_PGM_RSRC2:TIDIG_COMP_CNT: 0
	.section	.text._ZN9rocsparseL20bsrxmvn_17_32_kernelILj25E21rocsparse_complex_numIdElidS2_S2_EEvT2_20rocsparse_direction_NS_24const_host_device_scalarIT0_EES3_PKS3_PKT1_SC_S9_PKT3_PKT4_S7_PT5_21rocsparse_index_base_b,"axG",@progbits,_ZN9rocsparseL20bsrxmvn_17_32_kernelILj25E21rocsparse_complex_numIdElidS2_S2_EEvT2_20rocsparse_direction_NS_24const_host_device_scalarIT0_EES3_PKS3_PKT1_SC_S9_PKT3_PKT4_S7_PT5_21rocsparse_index_base_b,comdat
	.globl	_ZN9rocsparseL20bsrxmvn_17_32_kernelILj25E21rocsparse_complex_numIdElidS2_S2_EEvT2_20rocsparse_direction_NS_24const_host_device_scalarIT0_EES3_PKS3_PKT1_SC_S9_PKT3_PKT4_S7_PT5_21rocsparse_index_base_b ; -- Begin function _ZN9rocsparseL20bsrxmvn_17_32_kernelILj25E21rocsparse_complex_numIdElidS2_S2_EEvT2_20rocsparse_direction_NS_24const_host_device_scalarIT0_EES3_PKS3_PKT1_SC_S9_PKT3_PKT4_S7_PT5_21rocsparse_index_base_b
	.p2align	8
	.type	_ZN9rocsparseL20bsrxmvn_17_32_kernelILj25E21rocsparse_complex_numIdElidS2_S2_EEvT2_20rocsparse_direction_NS_24const_host_device_scalarIT0_EES3_PKS3_PKT1_SC_S9_PKT3_PKT4_S7_PT5_21rocsparse_index_base_b,@function
_ZN9rocsparseL20bsrxmvn_17_32_kernelILj25E21rocsparse_complex_numIdElidS2_S2_EEvT2_20rocsparse_direction_NS_24const_host_device_scalarIT0_EES3_PKS3_PKT1_SC_S9_PKT3_PKT4_S7_PT5_21rocsparse_index_base_b: ; @_ZN9rocsparseL20bsrxmvn_17_32_kernelILj25E21rocsparse_complex_numIdElidS2_S2_EEvT2_20rocsparse_direction_NS_24const_host_device_scalarIT0_EES3_PKS3_PKT1_SC_S9_PKT3_PKT4_S7_PT5_21rocsparse_index_base_b
; %bb.0:
	s_load_dwordx2 s[0:1], s[4:5], 0x8
	s_load_dwordx2 s[14:15], s[4:5], 0x68
	s_add_u32 s7, s4, 8
	s_addc_u32 s8, s5, 0
	s_add_u32 s9, s4, 0x50
	s_addc_u32 s10, s5, 0
	s_waitcnt lgkmcnt(0)
	s_bitcmp1_b32 s15, 0
	s_cselect_b32 s1, s8, s1
	s_cselect_b32 s0, s7, s0
	v_mov_b32_e32 v1, s0
	v_mov_b32_e32 v2, s1
	flat_load_dwordx4 v[5:8], v[1:2]
	s_load_dwordx2 s[2:3], s[4:5], 0x50
	s_waitcnt lgkmcnt(0)
	s_cselect_b32 s0, s10, s3
	s_cselect_b32 s1, s9, s2
	v_mov_b32_e32 v1, s1
	v_mov_b32_e32 v2, s0
	flat_load_dwordx4 v[1:4], v[1:2]
	s_waitcnt vmcnt(0)
	v_cmp_eq_f64_e32 vcc, 0, v[5:6]
	v_cmp_eq_f64_e64 s[0:1], 0, v[7:8]
	s_and_b64 s[8:9], vcc, s[0:1]
	s_mov_b64 s[0:1], -1
	s_and_saveexec_b64 s[2:3], s[8:9]
	s_cbranch_execz .LBB456_2
; %bb.1:
	s_waitcnt lgkmcnt(0)
	v_cmp_neq_f64_e32 vcc, 1.0, v[1:2]
	v_cmp_neq_f64_e64 s[0:1], 0, v[3:4]
	s_or_b64 s[0:1], vcc, s[0:1]
	s_orn2_b64 s[0:1], s[0:1], exec
.LBB456_2:
	s_or_b64 exec, exec, s[2:3]
	s_and_saveexec_b64 s[2:3], s[0:1]
	s_cbranch_execz .LBB456_39
; %bb.3:
	s_load_dwordx4 s[0:3], s[4:5], 0x20
	s_load_dwordx2 s[8:9], s[4:5], 0x30
	s_waitcnt lgkmcnt(0)
	s_cmp_eq_u64 s[0:1], 0
	s_cbranch_scc1 .LBB456_5
; %bb.4:
	s_ashr_i32 s7, s6, 31
	s_lshl_b64 s[6:7], s[6:7], 2
	s_add_u32 s0, s0, s6
	s_addc_u32 s1, s1, s7
	s_load_dword s0, s[0:1], 0x0
	s_waitcnt lgkmcnt(0)
	s_sub_i32 s6, s0, s14
.LBB456_5:
	s_load_dword s7, s[4:5], 0x4
	s_load_dwordx2 s[12:13], s[4:5], 0x60
	v_mul_u32_u24_e32 v13, 0xa3e, v0
	v_mov_b32_e32 v9, 25
	v_mul_lo_u16_sdwa v9, v13, v9 dst_sel:DWORD dst_unused:UNUSED_PAD src0_sel:WORD_1 src1_sel:DWORD
	s_waitcnt lgkmcnt(0)
	s_cmp_eq_u32 s7, 1
	s_cselect_b64 s[0:1], -1, 0
	s_cmp_lg_u32 s7, 1
	s_cselect_b64 s[16:17], -1, 0
	s_ashr_i32 s7, s6, 31
	s_lshl_b64 s[10:11], s[6:7], 3
	s_add_u32 s2, s2, s10
	s_addc_u32 s3, s3, s11
	s_add_u32 s7, s2, 8
	s_addc_u32 s15, s3, 0
	;; [unrolled: 2-line block ×3, first 2 shown]
	s_cmp_eq_u64 s[8:9], 0
	s_cselect_b32 s9, s15, s11
	s_cselect_b32 s8, s7, s10
	s_load_dwordx2 s[18:19], s[8:9], 0x0
	s_load_dwordx2 s[20:21], s[2:3], 0x0
	v_sub_u16_e32 v20, v0, v9
	v_mov_b32_e32 v11, 0
	v_mov_b32_e32 v12, 0
	s_waitcnt lgkmcnt(0)
	v_mov_b32_e32 v9, s18
	v_mov_b32_e32 v10, s19
	v_cmp_ge_i64_e32 vcc, s[20:21], v[9:10]
	v_mov_b32_e32 v9, 0
	v_mov_b32_e32 v10, 0
	s_cbranch_vccnz .LBB456_10
; %bb.6:
	s_load_dwordx2 s[2:3], s[4:5], 0x48
	s_load_dwordx4 s[8:11], s[4:5], 0x38
	s_sub_u32 s4, s18, s14
	s_mov_b32 s7, 0xffff
	s_subb_u32 s5, s19, 0
	s_movk_i32 s15, 0x271
	v_and_b32_sdwa v9, s7, v13 dst_sel:DWORD dst_unused:UNUSED_PAD src0_sel:DWORD src1_sel:WORD_1
	v_subrev_u32_e32 v10, 25, v9
	v_cmp_gt_u32_e32 vcc, s15, v0
	s_sub_u32 s18, s20, s14
	v_cndmask_b32_e32 v9, v10, v9, vcc
	s_subb_u32 s19, s21, 0
	v_cndmask_b32_e64 v13, v20, v9, s[0:1]
	s_mul_i32 s0, s19, 0x1388
	s_mul_hi_u32 s1, s18, 0x1388
	s_add_i32 s1, s1, s0
	s_mul_i32 s0, s18, 0x1388
	s_waitcnt lgkmcnt(0)
	s_add_u32 s0, s10, s0
	s_addc_u32 s1, s11, s1
	v_lshlrev_b32_e32 v9, 3, v0
	v_mov_b32_e32 v10, s1
	v_add_co_u32_e32 v14, vcc, s0, v9
	v_addc_co_u32_e32 v15, vcc, 0, v10, vcc
	s_movk_i32 s0, 0x270
	v_cmp_lt_u32_e32 vcc, s0, v0
	v_cndmask_b32_e64 v21, 0, 1, vcc
	v_mov_b32_e32 v9, s21
	v_add_co_u32_e32 v10, vcc, s20, v21
	v_addc_co_u32_e32 v11, vcc, 0, v9, vcc
	v_subrev_co_u32_e32 v9, vcc, s14, v10
	v_subbrev_co_u32_e32 v10, vcc, 0, v11, vcc
	v_lshlrev_b64 v[9:10], 2, v[9:10]
	v_mov_b32_e32 v11, s9
	v_add_co_u32_e32 v16, vcc, s8, v9
	v_addc_co_u32_e32 v17, vcc, v11, v10, vcc
	v_mov_b32_e32 v11, 0
	v_mov_b32_e32 v12, 0
	s_mov_b32 s8, 0
	v_mov_b32_e32 v19, s5
	v_mov_b32_e32 v9, v11
	s_brev_b32 s9, 1
	v_mov_b32_e32 v18, s4
	v_mov_b32_e32 v10, v12
	s_branch .LBB456_8
.LBB456_7:                              ;   in Loop: Header=BB456_8 Depth=1
	s_or_b64 exec, exec, s[0:1]
	s_add_u32 s18, s18, 1
	s_addc_u32 s19, s19, 0
	v_cmp_lt_i64_e32 vcc, s[18:19], v[18:19]
	v_add_co_u32_e64 v16, s[0:1], 4, v16
	v_addc_co_u32_e64 v17, s[0:1], 0, v17, s[0:1]
	s_cbranch_vccz .LBB456_10
.LBB456_8:                              ; =>This Inner Loop Header: Depth=1
	v_mov_b32_e32 v23, s19
	v_add_co_u32_e32 v22, vcc, s18, v21
	v_addc_co_u32_e32 v23, vcc, 0, v23, vcc
	v_cmp_gt_i64_e32 vcc, s[4:5], v[22:23]
	s_and_saveexec_b64 s[0:1], vcc
	s_cbranch_execz .LBB456_7
; %bb.9:                                ;   in Loop: Header=BB456_8 Depth=1
	global_load_dword v22, v[16:17], off
	v_mov_b32_e32 v24, s3
	global_load_dwordx2 v[26:27], v[14:15], off
	s_waitcnt vmcnt(1)
	v_subrev_u32_e32 v22, s14, v22
	v_mad_u64_u32 v[22:23], s[10:11], v22, 25, v[13:14]
	v_ashrrev_i32_e32 v23, 31, v22
	v_lshlrev_b64 v[22:23], 4, v[22:23]
	v_add_co_u32_e32 v22, vcc, s2, v22
	v_addc_co_u32_e32 v23, vcc, v24, v23, vcc
	global_load_dwordx4 v[22:25], v[22:23], off
	v_add_co_u32_e32 v14, vcc, 0x1388, v14
	v_addc_co_u32_e32 v15, vcc, 0, v15, vcc
	s_waitcnt vmcnt(0)
	v_fma_f64 v[9:10], v[26:27], v[22:23], v[9:10]
	v_fma_f64 v[11:12], v[22:23], 0, v[11:12]
	;; [unrolled: 1-line block ×4, first 2 shown]
	s_branch .LBB456_7
.LBB456_10:
	v_lshlrev_b32_e32 v17, 4, v0
	s_and_b64 vcc, exec, s[16:17]
	ds_write_b128 v17, v[9:12]
	s_waitcnt lgkmcnt(0)
	s_barrier
	s_cbranch_vccz .LBB456_22
; %bb.11:
	v_cmp_gt_u16_e32 vcc, 9, v20
	s_and_saveexec_b64 s[0:1], vcc
	s_cbranch_execz .LBB456_13
; %bb.12:
	ds_read_b128 v[13:16], v17 offset:256
	ds_read_b128 v[21:24], v17
	s_waitcnt lgkmcnt(0)
	v_add_f64 v[13:14], v[13:14], v[21:22]
	v_add_f64 v[15:16], v[15:16], v[23:24]
	ds_write_b128 v17, v[13:16]
.LBB456_13:
	s_or_b64 exec, exec, s[0:1]
	v_cmp_gt_u16_e32 vcc, 8, v20
	s_waitcnt lgkmcnt(0)
	s_barrier
	s_and_saveexec_b64 s[0:1], vcc
	s_cbranch_execz .LBB456_15
; %bb.14:
	ds_read_b128 v[13:16], v17 offset:128
	ds_read_b128 v[21:24], v17
	s_waitcnt lgkmcnt(0)
	v_add_f64 v[13:14], v[13:14], v[21:22]
	v_add_f64 v[15:16], v[15:16], v[23:24]
	ds_write_b128 v17, v[13:16]
.LBB456_15:
	s_or_b64 exec, exec, s[0:1]
	v_cmp_gt_u16_e32 vcc, 4, v20
	s_waitcnt lgkmcnt(0)
	s_barrier
	;; [unrolled: 14-line block ×3, first 2 shown]
	s_and_saveexec_b64 s[0:1], vcc
	s_cbranch_execz .LBB456_19
; %bb.18:
	ds_read_b128 v[13:16], v17
	ds_read_b128 v[18:21], v17 offset:32
	s_waitcnt lgkmcnt(0)
	v_add_f64 v[13:14], v[18:19], v[13:14]
	v_add_f64 v[15:16], v[20:21], v[15:16]
	ds_write_b128 v17, v[13:16]
.LBB456_19:
	s_or_b64 exec, exec, s[0:1]
	v_mov_b32_e32 v16, v12
	v_mov_b32_e32 v14, v10
	v_cmp_gt_u32_e32 vcc, 25, v0
	v_mov_b32_e32 v15, v11
	v_mov_b32_e32 v13, v9
	s_waitcnt lgkmcnt(0)
	s_barrier
	s_and_saveexec_b64 s[0:1], vcc
	s_cbranch_execz .LBB456_21
; %bb.20:
	s_movk_i32 s2, 0x180
	v_mad_u32_u24 v18, v0, s2, v17
	ds_read_b128 v[13:16], v18
	ds_read_b128 v[18:21], v18 offset:16
	s_waitcnt lgkmcnt(0)
	v_add_f64 v[13:14], v[18:19], v[13:14]
	v_add_f64 v[15:16], v[20:21], v[15:16]
.LBB456_21:
	s_or_b64 exec, exec, s[0:1]
	s_branch .LBB456_34
.LBB456_22:
                                        ; implicit-def: $vgpr15_vgpr16
                                        ; implicit-def: $vgpr13_vgpr14
	s_cbranch_execz .LBB456_34
; %bb.23:
	s_movk_i32 s0, 0xe1
	v_cmp_gt_u32_e32 vcc, s0, v0
	s_and_saveexec_b64 s[0:1], vcc
	s_cbranch_execz .LBB456_25
; %bb.24:
	ds_read_b128 v[13:16], v17 offset:6400
	ds_read_b128 v[18:21], v17
	s_waitcnt lgkmcnt(0)
	v_add_f64 v[13:14], v[13:14], v[18:19]
	v_add_f64 v[15:16], v[15:16], v[20:21]
	ds_write_b128 v17, v[13:16]
.LBB456_25:
	s_or_b64 exec, exec, s[0:1]
	s_movk_i32 s0, 0xc8
	v_cmp_gt_u32_e32 vcc, s0, v0
	s_waitcnt lgkmcnt(0)
	s_barrier
	s_and_saveexec_b64 s[0:1], vcc
	s_cbranch_execz .LBB456_27
; %bb.26:
	ds_read_b128 v[13:16], v17 offset:3200
	ds_read_b128 v[18:21], v17
	s_waitcnt lgkmcnt(0)
	v_add_f64 v[13:14], v[13:14], v[18:19]
	v_add_f64 v[15:16], v[15:16], v[20:21]
	ds_write_b128 v17, v[13:16]
.LBB456_27:
	s_or_b64 exec, exec, s[0:1]
	s_movk_i32 s0, 0x64
	v_cmp_gt_u32_e32 vcc, s0, v0
	s_waitcnt lgkmcnt(0)
	s_barrier
	s_and_saveexec_b64 s[0:1], vcc
	s_cbranch_execz .LBB456_29
; %bb.28:
	ds_read_b128 v[13:16], v17 offset:1600
	ds_read_b128 v[18:21], v17
	s_waitcnt lgkmcnt(0)
	v_add_f64 v[13:14], v[13:14], v[18:19]
	v_add_f64 v[15:16], v[15:16], v[20:21]
	ds_write_b128 v17, v[13:16]
.LBB456_29:
	s_or_b64 exec, exec, s[0:1]
	v_cmp_gt_u32_e32 vcc, 50, v0
	s_waitcnt lgkmcnt(0)
	s_barrier
	s_and_saveexec_b64 s[0:1], vcc
	s_cbranch_execz .LBB456_31
; %bb.30:
	ds_read_b128 v[13:16], v17 offset:800
	ds_read_b128 v[18:21], v17
	s_waitcnt lgkmcnt(0)
	v_add_f64 v[13:14], v[13:14], v[18:19]
	v_add_f64 v[15:16], v[15:16], v[20:21]
	ds_write_b128 v17, v[13:16]
.LBB456_31:
	s_or_b64 exec, exec, s[0:1]
	v_cmp_gt_u32_e32 vcc, 25, v0
	s_waitcnt lgkmcnt(0)
	s_and_saveexec_b64 s[0:1], vcc
	s_cbranch_execz .LBB456_33
; %bb.32:
	ds_read_b128 v[9:12], v17 offset:400
	ds_read_b128 v[13:16], v17
	s_waitcnt lgkmcnt(0)
	v_add_f64 v[9:10], v[9:10], v[13:14]
	v_add_f64 v[11:12], v[11:12], v[15:16]
.LBB456_33:
	s_or_b64 exec, exec, s[0:1]
	v_mov_b32_e32 v16, v12
	v_mov_b32_e32 v14, v10
	;; [unrolled: 1-line block ×4, first 2 shown]
.LBB456_34:
	v_cmp_gt_u32_e32 vcc, 25, v0
	s_and_b64 exec, exec, vcc
	s_cbranch_execz .LBB456_39
; %bb.35:
	v_mul_f64 v[9:10], v[15:16], -v[7:8]
	v_mul_f64 v[11:12], v[5:6], v[15:16]
	v_cmp_eq_f64_e32 vcc, 0, v[1:2]
	v_cmp_eq_f64_e64 s[0:1], 0, v[3:4]
	v_fma_f64 v[5:6], v[5:6], v[13:14], v[9:10]
	v_fma_f64 v[7:8], v[7:8], v[13:14], v[11:12]
	s_and_b64 s[0:1], vcc, s[0:1]
	s_and_saveexec_b64 s[2:3], s[0:1]
	s_xor_b64 s[0:1], exec, s[2:3]
	s_cbranch_execz .LBB456_37
; %bb.36:
	v_mad_u64_u32 v[0:1], s[2:3], s6, 25, v[0:1]
	v_mov_b32_e32 v1, 0
	v_mov_b32_e32 v2, s13
	v_lshlrev_b64 v[0:1], 4, v[0:1]
	v_add_co_u32_e32 v0, vcc, s12, v0
	v_addc_co_u32_e32 v1, vcc, v2, v1, vcc
	global_store_dwordx4 v[0:1], v[5:8], off
                                        ; implicit-def: $vgpr0
                                        ; implicit-def: $vgpr1_vgpr2
                                        ; implicit-def: $vgpr5_vgpr6
.LBB456_37:
	s_andn2_saveexec_b64 s[0:1], s[0:1]
	s_cbranch_execz .LBB456_39
; %bb.38:
	v_mad_u64_u32 v[9:10], s[0:1], s6, 25, v[0:1]
	v_mov_b32_e32 v10, 0
	v_mov_b32_e32 v0, s13
	v_lshlrev_b64 v[9:10], 4, v[9:10]
	v_add_co_u32_e32 v13, vcc, s12, v9
	v_addc_co_u32_e32 v14, vcc, v0, v10, vcc
	global_load_dwordx4 v[9:12], v[13:14], off
	s_waitcnt vmcnt(0)
	v_fma_f64 v[5:6], v[1:2], v[9:10], v[5:6]
	v_fma_f64 v[7:8], v[3:4], v[9:10], v[7:8]
	v_fma_f64 v[3:4], -v[3:4], v[11:12], v[5:6]
	v_fma_f64 v[5:6], v[1:2], v[11:12], v[7:8]
	global_store_dwordx4 v[13:14], v[3:6], off
.LBB456_39:
	s_endpgm
	.section	.rodata,"a",@progbits
	.p2align	6, 0x0
	.amdhsa_kernel _ZN9rocsparseL20bsrxmvn_17_32_kernelILj25E21rocsparse_complex_numIdElidS2_S2_EEvT2_20rocsparse_direction_NS_24const_host_device_scalarIT0_EES3_PKS3_PKT1_SC_S9_PKT3_PKT4_S7_PT5_21rocsparse_index_base_b
		.amdhsa_group_segment_fixed_size 10000
		.amdhsa_private_segment_fixed_size 0
		.amdhsa_kernarg_size 112
		.amdhsa_user_sgpr_count 6
		.amdhsa_user_sgpr_private_segment_buffer 1
		.amdhsa_user_sgpr_dispatch_ptr 0
		.amdhsa_user_sgpr_queue_ptr 0
		.amdhsa_user_sgpr_kernarg_segment_ptr 1
		.amdhsa_user_sgpr_dispatch_id 0
		.amdhsa_user_sgpr_flat_scratch_init 0
		.amdhsa_user_sgpr_private_segment_size 0
		.amdhsa_uses_dynamic_stack 0
		.amdhsa_system_sgpr_private_segment_wavefront_offset 0
		.amdhsa_system_sgpr_workgroup_id_x 1
		.amdhsa_system_sgpr_workgroup_id_y 0
		.amdhsa_system_sgpr_workgroup_id_z 0
		.amdhsa_system_sgpr_workgroup_info 0
		.amdhsa_system_vgpr_workitem_id 0
		.amdhsa_next_free_vgpr 28
		.amdhsa_next_free_sgpr 22
		.amdhsa_reserve_vcc 1
		.amdhsa_reserve_flat_scratch 0
		.amdhsa_float_round_mode_32 0
		.amdhsa_float_round_mode_16_64 0
		.amdhsa_float_denorm_mode_32 3
		.amdhsa_float_denorm_mode_16_64 3
		.amdhsa_dx10_clamp 1
		.amdhsa_ieee_mode 1
		.amdhsa_fp16_overflow 0
		.amdhsa_exception_fp_ieee_invalid_op 0
		.amdhsa_exception_fp_denorm_src 0
		.amdhsa_exception_fp_ieee_div_zero 0
		.amdhsa_exception_fp_ieee_overflow 0
		.amdhsa_exception_fp_ieee_underflow 0
		.amdhsa_exception_fp_ieee_inexact 0
		.amdhsa_exception_int_div_zero 0
	.end_amdhsa_kernel
	.section	.text._ZN9rocsparseL20bsrxmvn_17_32_kernelILj25E21rocsparse_complex_numIdElidS2_S2_EEvT2_20rocsparse_direction_NS_24const_host_device_scalarIT0_EES3_PKS3_PKT1_SC_S9_PKT3_PKT4_S7_PT5_21rocsparse_index_base_b,"axG",@progbits,_ZN9rocsparseL20bsrxmvn_17_32_kernelILj25E21rocsparse_complex_numIdElidS2_S2_EEvT2_20rocsparse_direction_NS_24const_host_device_scalarIT0_EES3_PKS3_PKT1_SC_S9_PKT3_PKT4_S7_PT5_21rocsparse_index_base_b,comdat
.Lfunc_end456:
	.size	_ZN9rocsparseL20bsrxmvn_17_32_kernelILj25E21rocsparse_complex_numIdElidS2_S2_EEvT2_20rocsparse_direction_NS_24const_host_device_scalarIT0_EES3_PKS3_PKT1_SC_S9_PKT3_PKT4_S7_PT5_21rocsparse_index_base_b, .Lfunc_end456-_ZN9rocsparseL20bsrxmvn_17_32_kernelILj25E21rocsparse_complex_numIdElidS2_S2_EEvT2_20rocsparse_direction_NS_24const_host_device_scalarIT0_EES3_PKS3_PKT1_SC_S9_PKT3_PKT4_S7_PT5_21rocsparse_index_base_b
                                        ; -- End function
	.set _ZN9rocsparseL20bsrxmvn_17_32_kernelILj25E21rocsparse_complex_numIdElidS2_S2_EEvT2_20rocsparse_direction_NS_24const_host_device_scalarIT0_EES3_PKS3_PKT1_SC_S9_PKT3_PKT4_S7_PT5_21rocsparse_index_base_b.num_vgpr, 28
	.set _ZN9rocsparseL20bsrxmvn_17_32_kernelILj25E21rocsparse_complex_numIdElidS2_S2_EEvT2_20rocsparse_direction_NS_24const_host_device_scalarIT0_EES3_PKS3_PKT1_SC_S9_PKT3_PKT4_S7_PT5_21rocsparse_index_base_b.num_agpr, 0
	.set _ZN9rocsparseL20bsrxmvn_17_32_kernelILj25E21rocsparse_complex_numIdElidS2_S2_EEvT2_20rocsparse_direction_NS_24const_host_device_scalarIT0_EES3_PKS3_PKT1_SC_S9_PKT3_PKT4_S7_PT5_21rocsparse_index_base_b.numbered_sgpr, 22
	.set _ZN9rocsparseL20bsrxmvn_17_32_kernelILj25E21rocsparse_complex_numIdElidS2_S2_EEvT2_20rocsparse_direction_NS_24const_host_device_scalarIT0_EES3_PKS3_PKT1_SC_S9_PKT3_PKT4_S7_PT5_21rocsparse_index_base_b.num_named_barrier, 0
	.set _ZN9rocsparseL20bsrxmvn_17_32_kernelILj25E21rocsparse_complex_numIdElidS2_S2_EEvT2_20rocsparse_direction_NS_24const_host_device_scalarIT0_EES3_PKS3_PKT1_SC_S9_PKT3_PKT4_S7_PT5_21rocsparse_index_base_b.private_seg_size, 0
	.set _ZN9rocsparseL20bsrxmvn_17_32_kernelILj25E21rocsparse_complex_numIdElidS2_S2_EEvT2_20rocsparse_direction_NS_24const_host_device_scalarIT0_EES3_PKS3_PKT1_SC_S9_PKT3_PKT4_S7_PT5_21rocsparse_index_base_b.uses_vcc, 1
	.set _ZN9rocsparseL20bsrxmvn_17_32_kernelILj25E21rocsparse_complex_numIdElidS2_S2_EEvT2_20rocsparse_direction_NS_24const_host_device_scalarIT0_EES3_PKS3_PKT1_SC_S9_PKT3_PKT4_S7_PT5_21rocsparse_index_base_b.uses_flat_scratch, 0
	.set _ZN9rocsparseL20bsrxmvn_17_32_kernelILj25E21rocsparse_complex_numIdElidS2_S2_EEvT2_20rocsparse_direction_NS_24const_host_device_scalarIT0_EES3_PKS3_PKT1_SC_S9_PKT3_PKT4_S7_PT5_21rocsparse_index_base_b.has_dyn_sized_stack, 0
	.set _ZN9rocsparseL20bsrxmvn_17_32_kernelILj25E21rocsparse_complex_numIdElidS2_S2_EEvT2_20rocsparse_direction_NS_24const_host_device_scalarIT0_EES3_PKS3_PKT1_SC_S9_PKT3_PKT4_S7_PT5_21rocsparse_index_base_b.has_recursion, 0
	.set _ZN9rocsparseL20bsrxmvn_17_32_kernelILj25E21rocsparse_complex_numIdElidS2_S2_EEvT2_20rocsparse_direction_NS_24const_host_device_scalarIT0_EES3_PKS3_PKT1_SC_S9_PKT3_PKT4_S7_PT5_21rocsparse_index_base_b.has_indirect_call, 0
	.section	.AMDGPU.csdata,"",@progbits
; Kernel info:
; codeLenInByte = 1728
; TotalNumSgprs: 26
; NumVgprs: 28
; ScratchSize: 0
; MemoryBound: 0
; FloatMode: 240
; IeeeMode: 1
; LDSByteSize: 10000 bytes/workgroup (compile time only)
; SGPRBlocks: 3
; VGPRBlocks: 6
; NumSGPRsForWavesPerEU: 26
; NumVGPRsForWavesPerEU: 28
; Occupancy: 9
; WaveLimiterHint : 1
; COMPUTE_PGM_RSRC2:SCRATCH_EN: 0
; COMPUTE_PGM_RSRC2:USER_SGPR: 6
; COMPUTE_PGM_RSRC2:TRAP_HANDLER: 0
; COMPUTE_PGM_RSRC2:TGID_X_EN: 1
; COMPUTE_PGM_RSRC2:TGID_Y_EN: 0
; COMPUTE_PGM_RSRC2:TGID_Z_EN: 0
; COMPUTE_PGM_RSRC2:TIDIG_COMP_CNT: 0
	.section	.text._ZN9rocsparseL20bsrxmvn_17_32_kernelILj26E21rocsparse_complex_numIdElidS2_S2_EEvT2_20rocsparse_direction_NS_24const_host_device_scalarIT0_EES3_PKS3_PKT1_SC_S9_PKT3_PKT4_S7_PT5_21rocsparse_index_base_b,"axG",@progbits,_ZN9rocsparseL20bsrxmvn_17_32_kernelILj26E21rocsparse_complex_numIdElidS2_S2_EEvT2_20rocsparse_direction_NS_24const_host_device_scalarIT0_EES3_PKS3_PKT1_SC_S9_PKT3_PKT4_S7_PT5_21rocsparse_index_base_b,comdat
	.globl	_ZN9rocsparseL20bsrxmvn_17_32_kernelILj26E21rocsparse_complex_numIdElidS2_S2_EEvT2_20rocsparse_direction_NS_24const_host_device_scalarIT0_EES3_PKS3_PKT1_SC_S9_PKT3_PKT4_S7_PT5_21rocsparse_index_base_b ; -- Begin function _ZN9rocsparseL20bsrxmvn_17_32_kernelILj26E21rocsparse_complex_numIdElidS2_S2_EEvT2_20rocsparse_direction_NS_24const_host_device_scalarIT0_EES3_PKS3_PKT1_SC_S9_PKT3_PKT4_S7_PT5_21rocsparse_index_base_b
	.p2align	8
	.type	_ZN9rocsparseL20bsrxmvn_17_32_kernelILj26E21rocsparse_complex_numIdElidS2_S2_EEvT2_20rocsparse_direction_NS_24const_host_device_scalarIT0_EES3_PKS3_PKT1_SC_S9_PKT3_PKT4_S7_PT5_21rocsparse_index_base_b,@function
_ZN9rocsparseL20bsrxmvn_17_32_kernelILj26E21rocsparse_complex_numIdElidS2_S2_EEvT2_20rocsparse_direction_NS_24const_host_device_scalarIT0_EES3_PKS3_PKT1_SC_S9_PKT3_PKT4_S7_PT5_21rocsparse_index_base_b: ; @_ZN9rocsparseL20bsrxmvn_17_32_kernelILj26E21rocsparse_complex_numIdElidS2_S2_EEvT2_20rocsparse_direction_NS_24const_host_device_scalarIT0_EES3_PKS3_PKT1_SC_S9_PKT3_PKT4_S7_PT5_21rocsparse_index_base_b
; %bb.0:
	s_load_dwordx2 s[0:1], s[4:5], 0x8
	s_load_dwordx2 s[14:15], s[4:5], 0x68
	s_add_u32 s7, s4, 8
	s_addc_u32 s8, s5, 0
	s_add_u32 s9, s4, 0x50
	s_addc_u32 s10, s5, 0
	s_waitcnt lgkmcnt(0)
	s_bitcmp1_b32 s15, 0
	s_cselect_b32 s1, s8, s1
	s_cselect_b32 s0, s7, s0
	v_mov_b32_e32 v1, s0
	v_mov_b32_e32 v2, s1
	flat_load_dwordx4 v[5:8], v[1:2]
	s_load_dwordx2 s[2:3], s[4:5], 0x50
	s_waitcnt lgkmcnt(0)
	s_cselect_b32 s0, s10, s3
	s_cselect_b32 s1, s9, s2
	v_mov_b32_e32 v1, s1
	v_mov_b32_e32 v2, s0
	flat_load_dwordx4 v[1:4], v[1:2]
	s_waitcnt vmcnt(0)
	v_cmp_eq_f64_e32 vcc, 0, v[5:6]
	v_cmp_eq_f64_e64 s[0:1], 0, v[7:8]
	s_and_b64 s[8:9], vcc, s[0:1]
	s_mov_b64 s[0:1], -1
	s_and_saveexec_b64 s[2:3], s[8:9]
	s_cbranch_execz .LBB457_2
; %bb.1:
	s_waitcnt lgkmcnt(0)
	v_cmp_neq_f64_e32 vcc, 1.0, v[1:2]
	v_cmp_neq_f64_e64 s[0:1], 0, v[3:4]
	s_or_b64 s[0:1], vcc, s[0:1]
	s_orn2_b64 s[0:1], s[0:1], exec
.LBB457_2:
	s_or_b64 exec, exec, s[2:3]
	s_and_saveexec_b64 s[2:3], s[0:1]
	s_cbranch_execz .LBB457_39
; %bb.3:
	s_load_dwordx4 s[0:3], s[4:5], 0x20
	s_load_dwordx2 s[8:9], s[4:5], 0x30
	s_waitcnt lgkmcnt(0)
	s_cmp_eq_u64 s[0:1], 0
	s_cbranch_scc1 .LBB457_5
; %bb.4:
	s_ashr_i32 s7, s6, 31
	s_lshl_b64 s[6:7], s[6:7], 2
	s_add_u32 s0, s0, s6
	s_addc_u32 s1, s1, s7
	s_load_dword s0, s[0:1], 0x0
	s_waitcnt lgkmcnt(0)
	s_sub_i32 s6, s0, s14
.LBB457_5:
	s_load_dword s7, s[4:5], 0x4
	s_load_dwordx2 s[12:13], s[4:5], 0x60
	v_mul_u32_u24_e32 v13, 0x9d9, v0
	v_mov_b32_e32 v9, 26
	v_mul_lo_u16_sdwa v9, v13, v9 dst_sel:DWORD dst_unused:UNUSED_PAD src0_sel:WORD_1 src1_sel:DWORD
	s_waitcnt lgkmcnt(0)
	s_cmp_eq_u32 s7, 1
	s_cselect_b64 s[0:1], -1, 0
	s_cmp_lg_u32 s7, 1
	s_cselect_b64 s[16:17], -1, 0
	s_ashr_i32 s7, s6, 31
	s_lshl_b64 s[10:11], s[6:7], 3
	s_add_u32 s2, s2, s10
	s_addc_u32 s3, s3, s11
	s_add_u32 s7, s2, 8
	s_addc_u32 s15, s3, 0
	;; [unrolled: 2-line block ×3, first 2 shown]
	s_cmp_eq_u64 s[8:9], 0
	s_cselect_b32 s9, s15, s11
	s_cselect_b32 s8, s7, s10
	s_load_dwordx2 s[18:19], s[8:9], 0x0
	s_load_dwordx2 s[20:21], s[2:3], 0x0
	v_sub_u16_e32 v20, v0, v9
	v_mov_b32_e32 v11, 0
	v_mov_b32_e32 v12, 0
	s_waitcnt lgkmcnt(0)
	v_mov_b32_e32 v9, s18
	v_mov_b32_e32 v10, s19
	v_cmp_ge_i64_e32 vcc, s[20:21], v[9:10]
	v_mov_b32_e32 v9, 0
	v_mov_b32_e32 v10, 0
	s_cbranch_vccnz .LBB457_10
; %bb.6:
	s_load_dwordx2 s[2:3], s[4:5], 0x48
	s_load_dwordx4 s[8:11], s[4:5], 0x38
	s_sub_u32 s4, s18, s14
	s_mov_b32 s7, 0xffff
	s_subb_u32 s5, s19, 0
	s_movk_i32 s15, 0x2a4
	v_and_b32_sdwa v9, s7, v13 dst_sel:DWORD dst_unused:UNUSED_PAD src0_sel:DWORD src1_sel:WORD_1
	v_subrev_u32_e32 v10, 26, v9
	v_cmp_gt_u32_e32 vcc, s15, v0
	s_sub_u32 s18, s20, s14
	v_cndmask_b32_e32 v9, v10, v9, vcc
	s_subb_u32 s19, s21, 0
	v_cndmask_b32_e64 v13, v20, v9, s[0:1]
	s_mul_i32 s0, s19, 0x1520
	s_mul_hi_u32 s1, s18, 0x1520
	s_add_i32 s1, s1, s0
	s_mul_i32 s0, s18, 0x1520
	s_waitcnt lgkmcnt(0)
	s_add_u32 s0, s10, s0
	s_addc_u32 s1, s11, s1
	v_lshlrev_b32_e32 v9, 3, v0
	v_mov_b32_e32 v10, s1
	v_add_co_u32_e32 v14, vcc, s0, v9
	v_addc_co_u32_e32 v15, vcc, 0, v10, vcc
	s_movk_i32 s0, 0x2a3
	v_cmp_lt_u32_e32 vcc, s0, v0
	v_cndmask_b32_e64 v21, 0, 1, vcc
	v_mov_b32_e32 v9, s21
	v_add_co_u32_e32 v10, vcc, s20, v21
	v_addc_co_u32_e32 v11, vcc, 0, v9, vcc
	v_subrev_co_u32_e32 v9, vcc, s14, v10
	v_subbrev_co_u32_e32 v10, vcc, 0, v11, vcc
	v_lshlrev_b64 v[9:10], 2, v[9:10]
	v_mov_b32_e32 v11, s9
	v_add_co_u32_e32 v16, vcc, s8, v9
	v_addc_co_u32_e32 v17, vcc, v11, v10, vcc
	v_mov_b32_e32 v11, 0
	v_mov_b32_e32 v12, 0
	s_mov_b32 s8, 0
	v_mov_b32_e32 v19, s5
	v_mov_b32_e32 v9, v11
	s_brev_b32 s9, 1
	v_mov_b32_e32 v18, s4
	v_mov_b32_e32 v10, v12
	s_branch .LBB457_8
.LBB457_7:                              ;   in Loop: Header=BB457_8 Depth=1
	s_or_b64 exec, exec, s[0:1]
	s_add_u32 s18, s18, 1
	s_addc_u32 s19, s19, 0
	v_cmp_lt_i64_e32 vcc, s[18:19], v[18:19]
	v_add_co_u32_e64 v16, s[0:1], 4, v16
	v_addc_co_u32_e64 v17, s[0:1], 0, v17, s[0:1]
	s_cbranch_vccz .LBB457_10
.LBB457_8:                              ; =>This Inner Loop Header: Depth=1
	v_mov_b32_e32 v23, s19
	v_add_co_u32_e32 v22, vcc, s18, v21
	v_addc_co_u32_e32 v23, vcc, 0, v23, vcc
	v_cmp_gt_i64_e32 vcc, s[4:5], v[22:23]
	s_and_saveexec_b64 s[0:1], vcc
	s_cbranch_execz .LBB457_7
; %bb.9:                                ;   in Loop: Header=BB457_8 Depth=1
	global_load_dword v22, v[16:17], off
	v_mov_b32_e32 v24, s3
	global_load_dwordx2 v[26:27], v[14:15], off
	s_waitcnt vmcnt(1)
	v_subrev_u32_e32 v22, s14, v22
	v_mad_u64_u32 v[22:23], s[10:11], v22, 26, v[13:14]
	v_ashrrev_i32_e32 v23, 31, v22
	v_lshlrev_b64 v[22:23], 4, v[22:23]
	v_add_co_u32_e32 v22, vcc, s2, v22
	v_addc_co_u32_e32 v23, vcc, v24, v23, vcc
	global_load_dwordx4 v[22:25], v[22:23], off
	v_add_co_u32_e32 v14, vcc, 0x1520, v14
	v_addc_co_u32_e32 v15, vcc, 0, v15, vcc
	s_waitcnt vmcnt(0)
	v_fma_f64 v[9:10], v[26:27], v[22:23], v[9:10]
	v_fma_f64 v[11:12], v[22:23], 0, v[11:12]
	;; [unrolled: 1-line block ×4, first 2 shown]
	s_branch .LBB457_7
.LBB457_10:
	v_lshlrev_b32_e32 v17, 4, v0
	s_and_b64 vcc, exec, s[16:17]
	ds_write_b128 v17, v[9:12]
	s_waitcnt lgkmcnt(0)
	s_barrier
	s_cbranch_vccz .LBB457_22
; %bb.11:
	v_cmp_gt_u16_e32 vcc, 10, v20
	s_and_saveexec_b64 s[0:1], vcc
	s_cbranch_execz .LBB457_13
; %bb.12:
	ds_read_b128 v[13:16], v17 offset:256
	ds_read_b128 v[21:24], v17
	s_waitcnt lgkmcnt(0)
	v_add_f64 v[13:14], v[13:14], v[21:22]
	v_add_f64 v[15:16], v[15:16], v[23:24]
	ds_write_b128 v17, v[13:16]
.LBB457_13:
	s_or_b64 exec, exec, s[0:1]
	v_cmp_gt_u16_e32 vcc, 8, v20
	s_waitcnt lgkmcnt(0)
	s_barrier
	s_and_saveexec_b64 s[0:1], vcc
	s_cbranch_execz .LBB457_15
; %bb.14:
	ds_read_b128 v[13:16], v17 offset:128
	ds_read_b128 v[21:24], v17
	s_waitcnt lgkmcnt(0)
	v_add_f64 v[13:14], v[13:14], v[21:22]
	v_add_f64 v[15:16], v[15:16], v[23:24]
	ds_write_b128 v17, v[13:16]
.LBB457_15:
	s_or_b64 exec, exec, s[0:1]
	v_cmp_gt_u16_e32 vcc, 4, v20
	s_waitcnt lgkmcnt(0)
	s_barrier
	;; [unrolled: 14-line block ×3, first 2 shown]
	s_and_saveexec_b64 s[0:1], vcc
	s_cbranch_execz .LBB457_19
; %bb.18:
	ds_read_b128 v[13:16], v17
	ds_read_b128 v[18:21], v17 offset:32
	s_waitcnt lgkmcnt(0)
	v_add_f64 v[13:14], v[18:19], v[13:14]
	v_add_f64 v[15:16], v[20:21], v[15:16]
	ds_write_b128 v17, v[13:16]
.LBB457_19:
	s_or_b64 exec, exec, s[0:1]
	v_mov_b32_e32 v16, v12
	v_mov_b32_e32 v14, v10
	v_cmp_gt_u32_e32 vcc, 26, v0
	v_mov_b32_e32 v15, v11
	v_mov_b32_e32 v13, v9
	s_waitcnt lgkmcnt(0)
	s_barrier
	s_and_saveexec_b64 s[0:1], vcc
	s_cbranch_execz .LBB457_21
; %bb.20:
	s_movk_i32 s2, 0x190
	v_mad_u32_u24 v18, v0, s2, v17
	ds_read_b128 v[13:16], v18
	ds_read_b128 v[18:21], v18 offset:16
	s_waitcnt lgkmcnt(0)
	v_add_f64 v[13:14], v[18:19], v[13:14]
	v_add_f64 v[15:16], v[20:21], v[15:16]
.LBB457_21:
	s_or_b64 exec, exec, s[0:1]
	s_branch .LBB457_34
.LBB457_22:
                                        ; implicit-def: $vgpr15_vgpr16
                                        ; implicit-def: $vgpr13_vgpr14
	s_cbranch_execz .LBB457_34
; %bb.23:
	s_movk_i32 s0, 0x104
	v_cmp_gt_u32_e32 vcc, s0, v0
	s_and_saveexec_b64 s[0:1], vcc
	s_cbranch_execz .LBB457_25
; %bb.24:
	ds_read_b128 v[13:16], v17 offset:6656
	ds_read_b128 v[18:21], v17
	s_waitcnt lgkmcnt(0)
	v_add_f64 v[13:14], v[13:14], v[18:19]
	v_add_f64 v[15:16], v[15:16], v[20:21]
	ds_write_b128 v17, v[13:16]
.LBB457_25:
	s_or_b64 exec, exec, s[0:1]
	s_movk_i32 s0, 0xd0
	v_cmp_gt_u32_e32 vcc, s0, v0
	s_waitcnt lgkmcnt(0)
	s_barrier
	s_and_saveexec_b64 s[0:1], vcc
	s_cbranch_execz .LBB457_27
; %bb.26:
	ds_read_b128 v[13:16], v17 offset:3328
	ds_read_b128 v[18:21], v17
	s_waitcnt lgkmcnt(0)
	v_add_f64 v[13:14], v[13:14], v[18:19]
	v_add_f64 v[15:16], v[15:16], v[20:21]
	ds_write_b128 v17, v[13:16]
.LBB457_27:
	s_or_b64 exec, exec, s[0:1]
	s_movk_i32 s0, 0x68
	v_cmp_gt_u32_e32 vcc, s0, v0
	s_waitcnt lgkmcnt(0)
	s_barrier
	s_and_saveexec_b64 s[0:1], vcc
	s_cbranch_execz .LBB457_29
; %bb.28:
	ds_read_b128 v[13:16], v17 offset:1664
	ds_read_b128 v[18:21], v17
	s_waitcnt lgkmcnt(0)
	v_add_f64 v[13:14], v[13:14], v[18:19]
	v_add_f64 v[15:16], v[15:16], v[20:21]
	ds_write_b128 v17, v[13:16]
.LBB457_29:
	s_or_b64 exec, exec, s[0:1]
	v_cmp_gt_u32_e32 vcc, 52, v0
	s_waitcnt lgkmcnt(0)
	s_barrier
	s_and_saveexec_b64 s[0:1], vcc
	s_cbranch_execz .LBB457_31
; %bb.30:
	ds_read_b128 v[13:16], v17 offset:832
	ds_read_b128 v[18:21], v17
	s_waitcnt lgkmcnt(0)
	v_add_f64 v[13:14], v[13:14], v[18:19]
	v_add_f64 v[15:16], v[15:16], v[20:21]
	ds_write_b128 v17, v[13:16]
.LBB457_31:
	s_or_b64 exec, exec, s[0:1]
	v_cmp_gt_u32_e32 vcc, 26, v0
	s_waitcnt lgkmcnt(0)
	s_and_saveexec_b64 s[0:1], vcc
	s_cbranch_execz .LBB457_33
; %bb.32:
	ds_read_b128 v[9:12], v17 offset:416
	ds_read_b128 v[13:16], v17
	s_waitcnt lgkmcnt(0)
	v_add_f64 v[9:10], v[9:10], v[13:14]
	v_add_f64 v[11:12], v[11:12], v[15:16]
.LBB457_33:
	s_or_b64 exec, exec, s[0:1]
	v_mov_b32_e32 v16, v12
	v_mov_b32_e32 v14, v10
	;; [unrolled: 1-line block ×4, first 2 shown]
.LBB457_34:
	v_cmp_gt_u32_e32 vcc, 26, v0
	s_and_b64 exec, exec, vcc
	s_cbranch_execz .LBB457_39
; %bb.35:
	v_mul_f64 v[9:10], v[15:16], -v[7:8]
	v_mul_f64 v[11:12], v[5:6], v[15:16]
	v_cmp_eq_f64_e32 vcc, 0, v[1:2]
	v_cmp_eq_f64_e64 s[0:1], 0, v[3:4]
	v_fma_f64 v[5:6], v[5:6], v[13:14], v[9:10]
	v_fma_f64 v[7:8], v[7:8], v[13:14], v[11:12]
	s_and_b64 s[0:1], vcc, s[0:1]
	s_and_saveexec_b64 s[2:3], s[0:1]
	s_xor_b64 s[0:1], exec, s[2:3]
	s_cbranch_execz .LBB457_37
; %bb.36:
	v_mad_u64_u32 v[0:1], s[2:3], s6, 26, v[0:1]
	v_mov_b32_e32 v1, 0
	v_mov_b32_e32 v2, s13
	v_lshlrev_b64 v[0:1], 4, v[0:1]
	v_add_co_u32_e32 v0, vcc, s12, v0
	v_addc_co_u32_e32 v1, vcc, v2, v1, vcc
	global_store_dwordx4 v[0:1], v[5:8], off
                                        ; implicit-def: $vgpr0
                                        ; implicit-def: $vgpr1_vgpr2
                                        ; implicit-def: $vgpr5_vgpr6
.LBB457_37:
	s_andn2_saveexec_b64 s[0:1], s[0:1]
	s_cbranch_execz .LBB457_39
; %bb.38:
	v_mad_u64_u32 v[9:10], s[0:1], s6, 26, v[0:1]
	v_mov_b32_e32 v10, 0
	v_mov_b32_e32 v0, s13
	v_lshlrev_b64 v[9:10], 4, v[9:10]
	v_add_co_u32_e32 v13, vcc, s12, v9
	v_addc_co_u32_e32 v14, vcc, v0, v10, vcc
	global_load_dwordx4 v[9:12], v[13:14], off
	s_waitcnt vmcnt(0)
	v_fma_f64 v[5:6], v[1:2], v[9:10], v[5:6]
	v_fma_f64 v[7:8], v[3:4], v[9:10], v[7:8]
	v_fma_f64 v[3:4], -v[3:4], v[11:12], v[5:6]
	v_fma_f64 v[5:6], v[1:2], v[11:12], v[7:8]
	global_store_dwordx4 v[13:14], v[3:6], off
.LBB457_39:
	s_endpgm
	.section	.rodata,"a",@progbits
	.p2align	6, 0x0
	.amdhsa_kernel _ZN9rocsparseL20bsrxmvn_17_32_kernelILj26E21rocsparse_complex_numIdElidS2_S2_EEvT2_20rocsparse_direction_NS_24const_host_device_scalarIT0_EES3_PKS3_PKT1_SC_S9_PKT3_PKT4_S7_PT5_21rocsparse_index_base_b
		.amdhsa_group_segment_fixed_size 10816
		.amdhsa_private_segment_fixed_size 0
		.amdhsa_kernarg_size 112
		.amdhsa_user_sgpr_count 6
		.amdhsa_user_sgpr_private_segment_buffer 1
		.amdhsa_user_sgpr_dispatch_ptr 0
		.amdhsa_user_sgpr_queue_ptr 0
		.amdhsa_user_sgpr_kernarg_segment_ptr 1
		.amdhsa_user_sgpr_dispatch_id 0
		.amdhsa_user_sgpr_flat_scratch_init 0
		.amdhsa_user_sgpr_private_segment_size 0
		.amdhsa_uses_dynamic_stack 0
		.amdhsa_system_sgpr_private_segment_wavefront_offset 0
		.amdhsa_system_sgpr_workgroup_id_x 1
		.amdhsa_system_sgpr_workgroup_id_y 0
		.amdhsa_system_sgpr_workgroup_id_z 0
		.amdhsa_system_sgpr_workgroup_info 0
		.amdhsa_system_vgpr_workitem_id 0
		.amdhsa_next_free_vgpr 28
		.amdhsa_next_free_sgpr 61
		.amdhsa_reserve_vcc 1
		.amdhsa_reserve_flat_scratch 0
		.amdhsa_float_round_mode_32 0
		.amdhsa_float_round_mode_16_64 0
		.amdhsa_float_denorm_mode_32 3
		.amdhsa_float_denorm_mode_16_64 3
		.amdhsa_dx10_clamp 1
		.amdhsa_ieee_mode 1
		.amdhsa_fp16_overflow 0
		.amdhsa_exception_fp_ieee_invalid_op 0
		.amdhsa_exception_fp_denorm_src 0
		.amdhsa_exception_fp_ieee_div_zero 0
		.amdhsa_exception_fp_ieee_overflow 0
		.amdhsa_exception_fp_ieee_underflow 0
		.amdhsa_exception_fp_ieee_inexact 0
		.amdhsa_exception_int_div_zero 0
	.end_amdhsa_kernel
	.section	.text._ZN9rocsparseL20bsrxmvn_17_32_kernelILj26E21rocsparse_complex_numIdElidS2_S2_EEvT2_20rocsparse_direction_NS_24const_host_device_scalarIT0_EES3_PKS3_PKT1_SC_S9_PKT3_PKT4_S7_PT5_21rocsparse_index_base_b,"axG",@progbits,_ZN9rocsparseL20bsrxmvn_17_32_kernelILj26E21rocsparse_complex_numIdElidS2_S2_EEvT2_20rocsparse_direction_NS_24const_host_device_scalarIT0_EES3_PKS3_PKT1_SC_S9_PKT3_PKT4_S7_PT5_21rocsparse_index_base_b,comdat
.Lfunc_end457:
	.size	_ZN9rocsparseL20bsrxmvn_17_32_kernelILj26E21rocsparse_complex_numIdElidS2_S2_EEvT2_20rocsparse_direction_NS_24const_host_device_scalarIT0_EES3_PKS3_PKT1_SC_S9_PKT3_PKT4_S7_PT5_21rocsparse_index_base_b, .Lfunc_end457-_ZN9rocsparseL20bsrxmvn_17_32_kernelILj26E21rocsparse_complex_numIdElidS2_S2_EEvT2_20rocsparse_direction_NS_24const_host_device_scalarIT0_EES3_PKS3_PKT1_SC_S9_PKT3_PKT4_S7_PT5_21rocsparse_index_base_b
                                        ; -- End function
	.set _ZN9rocsparseL20bsrxmvn_17_32_kernelILj26E21rocsparse_complex_numIdElidS2_S2_EEvT2_20rocsparse_direction_NS_24const_host_device_scalarIT0_EES3_PKS3_PKT1_SC_S9_PKT3_PKT4_S7_PT5_21rocsparse_index_base_b.num_vgpr, 28
	.set _ZN9rocsparseL20bsrxmvn_17_32_kernelILj26E21rocsparse_complex_numIdElidS2_S2_EEvT2_20rocsparse_direction_NS_24const_host_device_scalarIT0_EES3_PKS3_PKT1_SC_S9_PKT3_PKT4_S7_PT5_21rocsparse_index_base_b.num_agpr, 0
	.set _ZN9rocsparseL20bsrxmvn_17_32_kernelILj26E21rocsparse_complex_numIdElidS2_S2_EEvT2_20rocsparse_direction_NS_24const_host_device_scalarIT0_EES3_PKS3_PKT1_SC_S9_PKT3_PKT4_S7_PT5_21rocsparse_index_base_b.numbered_sgpr, 22
	.set _ZN9rocsparseL20bsrxmvn_17_32_kernelILj26E21rocsparse_complex_numIdElidS2_S2_EEvT2_20rocsparse_direction_NS_24const_host_device_scalarIT0_EES3_PKS3_PKT1_SC_S9_PKT3_PKT4_S7_PT5_21rocsparse_index_base_b.num_named_barrier, 0
	.set _ZN9rocsparseL20bsrxmvn_17_32_kernelILj26E21rocsparse_complex_numIdElidS2_S2_EEvT2_20rocsparse_direction_NS_24const_host_device_scalarIT0_EES3_PKS3_PKT1_SC_S9_PKT3_PKT4_S7_PT5_21rocsparse_index_base_b.private_seg_size, 0
	.set _ZN9rocsparseL20bsrxmvn_17_32_kernelILj26E21rocsparse_complex_numIdElidS2_S2_EEvT2_20rocsparse_direction_NS_24const_host_device_scalarIT0_EES3_PKS3_PKT1_SC_S9_PKT3_PKT4_S7_PT5_21rocsparse_index_base_b.uses_vcc, 1
	.set _ZN9rocsparseL20bsrxmvn_17_32_kernelILj26E21rocsparse_complex_numIdElidS2_S2_EEvT2_20rocsparse_direction_NS_24const_host_device_scalarIT0_EES3_PKS3_PKT1_SC_S9_PKT3_PKT4_S7_PT5_21rocsparse_index_base_b.uses_flat_scratch, 0
	.set _ZN9rocsparseL20bsrxmvn_17_32_kernelILj26E21rocsparse_complex_numIdElidS2_S2_EEvT2_20rocsparse_direction_NS_24const_host_device_scalarIT0_EES3_PKS3_PKT1_SC_S9_PKT3_PKT4_S7_PT5_21rocsparse_index_base_b.has_dyn_sized_stack, 0
	.set _ZN9rocsparseL20bsrxmvn_17_32_kernelILj26E21rocsparse_complex_numIdElidS2_S2_EEvT2_20rocsparse_direction_NS_24const_host_device_scalarIT0_EES3_PKS3_PKT1_SC_S9_PKT3_PKT4_S7_PT5_21rocsparse_index_base_b.has_recursion, 0
	.set _ZN9rocsparseL20bsrxmvn_17_32_kernelILj26E21rocsparse_complex_numIdElidS2_S2_EEvT2_20rocsparse_direction_NS_24const_host_device_scalarIT0_EES3_PKS3_PKT1_SC_S9_PKT3_PKT4_S7_PT5_21rocsparse_index_base_b.has_indirect_call, 0
	.section	.AMDGPU.csdata,"",@progbits
; Kernel info:
; codeLenInByte = 1728
; TotalNumSgprs: 26
; NumVgprs: 28
; ScratchSize: 0
; MemoryBound: 0
; FloatMode: 240
; IeeeMode: 1
; LDSByteSize: 10816 bytes/workgroup (compile time only)
; SGPRBlocks: 8
; VGPRBlocks: 6
; NumSGPRsForWavesPerEU: 65
; NumVGPRsForWavesPerEU: 28
; Occupancy: 9
; WaveLimiterHint : 1
; COMPUTE_PGM_RSRC2:SCRATCH_EN: 0
; COMPUTE_PGM_RSRC2:USER_SGPR: 6
; COMPUTE_PGM_RSRC2:TRAP_HANDLER: 0
; COMPUTE_PGM_RSRC2:TGID_X_EN: 1
; COMPUTE_PGM_RSRC2:TGID_Y_EN: 0
; COMPUTE_PGM_RSRC2:TGID_Z_EN: 0
; COMPUTE_PGM_RSRC2:TIDIG_COMP_CNT: 0
	.section	.text._ZN9rocsparseL20bsrxmvn_17_32_kernelILj27E21rocsparse_complex_numIdElidS2_S2_EEvT2_20rocsparse_direction_NS_24const_host_device_scalarIT0_EES3_PKS3_PKT1_SC_S9_PKT3_PKT4_S7_PT5_21rocsparse_index_base_b,"axG",@progbits,_ZN9rocsparseL20bsrxmvn_17_32_kernelILj27E21rocsparse_complex_numIdElidS2_S2_EEvT2_20rocsparse_direction_NS_24const_host_device_scalarIT0_EES3_PKS3_PKT1_SC_S9_PKT3_PKT4_S7_PT5_21rocsparse_index_base_b,comdat
	.globl	_ZN9rocsparseL20bsrxmvn_17_32_kernelILj27E21rocsparse_complex_numIdElidS2_S2_EEvT2_20rocsparse_direction_NS_24const_host_device_scalarIT0_EES3_PKS3_PKT1_SC_S9_PKT3_PKT4_S7_PT5_21rocsparse_index_base_b ; -- Begin function _ZN9rocsparseL20bsrxmvn_17_32_kernelILj27E21rocsparse_complex_numIdElidS2_S2_EEvT2_20rocsparse_direction_NS_24const_host_device_scalarIT0_EES3_PKS3_PKT1_SC_S9_PKT3_PKT4_S7_PT5_21rocsparse_index_base_b
	.p2align	8
	.type	_ZN9rocsparseL20bsrxmvn_17_32_kernelILj27E21rocsparse_complex_numIdElidS2_S2_EEvT2_20rocsparse_direction_NS_24const_host_device_scalarIT0_EES3_PKS3_PKT1_SC_S9_PKT3_PKT4_S7_PT5_21rocsparse_index_base_b,@function
_ZN9rocsparseL20bsrxmvn_17_32_kernelILj27E21rocsparse_complex_numIdElidS2_S2_EEvT2_20rocsparse_direction_NS_24const_host_device_scalarIT0_EES3_PKS3_PKT1_SC_S9_PKT3_PKT4_S7_PT5_21rocsparse_index_base_b: ; @_ZN9rocsparseL20bsrxmvn_17_32_kernelILj27E21rocsparse_complex_numIdElidS2_S2_EEvT2_20rocsparse_direction_NS_24const_host_device_scalarIT0_EES3_PKS3_PKT1_SC_S9_PKT3_PKT4_S7_PT5_21rocsparse_index_base_b
; %bb.0:
	s_load_dwordx2 s[0:1], s[4:5], 0x8
	s_load_dwordx2 s[14:15], s[4:5], 0x68
	s_add_u32 s7, s4, 8
	s_addc_u32 s8, s5, 0
	s_add_u32 s9, s4, 0x50
	s_addc_u32 s10, s5, 0
	s_waitcnt lgkmcnt(0)
	s_bitcmp1_b32 s15, 0
	s_cselect_b32 s1, s8, s1
	s_cselect_b32 s0, s7, s0
	v_mov_b32_e32 v1, s0
	v_mov_b32_e32 v2, s1
	flat_load_dwordx4 v[5:8], v[1:2]
	s_load_dwordx2 s[2:3], s[4:5], 0x50
	s_waitcnt lgkmcnt(0)
	s_cselect_b32 s0, s10, s3
	s_cselect_b32 s1, s9, s2
	v_mov_b32_e32 v1, s1
	v_mov_b32_e32 v2, s0
	flat_load_dwordx4 v[1:4], v[1:2]
	s_waitcnt vmcnt(0)
	v_cmp_eq_f64_e32 vcc, 0, v[5:6]
	v_cmp_eq_f64_e64 s[0:1], 0, v[7:8]
	s_and_b64 s[8:9], vcc, s[0:1]
	s_mov_b64 s[0:1], -1
	s_and_saveexec_b64 s[2:3], s[8:9]
	s_cbranch_execz .LBB458_2
; %bb.1:
	s_waitcnt lgkmcnt(0)
	v_cmp_neq_f64_e32 vcc, 1.0, v[1:2]
	v_cmp_neq_f64_e64 s[0:1], 0, v[3:4]
	s_or_b64 s[0:1], vcc, s[0:1]
	s_orn2_b64 s[0:1], s[0:1], exec
.LBB458_2:
	s_or_b64 exec, exec, s[2:3]
	s_and_saveexec_b64 s[2:3], s[0:1]
	s_cbranch_execz .LBB458_39
; %bb.3:
	s_load_dwordx4 s[0:3], s[4:5], 0x20
	s_load_dwordx2 s[8:9], s[4:5], 0x30
	s_waitcnt lgkmcnt(0)
	s_cmp_eq_u64 s[0:1], 0
	s_cbranch_scc1 .LBB458_5
; %bb.4:
	s_ashr_i32 s7, s6, 31
	s_lshl_b64 s[6:7], s[6:7], 2
	s_add_u32 s0, s0, s6
	s_addc_u32 s1, s1, s7
	s_load_dword s0, s[0:1], 0x0
	s_waitcnt lgkmcnt(0)
	s_sub_i32 s6, s0, s14
.LBB458_5:
	s_load_dword s7, s[4:5], 0x4
	s_load_dwordx2 s[12:13], s[4:5], 0x60
	v_mul_u32_u24_e32 v13, 0x97c, v0
	v_mov_b32_e32 v9, 27
	v_mul_lo_u16_sdwa v9, v13, v9 dst_sel:DWORD dst_unused:UNUSED_PAD src0_sel:WORD_1 src1_sel:DWORD
	s_waitcnt lgkmcnt(0)
	s_cmp_eq_u32 s7, 1
	s_cselect_b64 s[0:1], -1, 0
	s_cmp_lg_u32 s7, 1
	s_cselect_b64 s[16:17], -1, 0
	s_ashr_i32 s7, s6, 31
	s_lshl_b64 s[10:11], s[6:7], 3
	s_add_u32 s2, s2, s10
	s_addc_u32 s3, s3, s11
	s_add_u32 s7, s2, 8
	s_addc_u32 s15, s3, 0
	;; [unrolled: 2-line block ×3, first 2 shown]
	s_cmp_eq_u64 s[8:9], 0
	s_cselect_b32 s9, s15, s11
	s_cselect_b32 s8, s7, s10
	s_load_dwordx2 s[18:19], s[8:9], 0x0
	s_load_dwordx2 s[20:21], s[2:3], 0x0
	v_sub_u16_e32 v20, v0, v9
	v_mov_b32_e32 v11, 0
	v_mov_b32_e32 v12, 0
	s_waitcnt lgkmcnt(0)
	v_mov_b32_e32 v9, s18
	v_mov_b32_e32 v10, s19
	v_cmp_ge_i64_e32 vcc, s[20:21], v[9:10]
	v_mov_b32_e32 v9, 0
	v_mov_b32_e32 v10, 0
	s_cbranch_vccnz .LBB458_10
; %bb.6:
	s_load_dwordx2 s[2:3], s[4:5], 0x48
	s_load_dwordx4 s[8:11], s[4:5], 0x38
	s_sub_u32 s4, s18, s14
	s_mov_b32 s7, 0xffff
	s_subb_u32 s5, s19, 0
	s_movk_i32 s15, 0x2d9
	v_and_b32_sdwa v9, s7, v13 dst_sel:DWORD dst_unused:UNUSED_PAD src0_sel:DWORD src1_sel:WORD_1
	v_subrev_u32_e32 v10, 27, v9
	v_cmp_gt_u32_e32 vcc, s15, v0
	s_sub_u32 s18, s20, s14
	v_cndmask_b32_e32 v9, v10, v9, vcc
	s_subb_u32 s19, s21, 0
	v_cndmask_b32_e64 v13, v20, v9, s[0:1]
	s_mul_i32 s0, s19, 0x16c8
	s_mul_hi_u32 s1, s18, 0x16c8
	s_add_i32 s1, s1, s0
	s_mul_i32 s0, s18, 0x16c8
	s_waitcnt lgkmcnt(0)
	s_add_u32 s0, s10, s0
	s_addc_u32 s1, s11, s1
	v_lshlrev_b32_e32 v9, 3, v0
	v_mov_b32_e32 v10, s1
	v_add_co_u32_e32 v14, vcc, s0, v9
	v_addc_co_u32_e32 v15, vcc, 0, v10, vcc
	s_movk_i32 s0, 0x2d8
	v_cmp_lt_u32_e32 vcc, s0, v0
	v_cndmask_b32_e64 v21, 0, 1, vcc
	v_mov_b32_e32 v9, s21
	v_add_co_u32_e32 v10, vcc, s20, v21
	v_addc_co_u32_e32 v11, vcc, 0, v9, vcc
	v_subrev_co_u32_e32 v9, vcc, s14, v10
	v_subbrev_co_u32_e32 v10, vcc, 0, v11, vcc
	v_lshlrev_b64 v[9:10], 2, v[9:10]
	v_mov_b32_e32 v11, s9
	v_add_co_u32_e32 v16, vcc, s8, v9
	v_addc_co_u32_e32 v17, vcc, v11, v10, vcc
	v_mov_b32_e32 v11, 0
	v_mov_b32_e32 v12, 0
	s_mov_b32 s8, 0
	v_mov_b32_e32 v19, s5
	v_mov_b32_e32 v9, v11
	s_brev_b32 s9, 1
	v_mov_b32_e32 v18, s4
	v_mov_b32_e32 v10, v12
	s_branch .LBB458_8
.LBB458_7:                              ;   in Loop: Header=BB458_8 Depth=1
	s_or_b64 exec, exec, s[0:1]
	s_add_u32 s18, s18, 1
	s_addc_u32 s19, s19, 0
	v_cmp_lt_i64_e32 vcc, s[18:19], v[18:19]
	v_add_co_u32_e64 v16, s[0:1], 4, v16
	v_addc_co_u32_e64 v17, s[0:1], 0, v17, s[0:1]
	s_cbranch_vccz .LBB458_10
.LBB458_8:                              ; =>This Inner Loop Header: Depth=1
	v_mov_b32_e32 v23, s19
	v_add_co_u32_e32 v22, vcc, s18, v21
	v_addc_co_u32_e32 v23, vcc, 0, v23, vcc
	v_cmp_gt_i64_e32 vcc, s[4:5], v[22:23]
	s_and_saveexec_b64 s[0:1], vcc
	s_cbranch_execz .LBB458_7
; %bb.9:                                ;   in Loop: Header=BB458_8 Depth=1
	global_load_dword v22, v[16:17], off
	v_mov_b32_e32 v24, s3
	global_load_dwordx2 v[26:27], v[14:15], off
	s_waitcnt vmcnt(1)
	v_subrev_u32_e32 v22, s14, v22
	v_mad_u64_u32 v[22:23], s[10:11], v22, 27, v[13:14]
	v_ashrrev_i32_e32 v23, 31, v22
	v_lshlrev_b64 v[22:23], 4, v[22:23]
	v_add_co_u32_e32 v22, vcc, s2, v22
	v_addc_co_u32_e32 v23, vcc, v24, v23, vcc
	global_load_dwordx4 v[22:25], v[22:23], off
	v_add_co_u32_e32 v14, vcc, 0x16c8, v14
	v_addc_co_u32_e32 v15, vcc, 0, v15, vcc
	s_waitcnt vmcnt(0)
	v_fma_f64 v[9:10], v[26:27], v[22:23], v[9:10]
	v_fma_f64 v[11:12], v[22:23], 0, v[11:12]
	;; [unrolled: 1-line block ×4, first 2 shown]
	s_branch .LBB458_7
.LBB458_10:
	v_lshlrev_b32_e32 v17, 4, v0
	s_and_b64 vcc, exec, s[16:17]
	ds_write_b128 v17, v[9:12]
	s_waitcnt lgkmcnt(0)
	s_barrier
	s_cbranch_vccz .LBB458_22
; %bb.11:
	v_cmp_gt_u16_e32 vcc, 11, v20
	s_and_saveexec_b64 s[0:1], vcc
	s_cbranch_execz .LBB458_13
; %bb.12:
	ds_read_b128 v[13:16], v17 offset:256
	ds_read_b128 v[21:24], v17
	s_waitcnt lgkmcnt(0)
	v_add_f64 v[13:14], v[13:14], v[21:22]
	v_add_f64 v[15:16], v[15:16], v[23:24]
	ds_write_b128 v17, v[13:16]
.LBB458_13:
	s_or_b64 exec, exec, s[0:1]
	v_cmp_gt_u16_e32 vcc, 8, v20
	s_waitcnt lgkmcnt(0)
	s_barrier
	s_and_saveexec_b64 s[0:1], vcc
	s_cbranch_execz .LBB458_15
; %bb.14:
	ds_read_b128 v[13:16], v17 offset:128
	ds_read_b128 v[21:24], v17
	s_waitcnt lgkmcnt(0)
	v_add_f64 v[13:14], v[13:14], v[21:22]
	v_add_f64 v[15:16], v[15:16], v[23:24]
	ds_write_b128 v17, v[13:16]
.LBB458_15:
	s_or_b64 exec, exec, s[0:1]
	v_cmp_gt_u16_e32 vcc, 4, v20
	s_waitcnt lgkmcnt(0)
	s_barrier
	;; [unrolled: 14-line block ×3, first 2 shown]
	s_and_saveexec_b64 s[0:1], vcc
	s_cbranch_execz .LBB458_19
; %bb.18:
	ds_read_b128 v[13:16], v17
	ds_read_b128 v[18:21], v17 offset:32
	s_waitcnt lgkmcnt(0)
	v_add_f64 v[13:14], v[18:19], v[13:14]
	v_add_f64 v[15:16], v[20:21], v[15:16]
	ds_write_b128 v17, v[13:16]
.LBB458_19:
	s_or_b64 exec, exec, s[0:1]
	v_mov_b32_e32 v16, v12
	v_mov_b32_e32 v14, v10
	v_cmp_gt_u32_e32 vcc, 27, v0
	v_mov_b32_e32 v15, v11
	v_mov_b32_e32 v13, v9
	s_waitcnt lgkmcnt(0)
	s_barrier
	s_and_saveexec_b64 s[0:1], vcc
	s_cbranch_execz .LBB458_21
; %bb.20:
	s_movk_i32 s2, 0x1a0
	v_mad_u32_u24 v18, v0, s2, v17
	ds_read_b128 v[13:16], v18
	ds_read_b128 v[18:21], v18 offset:16
	s_waitcnt lgkmcnt(0)
	v_add_f64 v[13:14], v[18:19], v[13:14]
	v_add_f64 v[15:16], v[20:21], v[15:16]
.LBB458_21:
	s_or_b64 exec, exec, s[0:1]
	s_branch .LBB458_34
.LBB458_22:
                                        ; implicit-def: $vgpr15_vgpr16
                                        ; implicit-def: $vgpr13_vgpr14
	s_cbranch_execz .LBB458_34
; %bb.23:
	s_movk_i32 s0, 0x129
	v_cmp_gt_u32_e32 vcc, s0, v0
	s_and_saveexec_b64 s[0:1], vcc
	s_cbranch_execz .LBB458_25
; %bb.24:
	ds_read_b128 v[13:16], v17 offset:6912
	ds_read_b128 v[18:21], v17
	s_waitcnt lgkmcnt(0)
	v_add_f64 v[13:14], v[13:14], v[18:19]
	v_add_f64 v[15:16], v[15:16], v[20:21]
	ds_write_b128 v17, v[13:16]
.LBB458_25:
	s_or_b64 exec, exec, s[0:1]
	s_movk_i32 s0, 0xd8
	v_cmp_gt_u32_e32 vcc, s0, v0
	s_waitcnt lgkmcnt(0)
	s_barrier
	s_and_saveexec_b64 s[0:1], vcc
	s_cbranch_execz .LBB458_27
; %bb.26:
	ds_read_b128 v[13:16], v17 offset:3456
	ds_read_b128 v[18:21], v17
	s_waitcnt lgkmcnt(0)
	v_add_f64 v[13:14], v[13:14], v[18:19]
	v_add_f64 v[15:16], v[15:16], v[20:21]
	ds_write_b128 v17, v[13:16]
.LBB458_27:
	s_or_b64 exec, exec, s[0:1]
	s_movk_i32 s0, 0x6c
	v_cmp_gt_u32_e32 vcc, s0, v0
	s_waitcnt lgkmcnt(0)
	s_barrier
	s_and_saveexec_b64 s[0:1], vcc
	s_cbranch_execz .LBB458_29
; %bb.28:
	ds_read_b128 v[13:16], v17 offset:1728
	ds_read_b128 v[18:21], v17
	s_waitcnt lgkmcnt(0)
	v_add_f64 v[13:14], v[13:14], v[18:19]
	v_add_f64 v[15:16], v[15:16], v[20:21]
	ds_write_b128 v17, v[13:16]
.LBB458_29:
	s_or_b64 exec, exec, s[0:1]
	v_cmp_gt_u32_e32 vcc, 54, v0
	s_waitcnt lgkmcnt(0)
	s_barrier
	s_and_saveexec_b64 s[0:1], vcc
	s_cbranch_execz .LBB458_31
; %bb.30:
	ds_read_b128 v[13:16], v17 offset:864
	ds_read_b128 v[18:21], v17
	s_waitcnt lgkmcnt(0)
	v_add_f64 v[13:14], v[13:14], v[18:19]
	v_add_f64 v[15:16], v[15:16], v[20:21]
	ds_write_b128 v17, v[13:16]
.LBB458_31:
	s_or_b64 exec, exec, s[0:1]
	v_cmp_gt_u32_e32 vcc, 27, v0
	s_waitcnt lgkmcnt(0)
	s_and_saveexec_b64 s[0:1], vcc
	s_cbranch_execz .LBB458_33
; %bb.32:
	ds_read_b128 v[9:12], v17 offset:432
	ds_read_b128 v[13:16], v17
	s_waitcnt lgkmcnt(0)
	v_add_f64 v[9:10], v[9:10], v[13:14]
	v_add_f64 v[11:12], v[11:12], v[15:16]
.LBB458_33:
	s_or_b64 exec, exec, s[0:1]
	v_mov_b32_e32 v16, v12
	v_mov_b32_e32 v14, v10
	;; [unrolled: 1-line block ×4, first 2 shown]
.LBB458_34:
	v_cmp_gt_u32_e32 vcc, 27, v0
	s_and_b64 exec, exec, vcc
	s_cbranch_execz .LBB458_39
; %bb.35:
	v_mul_f64 v[9:10], v[15:16], -v[7:8]
	v_mul_f64 v[11:12], v[5:6], v[15:16]
	v_cmp_eq_f64_e32 vcc, 0, v[1:2]
	v_cmp_eq_f64_e64 s[0:1], 0, v[3:4]
	v_fma_f64 v[5:6], v[5:6], v[13:14], v[9:10]
	v_fma_f64 v[7:8], v[7:8], v[13:14], v[11:12]
	s_and_b64 s[0:1], vcc, s[0:1]
	s_and_saveexec_b64 s[2:3], s[0:1]
	s_xor_b64 s[0:1], exec, s[2:3]
	s_cbranch_execz .LBB458_37
; %bb.36:
	v_mad_u64_u32 v[0:1], s[2:3], s6, 27, v[0:1]
	v_mov_b32_e32 v1, 0
	v_mov_b32_e32 v2, s13
	v_lshlrev_b64 v[0:1], 4, v[0:1]
	v_add_co_u32_e32 v0, vcc, s12, v0
	v_addc_co_u32_e32 v1, vcc, v2, v1, vcc
	global_store_dwordx4 v[0:1], v[5:8], off
                                        ; implicit-def: $vgpr0
                                        ; implicit-def: $vgpr1_vgpr2
                                        ; implicit-def: $vgpr5_vgpr6
.LBB458_37:
	s_andn2_saveexec_b64 s[0:1], s[0:1]
	s_cbranch_execz .LBB458_39
; %bb.38:
	v_mad_u64_u32 v[9:10], s[0:1], s6, 27, v[0:1]
	v_mov_b32_e32 v10, 0
	v_mov_b32_e32 v0, s13
	v_lshlrev_b64 v[9:10], 4, v[9:10]
	v_add_co_u32_e32 v13, vcc, s12, v9
	v_addc_co_u32_e32 v14, vcc, v0, v10, vcc
	global_load_dwordx4 v[9:12], v[13:14], off
	s_waitcnt vmcnt(0)
	v_fma_f64 v[5:6], v[1:2], v[9:10], v[5:6]
	v_fma_f64 v[7:8], v[3:4], v[9:10], v[7:8]
	v_fma_f64 v[3:4], -v[3:4], v[11:12], v[5:6]
	v_fma_f64 v[5:6], v[1:2], v[11:12], v[7:8]
	global_store_dwordx4 v[13:14], v[3:6], off
.LBB458_39:
	s_endpgm
	.section	.rodata,"a",@progbits
	.p2align	6, 0x0
	.amdhsa_kernel _ZN9rocsparseL20bsrxmvn_17_32_kernelILj27E21rocsparse_complex_numIdElidS2_S2_EEvT2_20rocsparse_direction_NS_24const_host_device_scalarIT0_EES3_PKS3_PKT1_SC_S9_PKT3_PKT4_S7_PT5_21rocsparse_index_base_b
		.amdhsa_group_segment_fixed_size 11664
		.amdhsa_private_segment_fixed_size 0
		.amdhsa_kernarg_size 112
		.amdhsa_user_sgpr_count 6
		.amdhsa_user_sgpr_private_segment_buffer 1
		.amdhsa_user_sgpr_dispatch_ptr 0
		.amdhsa_user_sgpr_queue_ptr 0
		.amdhsa_user_sgpr_kernarg_segment_ptr 1
		.amdhsa_user_sgpr_dispatch_id 0
		.amdhsa_user_sgpr_flat_scratch_init 0
		.amdhsa_user_sgpr_private_segment_size 0
		.amdhsa_uses_dynamic_stack 0
		.amdhsa_system_sgpr_private_segment_wavefront_offset 0
		.amdhsa_system_sgpr_workgroup_id_x 1
		.amdhsa_system_sgpr_workgroup_id_y 0
		.amdhsa_system_sgpr_workgroup_id_z 0
		.amdhsa_system_sgpr_workgroup_info 0
		.amdhsa_system_vgpr_workitem_id 0
		.amdhsa_next_free_vgpr 28
		.amdhsa_next_free_sgpr 61
		.amdhsa_reserve_vcc 1
		.amdhsa_reserve_flat_scratch 0
		.amdhsa_float_round_mode_32 0
		.amdhsa_float_round_mode_16_64 0
		.amdhsa_float_denorm_mode_32 3
		.amdhsa_float_denorm_mode_16_64 3
		.amdhsa_dx10_clamp 1
		.amdhsa_ieee_mode 1
		.amdhsa_fp16_overflow 0
		.amdhsa_exception_fp_ieee_invalid_op 0
		.amdhsa_exception_fp_denorm_src 0
		.amdhsa_exception_fp_ieee_div_zero 0
		.amdhsa_exception_fp_ieee_overflow 0
		.amdhsa_exception_fp_ieee_underflow 0
		.amdhsa_exception_fp_ieee_inexact 0
		.amdhsa_exception_int_div_zero 0
	.end_amdhsa_kernel
	.section	.text._ZN9rocsparseL20bsrxmvn_17_32_kernelILj27E21rocsparse_complex_numIdElidS2_S2_EEvT2_20rocsparse_direction_NS_24const_host_device_scalarIT0_EES3_PKS3_PKT1_SC_S9_PKT3_PKT4_S7_PT5_21rocsparse_index_base_b,"axG",@progbits,_ZN9rocsparseL20bsrxmvn_17_32_kernelILj27E21rocsparse_complex_numIdElidS2_S2_EEvT2_20rocsparse_direction_NS_24const_host_device_scalarIT0_EES3_PKS3_PKT1_SC_S9_PKT3_PKT4_S7_PT5_21rocsparse_index_base_b,comdat
.Lfunc_end458:
	.size	_ZN9rocsparseL20bsrxmvn_17_32_kernelILj27E21rocsparse_complex_numIdElidS2_S2_EEvT2_20rocsparse_direction_NS_24const_host_device_scalarIT0_EES3_PKS3_PKT1_SC_S9_PKT3_PKT4_S7_PT5_21rocsparse_index_base_b, .Lfunc_end458-_ZN9rocsparseL20bsrxmvn_17_32_kernelILj27E21rocsparse_complex_numIdElidS2_S2_EEvT2_20rocsparse_direction_NS_24const_host_device_scalarIT0_EES3_PKS3_PKT1_SC_S9_PKT3_PKT4_S7_PT5_21rocsparse_index_base_b
                                        ; -- End function
	.set _ZN9rocsparseL20bsrxmvn_17_32_kernelILj27E21rocsparse_complex_numIdElidS2_S2_EEvT2_20rocsparse_direction_NS_24const_host_device_scalarIT0_EES3_PKS3_PKT1_SC_S9_PKT3_PKT4_S7_PT5_21rocsparse_index_base_b.num_vgpr, 28
	.set _ZN9rocsparseL20bsrxmvn_17_32_kernelILj27E21rocsparse_complex_numIdElidS2_S2_EEvT2_20rocsparse_direction_NS_24const_host_device_scalarIT0_EES3_PKS3_PKT1_SC_S9_PKT3_PKT4_S7_PT5_21rocsparse_index_base_b.num_agpr, 0
	.set _ZN9rocsparseL20bsrxmvn_17_32_kernelILj27E21rocsparse_complex_numIdElidS2_S2_EEvT2_20rocsparse_direction_NS_24const_host_device_scalarIT0_EES3_PKS3_PKT1_SC_S9_PKT3_PKT4_S7_PT5_21rocsparse_index_base_b.numbered_sgpr, 22
	.set _ZN9rocsparseL20bsrxmvn_17_32_kernelILj27E21rocsparse_complex_numIdElidS2_S2_EEvT2_20rocsparse_direction_NS_24const_host_device_scalarIT0_EES3_PKS3_PKT1_SC_S9_PKT3_PKT4_S7_PT5_21rocsparse_index_base_b.num_named_barrier, 0
	.set _ZN9rocsparseL20bsrxmvn_17_32_kernelILj27E21rocsparse_complex_numIdElidS2_S2_EEvT2_20rocsparse_direction_NS_24const_host_device_scalarIT0_EES3_PKS3_PKT1_SC_S9_PKT3_PKT4_S7_PT5_21rocsparse_index_base_b.private_seg_size, 0
	.set _ZN9rocsparseL20bsrxmvn_17_32_kernelILj27E21rocsparse_complex_numIdElidS2_S2_EEvT2_20rocsparse_direction_NS_24const_host_device_scalarIT0_EES3_PKS3_PKT1_SC_S9_PKT3_PKT4_S7_PT5_21rocsparse_index_base_b.uses_vcc, 1
	.set _ZN9rocsparseL20bsrxmvn_17_32_kernelILj27E21rocsparse_complex_numIdElidS2_S2_EEvT2_20rocsparse_direction_NS_24const_host_device_scalarIT0_EES3_PKS3_PKT1_SC_S9_PKT3_PKT4_S7_PT5_21rocsparse_index_base_b.uses_flat_scratch, 0
	.set _ZN9rocsparseL20bsrxmvn_17_32_kernelILj27E21rocsparse_complex_numIdElidS2_S2_EEvT2_20rocsparse_direction_NS_24const_host_device_scalarIT0_EES3_PKS3_PKT1_SC_S9_PKT3_PKT4_S7_PT5_21rocsparse_index_base_b.has_dyn_sized_stack, 0
	.set _ZN9rocsparseL20bsrxmvn_17_32_kernelILj27E21rocsparse_complex_numIdElidS2_S2_EEvT2_20rocsparse_direction_NS_24const_host_device_scalarIT0_EES3_PKS3_PKT1_SC_S9_PKT3_PKT4_S7_PT5_21rocsparse_index_base_b.has_recursion, 0
	.set _ZN9rocsparseL20bsrxmvn_17_32_kernelILj27E21rocsparse_complex_numIdElidS2_S2_EEvT2_20rocsparse_direction_NS_24const_host_device_scalarIT0_EES3_PKS3_PKT1_SC_S9_PKT3_PKT4_S7_PT5_21rocsparse_index_base_b.has_indirect_call, 0
	.section	.AMDGPU.csdata,"",@progbits
; Kernel info:
; codeLenInByte = 1728
; TotalNumSgprs: 26
; NumVgprs: 28
; ScratchSize: 0
; MemoryBound: 0
; FloatMode: 240
; IeeeMode: 1
; LDSByteSize: 11664 bytes/workgroup (compile time only)
; SGPRBlocks: 8
; VGPRBlocks: 6
; NumSGPRsForWavesPerEU: 65
; NumVGPRsForWavesPerEU: 28
; Occupancy: 9
; WaveLimiterHint : 1
; COMPUTE_PGM_RSRC2:SCRATCH_EN: 0
; COMPUTE_PGM_RSRC2:USER_SGPR: 6
; COMPUTE_PGM_RSRC2:TRAP_HANDLER: 0
; COMPUTE_PGM_RSRC2:TGID_X_EN: 1
; COMPUTE_PGM_RSRC2:TGID_Y_EN: 0
; COMPUTE_PGM_RSRC2:TGID_Z_EN: 0
; COMPUTE_PGM_RSRC2:TIDIG_COMP_CNT: 0
	.section	.text._ZN9rocsparseL20bsrxmvn_17_32_kernelILj28E21rocsparse_complex_numIdElidS2_S2_EEvT2_20rocsparse_direction_NS_24const_host_device_scalarIT0_EES3_PKS3_PKT1_SC_S9_PKT3_PKT4_S7_PT5_21rocsparse_index_base_b,"axG",@progbits,_ZN9rocsparseL20bsrxmvn_17_32_kernelILj28E21rocsparse_complex_numIdElidS2_S2_EEvT2_20rocsparse_direction_NS_24const_host_device_scalarIT0_EES3_PKS3_PKT1_SC_S9_PKT3_PKT4_S7_PT5_21rocsparse_index_base_b,comdat
	.globl	_ZN9rocsparseL20bsrxmvn_17_32_kernelILj28E21rocsparse_complex_numIdElidS2_S2_EEvT2_20rocsparse_direction_NS_24const_host_device_scalarIT0_EES3_PKS3_PKT1_SC_S9_PKT3_PKT4_S7_PT5_21rocsparse_index_base_b ; -- Begin function _ZN9rocsparseL20bsrxmvn_17_32_kernelILj28E21rocsparse_complex_numIdElidS2_S2_EEvT2_20rocsparse_direction_NS_24const_host_device_scalarIT0_EES3_PKS3_PKT1_SC_S9_PKT3_PKT4_S7_PT5_21rocsparse_index_base_b
	.p2align	8
	.type	_ZN9rocsparseL20bsrxmvn_17_32_kernelILj28E21rocsparse_complex_numIdElidS2_S2_EEvT2_20rocsparse_direction_NS_24const_host_device_scalarIT0_EES3_PKS3_PKT1_SC_S9_PKT3_PKT4_S7_PT5_21rocsparse_index_base_b,@function
_ZN9rocsparseL20bsrxmvn_17_32_kernelILj28E21rocsparse_complex_numIdElidS2_S2_EEvT2_20rocsparse_direction_NS_24const_host_device_scalarIT0_EES3_PKS3_PKT1_SC_S9_PKT3_PKT4_S7_PT5_21rocsparse_index_base_b: ; @_ZN9rocsparseL20bsrxmvn_17_32_kernelILj28E21rocsparse_complex_numIdElidS2_S2_EEvT2_20rocsparse_direction_NS_24const_host_device_scalarIT0_EES3_PKS3_PKT1_SC_S9_PKT3_PKT4_S7_PT5_21rocsparse_index_base_b
; %bb.0:
	s_load_dwordx2 s[0:1], s[4:5], 0x8
	s_load_dwordx2 s[14:15], s[4:5], 0x68
	s_add_u32 s7, s4, 8
	s_addc_u32 s8, s5, 0
	s_add_u32 s9, s4, 0x50
	s_addc_u32 s10, s5, 0
	s_waitcnt lgkmcnt(0)
	s_bitcmp1_b32 s15, 0
	s_cselect_b32 s1, s8, s1
	s_cselect_b32 s0, s7, s0
	v_mov_b32_e32 v1, s0
	v_mov_b32_e32 v2, s1
	flat_load_dwordx4 v[5:8], v[1:2]
	s_load_dwordx2 s[2:3], s[4:5], 0x50
	s_waitcnt lgkmcnt(0)
	s_cselect_b32 s0, s10, s3
	s_cselect_b32 s1, s9, s2
	v_mov_b32_e32 v1, s1
	v_mov_b32_e32 v2, s0
	flat_load_dwordx4 v[1:4], v[1:2]
	s_waitcnt vmcnt(0)
	v_cmp_eq_f64_e32 vcc, 0, v[5:6]
	v_cmp_eq_f64_e64 s[0:1], 0, v[7:8]
	s_and_b64 s[8:9], vcc, s[0:1]
	s_mov_b64 s[0:1], -1
	s_and_saveexec_b64 s[2:3], s[8:9]
	s_cbranch_execz .LBB459_2
; %bb.1:
	s_waitcnt lgkmcnt(0)
	v_cmp_neq_f64_e32 vcc, 1.0, v[1:2]
	v_cmp_neq_f64_e64 s[0:1], 0, v[3:4]
	s_or_b64 s[0:1], vcc, s[0:1]
	s_orn2_b64 s[0:1], s[0:1], exec
.LBB459_2:
	s_or_b64 exec, exec, s[2:3]
	s_and_saveexec_b64 s[2:3], s[0:1]
	s_cbranch_execz .LBB459_39
; %bb.3:
	s_load_dwordx4 s[0:3], s[4:5], 0x20
	s_load_dwordx2 s[8:9], s[4:5], 0x30
	s_waitcnt lgkmcnt(0)
	s_cmp_eq_u64 s[0:1], 0
	s_cbranch_scc1 .LBB459_5
; %bb.4:
	s_ashr_i32 s7, s6, 31
	s_lshl_b64 s[6:7], s[6:7], 2
	s_add_u32 s0, s0, s6
	s_addc_u32 s1, s1, s7
	s_load_dword s0, s[0:1], 0x0
	s_waitcnt lgkmcnt(0)
	s_sub_i32 s6, s0, s14
.LBB459_5:
	s_load_dword s7, s[4:5], 0x4
	s_load_dwordx2 s[12:13], s[4:5], 0x60
	v_mul_u32_u24_e32 v13, 0x925, v0
	v_mov_b32_e32 v9, 28
	v_mul_lo_u16_sdwa v9, v13, v9 dst_sel:DWORD dst_unused:UNUSED_PAD src0_sel:WORD_1 src1_sel:DWORD
	s_waitcnt lgkmcnt(0)
	s_cmp_eq_u32 s7, 1
	s_cselect_b64 s[0:1], -1, 0
	s_cmp_lg_u32 s7, 1
	s_cselect_b64 s[16:17], -1, 0
	s_ashr_i32 s7, s6, 31
	s_lshl_b64 s[10:11], s[6:7], 3
	s_add_u32 s2, s2, s10
	s_addc_u32 s3, s3, s11
	s_add_u32 s7, s2, 8
	s_addc_u32 s15, s3, 0
	;; [unrolled: 2-line block ×3, first 2 shown]
	s_cmp_eq_u64 s[8:9], 0
	s_cselect_b32 s9, s15, s11
	s_cselect_b32 s8, s7, s10
	s_load_dwordx2 s[18:19], s[8:9], 0x0
	s_load_dwordx2 s[20:21], s[2:3], 0x0
	v_sub_u16_e32 v20, v0, v9
	v_mov_b32_e32 v11, 0
	v_mov_b32_e32 v12, 0
	s_waitcnt lgkmcnt(0)
	v_mov_b32_e32 v9, s18
	v_mov_b32_e32 v10, s19
	v_cmp_ge_i64_e32 vcc, s[20:21], v[9:10]
	v_mov_b32_e32 v9, 0
	v_mov_b32_e32 v10, 0
	s_cbranch_vccnz .LBB459_10
; %bb.6:
	s_load_dwordx2 s[2:3], s[4:5], 0x48
	s_load_dwordx4 s[8:11], s[4:5], 0x38
	s_sub_u32 s4, s18, s14
	s_mov_b32 s7, 0xffff
	s_subb_u32 s5, s19, 0
	s_movk_i32 s15, 0x310
	v_and_b32_sdwa v9, s7, v13 dst_sel:DWORD dst_unused:UNUSED_PAD src0_sel:DWORD src1_sel:WORD_1
	v_subrev_u32_e32 v10, 28, v9
	v_cmp_gt_u32_e32 vcc, s15, v0
	s_sub_u32 s18, s20, s14
	v_cndmask_b32_e32 v9, v10, v9, vcc
	s_subb_u32 s19, s21, 0
	v_cndmask_b32_e64 v13, v20, v9, s[0:1]
	s_mul_i32 s0, s19, 0x1880
	s_mul_hi_u32 s1, s18, 0x1880
	s_add_i32 s1, s1, s0
	s_mul_i32 s0, s18, 0x1880
	s_waitcnt lgkmcnt(0)
	s_add_u32 s0, s10, s0
	s_addc_u32 s1, s11, s1
	v_lshlrev_b32_e32 v9, 3, v0
	v_mov_b32_e32 v10, s1
	v_add_co_u32_e32 v14, vcc, s0, v9
	v_addc_co_u32_e32 v15, vcc, 0, v10, vcc
	s_movk_i32 s0, 0x30f
	v_cmp_lt_u32_e32 vcc, s0, v0
	v_cndmask_b32_e64 v21, 0, 1, vcc
	v_mov_b32_e32 v9, s21
	v_add_co_u32_e32 v10, vcc, s20, v21
	v_addc_co_u32_e32 v11, vcc, 0, v9, vcc
	v_subrev_co_u32_e32 v9, vcc, s14, v10
	v_subbrev_co_u32_e32 v10, vcc, 0, v11, vcc
	v_lshlrev_b64 v[9:10], 2, v[9:10]
	v_mov_b32_e32 v11, s9
	v_add_co_u32_e32 v16, vcc, s8, v9
	v_addc_co_u32_e32 v17, vcc, v11, v10, vcc
	v_mov_b32_e32 v11, 0
	v_mov_b32_e32 v12, 0
	s_mov_b32 s8, 0
	v_mov_b32_e32 v19, s5
	v_mov_b32_e32 v9, v11
	s_brev_b32 s9, 1
	v_mov_b32_e32 v18, s4
	v_mov_b32_e32 v10, v12
	s_branch .LBB459_8
.LBB459_7:                              ;   in Loop: Header=BB459_8 Depth=1
	s_or_b64 exec, exec, s[0:1]
	s_add_u32 s18, s18, 1
	s_addc_u32 s19, s19, 0
	v_cmp_lt_i64_e32 vcc, s[18:19], v[18:19]
	v_add_co_u32_e64 v16, s[0:1], 4, v16
	v_addc_co_u32_e64 v17, s[0:1], 0, v17, s[0:1]
	s_cbranch_vccz .LBB459_10
.LBB459_8:                              ; =>This Inner Loop Header: Depth=1
	v_mov_b32_e32 v23, s19
	v_add_co_u32_e32 v22, vcc, s18, v21
	v_addc_co_u32_e32 v23, vcc, 0, v23, vcc
	v_cmp_gt_i64_e32 vcc, s[4:5], v[22:23]
	s_and_saveexec_b64 s[0:1], vcc
	s_cbranch_execz .LBB459_7
; %bb.9:                                ;   in Loop: Header=BB459_8 Depth=1
	global_load_dword v22, v[16:17], off
	v_mov_b32_e32 v24, s3
	global_load_dwordx2 v[26:27], v[14:15], off
	s_waitcnt vmcnt(1)
	v_subrev_u32_e32 v22, s14, v22
	v_mad_u64_u32 v[22:23], s[10:11], v22, 28, v[13:14]
	v_ashrrev_i32_e32 v23, 31, v22
	v_lshlrev_b64 v[22:23], 4, v[22:23]
	v_add_co_u32_e32 v22, vcc, s2, v22
	v_addc_co_u32_e32 v23, vcc, v24, v23, vcc
	global_load_dwordx4 v[22:25], v[22:23], off
	v_add_co_u32_e32 v14, vcc, 0x1880, v14
	v_addc_co_u32_e32 v15, vcc, 0, v15, vcc
	s_waitcnt vmcnt(0)
	v_fma_f64 v[9:10], v[26:27], v[22:23], v[9:10]
	v_fma_f64 v[11:12], v[22:23], 0, v[11:12]
	;; [unrolled: 1-line block ×4, first 2 shown]
	s_branch .LBB459_7
.LBB459_10:
	v_lshlrev_b32_e32 v17, 4, v0
	s_and_b64 vcc, exec, s[16:17]
	ds_write_b128 v17, v[9:12]
	s_waitcnt lgkmcnt(0)
	s_barrier
	s_cbranch_vccz .LBB459_22
; %bb.11:
	v_cmp_gt_u16_e32 vcc, 12, v20
	s_and_saveexec_b64 s[0:1], vcc
	s_cbranch_execz .LBB459_13
; %bb.12:
	ds_read_b128 v[13:16], v17 offset:256
	ds_read_b128 v[21:24], v17
	s_waitcnt lgkmcnt(0)
	v_add_f64 v[13:14], v[13:14], v[21:22]
	v_add_f64 v[15:16], v[15:16], v[23:24]
	ds_write_b128 v17, v[13:16]
.LBB459_13:
	s_or_b64 exec, exec, s[0:1]
	v_cmp_gt_u16_e32 vcc, 8, v20
	s_waitcnt lgkmcnt(0)
	s_barrier
	s_and_saveexec_b64 s[0:1], vcc
	s_cbranch_execz .LBB459_15
; %bb.14:
	ds_read_b128 v[13:16], v17 offset:128
	ds_read_b128 v[21:24], v17
	s_waitcnt lgkmcnt(0)
	v_add_f64 v[13:14], v[13:14], v[21:22]
	v_add_f64 v[15:16], v[15:16], v[23:24]
	ds_write_b128 v17, v[13:16]
.LBB459_15:
	s_or_b64 exec, exec, s[0:1]
	v_cmp_gt_u16_e32 vcc, 4, v20
	s_waitcnt lgkmcnt(0)
	s_barrier
	;; [unrolled: 14-line block ×3, first 2 shown]
	s_and_saveexec_b64 s[0:1], vcc
	s_cbranch_execz .LBB459_19
; %bb.18:
	ds_read_b128 v[13:16], v17
	ds_read_b128 v[18:21], v17 offset:32
	s_waitcnt lgkmcnt(0)
	v_add_f64 v[13:14], v[18:19], v[13:14]
	v_add_f64 v[15:16], v[20:21], v[15:16]
	ds_write_b128 v17, v[13:16]
.LBB459_19:
	s_or_b64 exec, exec, s[0:1]
	v_mov_b32_e32 v16, v12
	v_mov_b32_e32 v14, v10
	v_cmp_gt_u32_e32 vcc, 28, v0
	v_mov_b32_e32 v15, v11
	v_mov_b32_e32 v13, v9
	s_waitcnt lgkmcnt(0)
	s_barrier
	s_and_saveexec_b64 s[0:1], vcc
	s_cbranch_execz .LBB459_21
; %bb.20:
	s_movk_i32 s2, 0x1b0
	v_mad_u32_u24 v18, v0, s2, v17
	ds_read_b128 v[13:16], v18
	ds_read_b128 v[18:21], v18 offset:16
	s_waitcnt lgkmcnt(0)
	v_add_f64 v[13:14], v[18:19], v[13:14]
	v_add_f64 v[15:16], v[20:21], v[15:16]
.LBB459_21:
	s_or_b64 exec, exec, s[0:1]
	s_branch .LBB459_34
.LBB459_22:
                                        ; implicit-def: $vgpr15_vgpr16
                                        ; implicit-def: $vgpr13_vgpr14
	s_cbranch_execz .LBB459_34
; %bb.23:
	s_movk_i32 s0, 0x150
	v_cmp_gt_u32_e32 vcc, s0, v0
	s_and_saveexec_b64 s[0:1], vcc
	s_cbranch_execz .LBB459_25
; %bb.24:
	ds_read_b128 v[13:16], v17 offset:7168
	ds_read_b128 v[18:21], v17
	s_waitcnt lgkmcnt(0)
	v_add_f64 v[13:14], v[13:14], v[18:19]
	v_add_f64 v[15:16], v[15:16], v[20:21]
	ds_write_b128 v17, v[13:16]
.LBB459_25:
	s_or_b64 exec, exec, s[0:1]
	s_movk_i32 s0, 0xe0
	v_cmp_gt_u32_e32 vcc, s0, v0
	s_waitcnt lgkmcnt(0)
	s_barrier
	s_and_saveexec_b64 s[0:1], vcc
	s_cbranch_execz .LBB459_27
; %bb.26:
	ds_read_b128 v[13:16], v17 offset:3584
	ds_read_b128 v[18:21], v17
	s_waitcnt lgkmcnt(0)
	v_add_f64 v[13:14], v[13:14], v[18:19]
	v_add_f64 v[15:16], v[15:16], v[20:21]
	ds_write_b128 v17, v[13:16]
.LBB459_27:
	s_or_b64 exec, exec, s[0:1]
	s_movk_i32 s0, 0x70
	v_cmp_gt_u32_e32 vcc, s0, v0
	s_waitcnt lgkmcnt(0)
	s_barrier
	s_and_saveexec_b64 s[0:1], vcc
	s_cbranch_execz .LBB459_29
; %bb.28:
	ds_read_b128 v[13:16], v17 offset:1792
	ds_read_b128 v[18:21], v17
	s_waitcnt lgkmcnt(0)
	v_add_f64 v[13:14], v[13:14], v[18:19]
	v_add_f64 v[15:16], v[15:16], v[20:21]
	ds_write_b128 v17, v[13:16]
.LBB459_29:
	s_or_b64 exec, exec, s[0:1]
	v_cmp_gt_u32_e32 vcc, 56, v0
	s_waitcnt lgkmcnt(0)
	s_barrier
	s_and_saveexec_b64 s[0:1], vcc
	s_cbranch_execz .LBB459_31
; %bb.30:
	ds_read_b128 v[13:16], v17 offset:896
	ds_read_b128 v[18:21], v17
	s_waitcnt lgkmcnt(0)
	v_add_f64 v[13:14], v[13:14], v[18:19]
	v_add_f64 v[15:16], v[15:16], v[20:21]
	ds_write_b128 v17, v[13:16]
.LBB459_31:
	s_or_b64 exec, exec, s[0:1]
	v_cmp_gt_u32_e32 vcc, 28, v0
	s_waitcnt lgkmcnt(0)
	s_and_saveexec_b64 s[0:1], vcc
	s_cbranch_execz .LBB459_33
; %bb.32:
	ds_read_b128 v[9:12], v17 offset:448
	ds_read_b128 v[13:16], v17
	s_waitcnt lgkmcnt(0)
	v_add_f64 v[9:10], v[9:10], v[13:14]
	v_add_f64 v[11:12], v[11:12], v[15:16]
.LBB459_33:
	s_or_b64 exec, exec, s[0:1]
	v_mov_b32_e32 v16, v12
	v_mov_b32_e32 v14, v10
	;; [unrolled: 1-line block ×4, first 2 shown]
.LBB459_34:
	v_cmp_gt_u32_e32 vcc, 28, v0
	s_and_b64 exec, exec, vcc
	s_cbranch_execz .LBB459_39
; %bb.35:
	v_mul_f64 v[9:10], v[15:16], -v[7:8]
	v_mul_f64 v[11:12], v[5:6], v[15:16]
	v_cmp_eq_f64_e32 vcc, 0, v[1:2]
	v_cmp_eq_f64_e64 s[0:1], 0, v[3:4]
	v_fma_f64 v[5:6], v[5:6], v[13:14], v[9:10]
	v_fma_f64 v[7:8], v[7:8], v[13:14], v[11:12]
	s_and_b64 s[0:1], vcc, s[0:1]
	s_and_saveexec_b64 s[2:3], s[0:1]
	s_xor_b64 s[0:1], exec, s[2:3]
	s_cbranch_execz .LBB459_37
; %bb.36:
	v_mad_u64_u32 v[0:1], s[2:3], s6, 28, v[0:1]
	v_mov_b32_e32 v1, 0
	v_mov_b32_e32 v2, s13
	v_lshlrev_b64 v[0:1], 4, v[0:1]
	v_add_co_u32_e32 v0, vcc, s12, v0
	v_addc_co_u32_e32 v1, vcc, v2, v1, vcc
	global_store_dwordx4 v[0:1], v[5:8], off
                                        ; implicit-def: $vgpr0
                                        ; implicit-def: $vgpr1_vgpr2
                                        ; implicit-def: $vgpr5_vgpr6
.LBB459_37:
	s_andn2_saveexec_b64 s[0:1], s[0:1]
	s_cbranch_execz .LBB459_39
; %bb.38:
	v_mad_u64_u32 v[9:10], s[0:1], s6, 28, v[0:1]
	v_mov_b32_e32 v10, 0
	v_mov_b32_e32 v0, s13
	v_lshlrev_b64 v[9:10], 4, v[9:10]
	v_add_co_u32_e32 v13, vcc, s12, v9
	v_addc_co_u32_e32 v14, vcc, v0, v10, vcc
	global_load_dwordx4 v[9:12], v[13:14], off
	s_waitcnt vmcnt(0)
	v_fma_f64 v[5:6], v[1:2], v[9:10], v[5:6]
	v_fma_f64 v[7:8], v[3:4], v[9:10], v[7:8]
	v_fma_f64 v[3:4], -v[3:4], v[11:12], v[5:6]
	v_fma_f64 v[5:6], v[1:2], v[11:12], v[7:8]
	global_store_dwordx4 v[13:14], v[3:6], off
.LBB459_39:
	s_endpgm
	.section	.rodata,"a",@progbits
	.p2align	6, 0x0
	.amdhsa_kernel _ZN9rocsparseL20bsrxmvn_17_32_kernelILj28E21rocsparse_complex_numIdElidS2_S2_EEvT2_20rocsparse_direction_NS_24const_host_device_scalarIT0_EES3_PKS3_PKT1_SC_S9_PKT3_PKT4_S7_PT5_21rocsparse_index_base_b
		.amdhsa_group_segment_fixed_size 12544
		.amdhsa_private_segment_fixed_size 0
		.amdhsa_kernarg_size 112
		.amdhsa_user_sgpr_count 6
		.amdhsa_user_sgpr_private_segment_buffer 1
		.amdhsa_user_sgpr_dispatch_ptr 0
		.amdhsa_user_sgpr_queue_ptr 0
		.amdhsa_user_sgpr_kernarg_segment_ptr 1
		.amdhsa_user_sgpr_dispatch_id 0
		.amdhsa_user_sgpr_flat_scratch_init 0
		.amdhsa_user_sgpr_private_segment_size 0
		.amdhsa_uses_dynamic_stack 0
		.amdhsa_system_sgpr_private_segment_wavefront_offset 0
		.amdhsa_system_sgpr_workgroup_id_x 1
		.amdhsa_system_sgpr_workgroup_id_y 0
		.amdhsa_system_sgpr_workgroup_id_z 0
		.amdhsa_system_sgpr_workgroup_info 0
		.amdhsa_system_vgpr_workitem_id 0
		.amdhsa_next_free_vgpr 28
		.amdhsa_next_free_sgpr 22
		.amdhsa_reserve_vcc 1
		.amdhsa_reserve_flat_scratch 0
		.amdhsa_float_round_mode_32 0
		.amdhsa_float_round_mode_16_64 0
		.amdhsa_float_denorm_mode_32 3
		.amdhsa_float_denorm_mode_16_64 3
		.amdhsa_dx10_clamp 1
		.amdhsa_ieee_mode 1
		.amdhsa_fp16_overflow 0
		.amdhsa_exception_fp_ieee_invalid_op 0
		.amdhsa_exception_fp_denorm_src 0
		.amdhsa_exception_fp_ieee_div_zero 0
		.amdhsa_exception_fp_ieee_overflow 0
		.amdhsa_exception_fp_ieee_underflow 0
		.amdhsa_exception_fp_ieee_inexact 0
		.amdhsa_exception_int_div_zero 0
	.end_amdhsa_kernel
	.section	.text._ZN9rocsparseL20bsrxmvn_17_32_kernelILj28E21rocsparse_complex_numIdElidS2_S2_EEvT2_20rocsparse_direction_NS_24const_host_device_scalarIT0_EES3_PKS3_PKT1_SC_S9_PKT3_PKT4_S7_PT5_21rocsparse_index_base_b,"axG",@progbits,_ZN9rocsparseL20bsrxmvn_17_32_kernelILj28E21rocsparse_complex_numIdElidS2_S2_EEvT2_20rocsparse_direction_NS_24const_host_device_scalarIT0_EES3_PKS3_PKT1_SC_S9_PKT3_PKT4_S7_PT5_21rocsparse_index_base_b,comdat
.Lfunc_end459:
	.size	_ZN9rocsparseL20bsrxmvn_17_32_kernelILj28E21rocsparse_complex_numIdElidS2_S2_EEvT2_20rocsparse_direction_NS_24const_host_device_scalarIT0_EES3_PKS3_PKT1_SC_S9_PKT3_PKT4_S7_PT5_21rocsparse_index_base_b, .Lfunc_end459-_ZN9rocsparseL20bsrxmvn_17_32_kernelILj28E21rocsparse_complex_numIdElidS2_S2_EEvT2_20rocsparse_direction_NS_24const_host_device_scalarIT0_EES3_PKS3_PKT1_SC_S9_PKT3_PKT4_S7_PT5_21rocsparse_index_base_b
                                        ; -- End function
	.set _ZN9rocsparseL20bsrxmvn_17_32_kernelILj28E21rocsparse_complex_numIdElidS2_S2_EEvT2_20rocsparse_direction_NS_24const_host_device_scalarIT0_EES3_PKS3_PKT1_SC_S9_PKT3_PKT4_S7_PT5_21rocsparse_index_base_b.num_vgpr, 28
	.set _ZN9rocsparseL20bsrxmvn_17_32_kernelILj28E21rocsparse_complex_numIdElidS2_S2_EEvT2_20rocsparse_direction_NS_24const_host_device_scalarIT0_EES3_PKS3_PKT1_SC_S9_PKT3_PKT4_S7_PT5_21rocsparse_index_base_b.num_agpr, 0
	.set _ZN9rocsparseL20bsrxmvn_17_32_kernelILj28E21rocsparse_complex_numIdElidS2_S2_EEvT2_20rocsparse_direction_NS_24const_host_device_scalarIT0_EES3_PKS3_PKT1_SC_S9_PKT3_PKT4_S7_PT5_21rocsparse_index_base_b.numbered_sgpr, 22
	.set _ZN9rocsparseL20bsrxmvn_17_32_kernelILj28E21rocsparse_complex_numIdElidS2_S2_EEvT2_20rocsparse_direction_NS_24const_host_device_scalarIT0_EES3_PKS3_PKT1_SC_S9_PKT3_PKT4_S7_PT5_21rocsparse_index_base_b.num_named_barrier, 0
	.set _ZN9rocsparseL20bsrxmvn_17_32_kernelILj28E21rocsparse_complex_numIdElidS2_S2_EEvT2_20rocsparse_direction_NS_24const_host_device_scalarIT0_EES3_PKS3_PKT1_SC_S9_PKT3_PKT4_S7_PT5_21rocsparse_index_base_b.private_seg_size, 0
	.set _ZN9rocsparseL20bsrxmvn_17_32_kernelILj28E21rocsparse_complex_numIdElidS2_S2_EEvT2_20rocsparse_direction_NS_24const_host_device_scalarIT0_EES3_PKS3_PKT1_SC_S9_PKT3_PKT4_S7_PT5_21rocsparse_index_base_b.uses_vcc, 1
	.set _ZN9rocsparseL20bsrxmvn_17_32_kernelILj28E21rocsparse_complex_numIdElidS2_S2_EEvT2_20rocsparse_direction_NS_24const_host_device_scalarIT0_EES3_PKS3_PKT1_SC_S9_PKT3_PKT4_S7_PT5_21rocsparse_index_base_b.uses_flat_scratch, 0
	.set _ZN9rocsparseL20bsrxmvn_17_32_kernelILj28E21rocsparse_complex_numIdElidS2_S2_EEvT2_20rocsparse_direction_NS_24const_host_device_scalarIT0_EES3_PKS3_PKT1_SC_S9_PKT3_PKT4_S7_PT5_21rocsparse_index_base_b.has_dyn_sized_stack, 0
	.set _ZN9rocsparseL20bsrxmvn_17_32_kernelILj28E21rocsparse_complex_numIdElidS2_S2_EEvT2_20rocsparse_direction_NS_24const_host_device_scalarIT0_EES3_PKS3_PKT1_SC_S9_PKT3_PKT4_S7_PT5_21rocsparse_index_base_b.has_recursion, 0
	.set _ZN9rocsparseL20bsrxmvn_17_32_kernelILj28E21rocsparse_complex_numIdElidS2_S2_EEvT2_20rocsparse_direction_NS_24const_host_device_scalarIT0_EES3_PKS3_PKT1_SC_S9_PKT3_PKT4_S7_PT5_21rocsparse_index_base_b.has_indirect_call, 0
	.section	.AMDGPU.csdata,"",@progbits
; Kernel info:
; codeLenInByte = 1728
; TotalNumSgprs: 26
; NumVgprs: 28
; ScratchSize: 0
; MemoryBound: 0
; FloatMode: 240
; IeeeMode: 1
; LDSByteSize: 12544 bytes/workgroup (compile time only)
; SGPRBlocks: 3
; VGPRBlocks: 6
; NumSGPRsForWavesPerEU: 26
; NumVGPRsForWavesPerEU: 28
; Occupancy: 9
; WaveLimiterHint : 1
; COMPUTE_PGM_RSRC2:SCRATCH_EN: 0
; COMPUTE_PGM_RSRC2:USER_SGPR: 6
; COMPUTE_PGM_RSRC2:TRAP_HANDLER: 0
; COMPUTE_PGM_RSRC2:TGID_X_EN: 1
; COMPUTE_PGM_RSRC2:TGID_Y_EN: 0
; COMPUTE_PGM_RSRC2:TGID_Z_EN: 0
; COMPUTE_PGM_RSRC2:TIDIG_COMP_CNT: 0
	.section	.text._ZN9rocsparseL20bsrxmvn_17_32_kernelILj29E21rocsparse_complex_numIdElidS2_S2_EEvT2_20rocsparse_direction_NS_24const_host_device_scalarIT0_EES3_PKS3_PKT1_SC_S9_PKT3_PKT4_S7_PT5_21rocsparse_index_base_b,"axG",@progbits,_ZN9rocsparseL20bsrxmvn_17_32_kernelILj29E21rocsparse_complex_numIdElidS2_S2_EEvT2_20rocsparse_direction_NS_24const_host_device_scalarIT0_EES3_PKS3_PKT1_SC_S9_PKT3_PKT4_S7_PT5_21rocsparse_index_base_b,comdat
	.globl	_ZN9rocsparseL20bsrxmvn_17_32_kernelILj29E21rocsparse_complex_numIdElidS2_S2_EEvT2_20rocsparse_direction_NS_24const_host_device_scalarIT0_EES3_PKS3_PKT1_SC_S9_PKT3_PKT4_S7_PT5_21rocsparse_index_base_b ; -- Begin function _ZN9rocsparseL20bsrxmvn_17_32_kernelILj29E21rocsparse_complex_numIdElidS2_S2_EEvT2_20rocsparse_direction_NS_24const_host_device_scalarIT0_EES3_PKS3_PKT1_SC_S9_PKT3_PKT4_S7_PT5_21rocsparse_index_base_b
	.p2align	8
	.type	_ZN9rocsparseL20bsrxmvn_17_32_kernelILj29E21rocsparse_complex_numIdElidS2_S2_EEvT2_20rocsparse_direction_NS_24const_host_device_scalarIT0_EES3_PKS3_PKT1_SC_S9_PKT3_PKT4_S7_PT5_21rocsparse_index_base_b,@function
_ZN9rocsparseL20bsrxmvn_17_32_kernelILj29E21rocsparse_complex_numIdElidS2_S2_EEvT2_20rocsparse_direction_NS_24const_host_device_scalarIT0_EES3_PKS3_PKT1_SC_S9_PKT3_PKT4_S7_PT5_21rocsparse_index_base_b: ; @_ZN9rocsparseL20bsrxmvn_17_32_kernelILj29E21rocsparse_complex_numIdElidS2_S2_EEvT2_20rocsparse_direction_NS_24const_host_device_scalarIT0_EES3_PKS3_PKT1_SC_S9_PKT3_PKT4_S7_PT5_21rocsparse_index_base_b
; %bb.0:
	s_load_dwordx2 s[0:1], s[4:5], 0x8
	s_load_dwordx2 s[14:15], s[4:5], 0x68
	s_add_u32 s7, s4, 8
	s_addc_u32 s8, s5, 0
	s_add_u32 s9, s4, 0x50
	s_addc_u32 s10, s5, 0
	s_waitcnt lgkmcnt(0)
	s_bitcmp1_b32 s15, 0
	s_cselect_b32 s1, s8, s1
	s_cselect_b32 s0, s7, s0
	v_mov_b32_e32 v1, s0
	v_mov_b32_e32 v2, s1
	flat_load_dwordx4 v[5:8], v[1:2]
	s_load_dwordx2 s[2:3], s[4:5], 0x50
	s_waitcnt lgkmcnt(0)
	s_cselect_b32 s0, s10, s3
	s_cselect_b32 s1, s9, s2
	v_mov_b32_e32 v1, s1
	v_mov_b32_e32 v2, s0
	flat_load_dwordx4 v[1:4], v[1:2]
	s_waitcnt vmcnt(0)
	v_cmp_eq_f64_e32 vcc, 0, v[5:6]
	v_cmp_eq_f64_e64 s[0:1], 0, v[7:8]
	s_and_b64 s[8:9], vcc, s[0:1]
	s_mov_b64 s[0:1], -1
	s_and_saveexec_b64 s[2:3], s[8:9]
	s_cbranch_execz .LBB460_2
; %bb.1:
	s_waitcnt lgkmcnt(0)
	v_cmp_neq_f64_e32 vcc, 1.0, v[1:2]
	v_cmp_neq_f64_e64 s[0:1], 0, v[3:4]
	s_or_b64 s[0:1], vcc, s[0:1]
	s_orn2_b64 s[0:1], s[0:1], exec
.LBB460_2:
	s_or_b64 exec, exec, s[2:3]
	s_and_saveexec_b64 s[2:3], s[0:1]
	s_cbranch_execz .LBB460_39
; %bb.3:
	s_load_dwordx4 s[0:3], s[4:5], 0x20
	s_load_dwordx2 s[8:9], s[4:5], 0x30
	s_waitcnt lgkmcnt(0)
	s_cmp_eq_u64 s[0:1], 0
	s_cbranch_scc1 .LBB460_5
; %bb.4:
	s_ashr_i32 s7, s6, 31
	s_lshl_b64 s[6:7], s[6:7], 2
	s_add_u32 s0, s0, s6
	s_addc_u32 s1, s1, s7
	s_load_dword s0, s[0:1], 0x0
	s_waitcnt lgkmcnt(0)
	s_sub_i32 s6, s0, s14
.LBB460_5:
	s_load_dword s7, s[4:5], 0x4
	s_load_dwordx2 s[12:13], s[4:5], 0x60
	v_mul_u32_u24_e32 v13, 0x8d4, v0
	v_mov_b32_e32 v9, 29
	v_mul_lo_u16_sdwa v9, v13, v9 dst_sel:DWORD dst_unused:UNUSED_PAD src0_sel:WORD_1 src1_sel:DWORD
	s_waitcnt lgkmcnt(0)
	s_cmp_eq_u32 s7, 1
	s_cselect_b64 s[0:1], -1, 0
	s_cmp_lg_u32 s7, 1
	s_cselect_b64 s[16:17], -1, 0
	s_ashr_i32 s7, s6, 31
	s_lshl_b64 s[10:11], s[6:7], 3
	s_add_u32 s2, s2, s10
	s_addc_u32 s3, s3, s11
	s_add_u32 s7, s2, 8
	s_addc_u32 s15, s3, 0
	;; [unrolled: 2-line block ×3, first 2 shown]
	s_cmp_eq_u64 s[8:9], 0
	s_cselect_b32 s9, s15, s11
	s_cselect_b32 s8, s7, s10
	s_load_dwordx2 s[18:19], s[8:9], 0x0
	s_load_dwordx2 s[20:21], s[2:3], 0x0
	v_sub_u16_e32 v20, v0, v9
	v_mov_b32_e32 v11, 0
	v_mov_b32_e32 v12, 0
	s_waitcnt lgkmcnt(0)
	v_mov_b32_e32 v9, s18
	v_mov_b32_e32 v10, s19
	v_cmp_ge_i64_e32 vcc, s[20:21], v[9:10]
	v_mov_b32_e32 v9, 0
	v_mov_b32_e32 v10, 0
	s_cbranch_vccnz .LBB460_10
; %bb.6:
	s_load_dwordx2 s[2:3], s[4:5], 0x48
	s_load_dwordx4 s[8:11], s[4:5], 0x38
	s_sub_u32 s4, s18, s14
	s_mov_b32 s7, 0xffff
	s_subb_u32 s5, s19, 0
	s_movk_i32 s15, 0x349
	v_and_b32_sdwa v9, s7, v13 dst_sel:DWORD dst_unused:UNUSED_PAD src0_sel:DWORD src1_sel:WORD_1
	v_subrev_u32_e32 v10, 29, v9
	v_cmp_gt_u32_e32 vcc, s15, v0
	s_sub_u32 s18, s20, s14
	v_cndmask_b32_e32 v9, v10, v9, vcc
	s_subb_u32 s19, s21, 0
	v_cndmask_b32_e64 v13, v20, v9, s[0:1]
	s_mul_i32 s0, s19, 0x1a48
	s_mul_hi_u32 s1, s18, 0x1a48
	s_add_i32 s1, s1, s0
	s_mul_i32 s0, s18, 0x1a48
	s_waitcnt lgkmcnt(0)
	s_add_u32 s0, s10, s0
	s_addc_u32 s1, s11, s1
	v_lshlrev_b32_e32 v9, 3, v0
	v_mov_b32_e32 v10, s1
	v_add_co_u32_e32 v14, vcc, s0, v9
	v_addc_co_u32_e32 v15, vcc, 0, v10, vcc
	s_movk_i32 s0, 0x348
	v_cmp_lt_u32_e32 vcc, s0, v0
	v_cndmask_b32_e64 v21, 0, 1, vcc
	v_mov_b32_e32 v9, s21
	v_add_co_u32_e32 v10, vcc, s20, v21
	v_addc_co_u32_e32 v11, vcc, 0, v9, vcc
	v_subrev_co_u32_e32 v9, vcc, s14, v10
	v_subbrev_co_u32_e32 v10, vcc, 0, v11, vcc
	v_lshlrev_b64 v[9:10], 2, v[9:10]
	v_mov_b32_e32 v11, s9
	v_add_co_u32_e32 v16, vcc, s8, v9
	v_addc_co_u32_e32 v17, vcc, v11, v10, vcc
	v_mov_b32_e32 v11, 0
	v_mov_b32_e32 v12, 0
	s_mov_b32 s8, 0
	v_mov_b32_e32 v19, s5
	v_mov_b32_e32 v9, v11
	s_brev_b32 s9, 1
	v_mov_b32_e32 v18, s4
	v_mov_b32_e32 v10, v12
	s_branch .LBB460_8
.LBB460_7:                              ;   in Loop: Header=BB460_8 Depth=1
	s_or_b64 exec, exec, s[0:1]
	s_add_u32 s18, s18, 1
	s_addc_u32 s19, s19, 0
	v_cmp_lt_i64_e32 vcc, s[18:19], v[18:19]
	v_add_co_u32_e64 v16, s[0:1], 4, v16
	v_addc_co_u32_e64 v17, s[0:1], 0, v17, s[0:1]
	s_cbranch_vccz .LBB460_10
.LBB460_8:                              ; =>This Inner Loop Header: Depth=1
	v_mov_b32_e32 v23, s19
	v_add_co_u32_e32 v22, vcc, s18, v21
	v_addc_co_u32_e32 v23, vcc, 0, v23, vcc
	v_cmp_gt_i64_e32 vcc, s[4:5], v[22:23]
	s_and_saveexec_b64 s[0:1], vcc
	s_cbranch_execz .LBB460_7
; %bb.9:                                ;   in Loop: Header=BB460_8 Depth=1
	global_load_dword v22, v[16:17], off
	v_mov_b32_e32 v24, s3
	global_load_dwordx2 v[26:27], v[14:15], off
	s_waitcnt vmcnt(1)
	v_subrev_u32_e32 v22, s14, v22
	v_mad_u64_u32 v[22:23], s[10:11], v22, 29, v[13:14]
	v_ashrrev_i32_e32 v23, 31, v22
	v_lshlrev_b64 v[22:23], 4, v[22:23]
	v_add_co_u32_e32 v22, vcc, s2, v22
	v_addc_co_u32_e32 v23, vcc, v24, v23, vcc
	global_load_dwordx4 v[22:25], v[22:23], off
	v_add_co_u32_e32 v14, vcc, 0x1a48, v14
	v_addc_co_u32_e32 v15, vcc, 0, v15, vcc
	s_waitcnt vmcnt(0)
	v_fma_f64 v[9:10], v[26:27], v[22:23], v[9:10]
	v_fma_f64 v[11:12], v[22:23], 0, v[11:12]
	;; [unrolled: 1-line block ×4, first 2 shown]
	s_branch .LBB460_7
.LBB460_10:
	v_lshlrev_b32_e32 v17, 4, v0
	s_and_b64 vcc, exec, s[16:17]
	ds_write_b128 v17, v[9:12]
	s_waitcnt lgkmcnt(0)
	s_barrier
	s_cbranch_vccz .LBB460_22
; %bb.11:
	v_cmp_gt_u16_e32 vcc, 13, v20
	s_and_saveexec_b64 s[0:1], vcc
	s_cbranch_execz .LBB460_13
; %bb.12:
	ds_read_b128 v[13:16], v17 offset:256
	ds_read_b128 v[21:24], v17
	s_waitcnt lgkmcnt(0)
	v_add_f64 v[13:14], v[13:14], v[21:22]
	v_add_f64 v[15:16], v[15:16], v[23:24]
	ds_write_b128 v17, v[13:16]
.LBB460_13:
	s_or_b64 exec, exec, s[0:1]
	v_cmp_gt_u16_e32 vcc, 8, v20
	s_waitcnt lgkmcnt(0)
	s_barrier
	s_and_saveexec_b64 s[0:1], vcc
	s_cbranch_execz .LBB460_15
; %bb.14:
	ds_read_b128 v[13:16], v17 offset:128
	ds_read_b128 v[21:24], v17
	s_waitcnt lgkmcnt(0)
	v_add_f64 v[13:14], v[13:14], v[21:22]
	v_add_f64 v[15:16], v[15:16], v[23:24]
	ds_write_b128 v17, v[13:16]
.LBB460_15:
	s_or_b64 exec, exec, s[0:1]
	v_cmp_gt_u16_e32 vcc, 4, v20
	s_waitcnt lgkmcnt(0)
	s_barrier
	;; [unrolled: 14-line block ×3, first 2 shown]
	s_and_saveexec_b64 s[0:1], vcc
	s_cbranch_execz .LBB460_19
; %bb.18:
	ds_read_b128 v[13:16], v17
	ds_read_b128 v[18:21], v17 offset:32
	s_waitcnt lgkmcnt(0)
	v_add_f64 v[13:14], v[18:19], v[13:14]
	v_add_f64 v[15:16], v[20:21], v[15:16]
	ds_write_b128 v17, v[13:16]
.LBB460_19:
	s_or_b64 exec, exec, s[0:1]
	v_mov_b32_e32 v16, v12
	v_mov_b32_e32 v14, v10
	v_cmp_gt_u32_e32 vcc, 29, v0
	v_mov_b32_e32 v15, v11
	v_mov_b32_e32 v13, v9
	s_waitcnt lgkmcnt(0)
	s_barrier
	s_and_saveexec_b64 s[0:1], vcc
	s_cbranch_execz .LBB460_21
; %bb.20:
	s_movk_i32 s2, 0x1c0
	v_mad_u32_u24 v18, v0, s2, v17
	ds_read_b128 v[13:16], v18
	ds_read_b128 v[18:21], v18 offset:16
	s_waitcnt lgkmcnt(0)
	v_add_f64 v[13:14], v[18:19], v[13:14]
	v_add_f64 v[15:16], v[20:21], v[15:16]
.LBB460_21:
	s_or_b64 exec, exec, s[0:1]
	s_branch .LBB460_34
.LBB460_22:
                                        ; implicit-def: $vgpr15_vgpr16
                                        ; implicit-def: $vgpr13_vgpr14
	s_cbranch_execz .LBB460_34
; %bb.23:
	s_movk_i32 s0, 0x179
	v_cmp_gt_u32_e32 vcc, s0, v0
	s_and_saveexec_b64 s[0:1], vcc
	s_cbranch_execz .LBB460_25
; %bb.24:
	ds_read_b128 v[13:16], v17 offset:7424
	ds_read_b128 v[18:21], v17
	s_waitcnt lgkmcnt(0)
	v_add_f64 v[13:14], v[13:14], v[18:19]
	v_add_f64 v[15:16], v[15:16], v[20:21]
	ds_write_b128 v17, v[13:16]
.LBB460_25:
	s_or_b64 exec, exec, s[0:1]
	s_movk_i32 s0, 0xe8
	v_cmp_gt_u32_e32 vcc, s0, v0
	s_waitcnt lgkmcnt(0)
	s_barrier
	s_and_saveexec_b64 s[0:1], vcc
	s_cbranch_execz .LBB460_27
; %bb.26:
	ds_read_b128 v[13:16], v17 offset:3712
	ds_read_b128 v[18:21], v17
	s_waitcnt lgkmcnt(0)
	v_add_f64 v[13:14], v[13:14], v[18:19]
	v_add_f64 v[15:16], v[15:16], v[20:21]
	ds_write_b128 v17, v[13:16]
.LBB460_27:
	s_or_b64 exec, exec, s[0:1]
	s_movk_i32 s0, 0x74
	v_cmp_gt_u32_e32 vcc, s0, v0
	s_waitcnt lgkmcnt(0)
	s_barrier
	s_and_saveexec_b64 s[0:1], vcc
	s_cbranch_execz .LBB460_29
; %bb.28:
	ds_read_b128 v[13:16], v17 offset:1856
	ds_read_b128 v[18:21], v17
	s_waitcnt lgkmcnt(0)
	v_add_f64 v[13:14], v[13:14], v[18:19]
	v_add_f64 v[15:16], v[15:16], v[20:21]
	ds_write_b128 v17, v[13:16]
.LBB460_29:
	s_or_b64 exec, exec, s[0:1]
	v_cmp_gt_u32_e32 vcc, 58, v0
	s_waitcnt lgkmcnt(0)
	s_barrier
	s_and_saveexec_b64 s[0:1], vcc
	s_cbranch_execz .LBB460_31
; %bb.30:
	ds_read_b128 v[13:16], v17 offset:928
	ds_read_b128 v[18:21], v17
	s_waitcnt lgkmcnt(0)
	v_add_f64 v[13:14], v[13:14], v[18:19]
	v_add_f64 v[15:16], v[15:16], v[20:21]
	ds_write_b128 v17, v[13:16]
.LBB460_31:
	s_or_b64 exec, exec, s[0:1]
	v_cmp_gt_u32_e32 vcc, 29, v0
	s_waitcnt lgkmcnt(0)
	s_and_saveexec_b64 s[0:1], vcc
	s_cbranch_execz .LBB460_33
; %bb.32:
	ds_read_b128 v[9:12], v17 offset:464
	ds_read_b128 v[13:16], v17
	s_waitcnt lgkmcnt(0)
	v_add_f64 v[9:10], v[9:10], v[13:14]
	v_add_f64 v[11:12], v[11:12], v[15:16]
.LBB460_33:
	s_or_b64 exec, exec, s[0:1]
	v_mov_b32_e32 v16, v12
	v_mov_b32_e32 v14, v10
	;; [unrolled: 1-line block ×4, first 2 shown]
.LBB460_34:
	v_cmp_gt_u32_e32 vcc, 29, v0
	s_and_b64 exec, exec, vcc
	s_cbranch_execz .LBB460_39
; %bb.35:
	v_mul_f64 v[9:10], v[15:16], -v[7:8]
	v_mul_f64 v[11:12], v[5:6], v[15:16]
	v_cmp_eq_f64_e32 vcc, 0, v[1:2]
	v_cmp_eq_f64_e64 s[0:1], 0, v[3:4]
	v_fma_f64 v[5:6], v[5:6], v[13:14], v[9:10]
	v_fma_f64 v[7:8], v[7:8], v[13:14], v[11:12]
	s_and_b64 s[0:1], vcc, s[0:1]
	s_and_saveexec_b64 s[2:3], s[0:1]
	s_xor_b64 s[0:1], exec, s[2:3]
	s_cbranch_execz .LBB460_37
; %bb.36:
	v_mad_u64_u32 v[0:1], s[2:3], s6, 29, v[0:1]
	v_mov_b32_e32 v1, 0
	v_mov_b32_e32 v2, s13
	v_lshlrev_b64 v[0:1], 4, v[0:1]
	v_add_co_u32_e32 v0, vcc, s12, v0
	v_addc_co_u32_e32 v1, vcc, v2, v1, vcc
	global_store_dwordx4 v[0:1], v[5:8], off
                                        ; implicit-def: $vgpr0
                                        ; implicit-def: $vgpr1_vgpr2
                                        ; implicit-def: $vgpr5_vgpr6
.LBB460_37:
	s_andn2_saveexec_b64 s[0:1], s[0:1]
	s_cbranch_execz .LBB460_39
; %bb.38:
	v_mad_u64_u32 v[9:10], s[0:1], s6, 29, v[0:1]
	v_mov_b32_e32 v10, 0
	v_mov_b32_e32 v0, s13
	v_lshlrev_b64 v[9:10], 4, v[9:10]
	v_add_co_u32_e32 v13, vcc, s12, v9
	v_addc_co_u32_e32 v14, vcc, v0, v10, vcc
	global_load_dwordx4 v[9:12], v[13:14], off
	s_waitcnt vmcnt(0)
	v_fma_f64 v[5:6], v[1:2], v[9:10], v[5:6]
	v_fma_f64 v[7:8], v[3:4], v[9:10], v[7:8]
	v_fma_f64 v[3:4], -v[3:4], v[11:12], v[5:6]
	v_fma_f64 v[5:6], v[1:2], v[11:12], v[7:8]
	global_store_dwordx4 v[13:14], v[3:6], off
.LBB460_39:
	s_endpgm
	.section	.rodata,"a",@progbits
	.p2align	6, 0x0
	.amdhsa_kernel _ZN9rocsparseL20bsrxmvn_17_32_kernelILj29E21rocsparse_complex_numIdElidS2_S2_EEvT2_20rocsparse_direction_NS_24const_host_device_scalarIT0_EES3_PKS3_PKT1_SC_S9_PKT3_PKT4_S7_PT5_21rocsparse_index_base_b
		.amdhsa_group_segment_fixed_size 13456
		.amdhsa_private_segment_fixed_size 0
		.amdhsa_kernarg_size 112
		.amdhsa_user_sgpr_count 6
		.amdhsa_user_sgpr_private_segment_buffer 1
		.amdhsa_user_sgpr_dispatch_ptr 0
		.amdhsa_user_sgpr_queue_ptr 0
		.amdhsa_user_sgpr_kernarg_segment_ptr 1
		.amdhsa_user_sgpr_dispatch_id 0
		.amdhsa_user_sgpr_flat_scratch_init 0
		.amdhsa_user_sgpr_private_segment_size 0
		.amdhsa_uses_dynamic_stack 0
		.amdhsa_system_sgpr_private_segment_wavefront_offset 0
		.amdhsa_system_sgpr_workgroup_id_x 1
		.amdhsa_system_sgpr_workgroup_id_y 0
		.amdhsa_system_sgpr_workgroup_id_z 0
		.amdhsa_system_sgpr_workgroup_info 0
		.amdhsa_system_vgpr_workitem_id 0
		.amdhsa_next_free_vgpr 33
		.amdhsa_next_free_sgpr 77
		.amdhsa_reserve_vcc 1
		.amdhsa_reserve_flat_scratch 0
		.amdhsa_float_round_mode_32 0
		.amdhsa_float_round_mode_16_64 0
		.amdhsa_float_denorm_mode_32 3
		.amdhsa_float_denorm_mode_16_64 3
		.amdhsa_dx10_clamp 1
		.amdhsa_ieee_mode 1
		.amdhsa_fp16_overflow 0
		.amdhsa_exception_fp_ieee_invalid_op 0
		.amdhsa_exception_fp_denorm_src 0
		.amdhsa_exception_fp_ieee_div_zero 0
		.amdhsa_exception_fp_ieee_overflow 0
		.amdhsa_exception_fp_ieee_underflow 0
		.amdhsa_exception_fp_ieee_inexact 0
		.amdhsa_exception_int_div_zero 0
	.end_amdhsa_kernel
	.section	.text._ZN9rocsparseL20bsrxmvn_17_32_kernelILj29E21rocsparse_complex_numIdElidS2_S2_EEvT2_20rocsparse_direction_NS_24const_host_device_scalarIT0_EES3_PKS3_PKT1_SC_S9_PKT3_PKT4_S7_PT5_21rocsparse_index_base_b,"axG",@progbits,_ZN9rocsparseL20bsrxmvn_17_32_kernelILj29E21rocsparse_complex_numIdElidS2_S2_EEvT2_20rocsparse_direction_NS_24const_host_device_scalarIT0_EES3_PKS3_PKT1_SC_S9_PKT3_PKT4_S7_PT5_21rocsparse_index_base_b,comdat
.Lfunc_end460:
	.size	_ZN9rocsparseL20bsrxmvn_17_32_kernelILj29E21rocsparse_complex_numIdElidS2_S2_EEvT2_20rocsparse_direction_NS_24const_host_device_scalarIT0_EES3_PKS3_PKT1_SC_S9_PKT3_PKT4_S7_PT5_21rocsparse_index_base_b, .Lfunc_end460-_ZN9rocsparseL20bsrxmvn_17_32_kernelILj29E21rocsparse_complex_numIdElidS2_S2_EEvT2_20rocsparse_direction_NS_24const_host_device_scalarIT0_EES3_PKS3_PKT1_SC_S9_PKT3_PKT4_S7_PT5_21rocsparse_index_base_b
                                        ; -- End function
	.set _ZN9rocsparseL20bsrxmvn_17_32_kernelILj29E21rocsparse_complex_numIdElidS2_S2_EEvT2_20rocsparse_direction_NS_24const_host_device_scalarIT0_EES3_PKS3_PKT1_SC_S9_PKT3_PKT4_S7_PT5_21rocsparse_index_base_b.num_vgpr, 28
	.set _ZN9rocsparseL20bsrxmvn_17_32_kernelILj29E21rocsparse_complex_numIdElidS2_S2_EEvT2_20rocsparse_direction_NS_24const_host_device_scalarIT0_EES3_PKS3_PKT1_SC_S9_PKT3_PKT4_S7_PT5_21rocsparse_index_base_b.num_agpr, 0
	.set _ZN9rocsparseL20bsrxmvn_17_32_kernelILj29E21rocsparse_complex_numIdElidS2_S2_EEvT2_20rocsparse_direction_NS_24const_host_device_scalarIT0_EES3_PKS3_PKT1_SC_S9_PKT3_PKT4_S7_PT5_21rocsparse_index_base_b.numbered_sgpr, 22
	.set _ZN9rocsparseL20bsrxmvn_17_32_kernelILj29E21rocsparse_complex_numIdElidS2_S2_EEvT2_20rocsparse_direction_NS_24const_host_device_scalarIT0_EES3_PKS3_PKT1_SC_S9_PKT3_PKT4_S7_PT5_21rocsparse_index_base_b.num_named_barrier, 0
	.set _ZN9rocsparseL20bsrxmvn_17_32_kernelILj29E21rocsparse_complex_numIdElidS2_S2_EEvT2_20rocsparse_direction_NS_24const_host_device_scalarIT0_EES3_PKS3_PKT1_SC_S9_PKT3_PKT4_S7_PT5_21rocsparse_index_base_b.private_seg_size, 0
	.set _ZN9rocsparseL20bsrxmvn_17_32_kernelILj29E21rocsparse_complex_numIdElidS2_S2_EEvT2_20rocsparse_direction_NS_24const_host_device_scalarIT0_EES3_PKS3_PKT1_SC_S9_PKT3_PKT4_S7_PT5_21rocsparse_index_base_b.uses_vcc, 1
	.set _ZN9rocsparseL20bsrxmvn_17_32_kernelILj29E21rocsparse_complex_numIdElidS2_S2_EEvT2_20rocsparse_direction_NS_24const_host_device_scalarIT0_EES3_PKS3_PKT1_SC_S9_PKT3_PKT4_S7_PT5_21rocsparse_index_base_b.uses_flat_scratch, 0
	.set _ZN9rocsparseL20bsrxmvn_17_32_kernelILj29E21rocsparse_complex_numIdElidS2_S2_EEvT2_20rocsparse_direction_NS_24const_host_device_scalarIT0_EES3_PKS3_PKT1_SC_S9_PKT3_PKT4_S7_PT5_21rocsparse_index_base_b.has_dyn_sized_stack, 0
	.set _ZN9rocsparseL20bsrxmvn_17_32_kernelILj29E21rocsparse_complex_numIdElidS2_S2_EEvT2_20rocsparse_direction_NS_24const_host_device_scalarIT0_EES3_PKS3_PKT1_SC_S9_PKT3_PKT4_S7_PT5_21rocsparse_index_base_b.has_recursion, 0
	.set _ZN9rocsparseL20bsrxmvn_17_32_kernelILj29E21rocsparse_complex_numIdElidS2_S2_EEvT2_20rocsparse_direction_NS_24const_host_device_scalarIT0_EES3_PKS3_PKT1_SC_S9_PKT3_PKT4_S7_PT5_21rocsparse_index_base_b.has_indirect_call, 0
	.section	.AMDGPU.csdata,"",@progbits
; Kernel info:
; codeLenInByte = 1728
; TotalNumSgprs: 26
; NumVgprs: 28
; ScratchSize: 0
; MemoryBound: 0
; FloatMode: 240
; IeeeMode: 1
; LDSByteSize: 13456 bytes/workgroup (compile time only)
; SGPRBlocks: 10
; VGPRBlocks: 8
; NumSGPRsForWavesPerEU: 81
; NumVGPRsForWavesPerEU: 33
; Occupancy: 7
; WaveLimiterHint : 1
; COMPUTE_PGM_RSRC2:SCRATCH_EN: 0
; COMPUTE_PGM_RSRC2:USER_SGPR: 6
; COMPUTE_PGM_RSRC2:TRAP_HANDLER: 0
; COMPUTE_PGM_RSRC2:TGID_X_EN: 1
; COMPUTE_PGM_RSRC2:TGID_Y_EN: 0
; COMPUTE_PGM_RSRC2:TGID_Z_EN: 0
; COMPUTE_PGM_RSRC2:TIDIG_COMP_CNT: 0
	.section	.text._ZN9rocsparseL20bsrxmvn_17_32_kernelILj30E21rocsparse_complex_numIdElidS2_S2_EEvT2_20rocsparse_direction_NS_24const_host_device_scalarIT0_EES3_PKS3_PKT1_SC_S9_PKT3_PKT4_S7_PT5_21rocsparse_index_base_b,"axG",@progbits,_ZN9rocsparseL20bsrxmvn_17_32_kernelILj30E21rocsparse_complex_numIdElidS2_S2_EEvT2_20rocsparse_direction_NS_24const_host_device_scalarIT0_EES3_PKS3_PKT1_SC_S9_PKT3_PKT4_S7_PT5_21rocsparse_index_base_b,comdat
	.globl	_ZN9rocsparseL20bsrxmvn_17_32_kernelILj30E21rocsparse_complex_numIdElidS2_S2_EEvT2_20rocsparse_direction_NS_24const_host_device_scalarIT0_EES3_PKS3_PKT1_SC_S9_PKT3_PKT4_S7_PT5_21rocsparse_index_base_b ; -- Begin function _ZN9rocsparseL20bsrxmvn_17_32_kernelILj30E21rocsparse_complex_numIdElidS2_S2_EEvT2_20rocsparse_direction_NS_24const_host_device_scalarIT0_EES3_PKS3_PKT1_SC_S9_PKT3_PKT4_S7_PT5_21rocsparse_index_base_b
	.p2align	8
	.type	_ZN9rocsparseL20bsrxmvn_17_32_kernelILj30E21rocsparse_complex_numIdElidS2_S2_EEvT2_20rocsparse_direction_NS_24const_host_device_scalarIT0_EES3_PKS3_PKT1_SC_S9_PKT3_PKT4_S7_PT5_21rocsparse_index_base_b,@function
_ZN9rocsparseL20bsrxmvn_17_32_kernelILj30E21rocsparse_complex_numIdElidS2_S2_EEvT2_20rocsparse_direction_NS_24const_host_device_scalarIT0_EES3_PKS3_PKT1_SC_S9_PKT3_PKT4_S7_PT5_21rocsparse_index_base_b: ; @_ZN9rocsparseL20bsrxmvn_17_32_kernelILj30E21rocsparse_complex_numIdElidS2_S2_EEvT2_20rocsparse_direction_NS_24const_host_device_scalarIT0_EES3_PKS3_PKT1_SC_S9_PKT3_PKT4_S7_PT5_21rocsparse_index_base_b
; %bb.0:
	s_load_dwordx2 s[0:1], s[4:5], 0x8
	s_load_dwordx2 s[14:15], s[4:5], 0x68
	s_add_u32 s7, s4, 8
	s_addc_u32 s8, s5, 0
	s_add_u32 s9, s4, 0x50
	s_addc_u32 s10, s5, 0
	s_waitcnt lgkmcnt(0)
	s_bitcmp1_b32 s15, 0
	s_cselect_b32 s1, s8, s1
	s_cselect_b32 s0, s7, s0
	v_mov_b32_e32 v1, s0
	v_mov_b32_e32 v2, s1
	flat_load_dwordx4 v[5:8], v[1:2]
	s_load_dwordx2 s[2:3], s[4:5], 0x50
	s_waitcnt lgkmcnt(0)
	s_cselect_b32 s0, s10, s3
	s_cselect_b32 s1, s9, s2
	v_mov_b32_e32 v1, s1
	v_mov_b32_e32 v2, s0
	flat_load_dwordx4 v[1:4], v[1:2]
	s_waitcnt vmcnt(0)
	v_cmp_eq_f64_e32 vcc, 0, v[5:6]
	v_cmp_eq_f64_e64 s[0:1], 0, v[7:8]
	s_and_b64 s[8:9], vcc, s[0:1]
	s_mov_b64 s[0:1], -1
	s_and_saveexec_b64 s[2:3], s[8:9]
	s_cbranch_execz .LBB461_2
; %bb.1:
	s_waitcnt lgkmcnt(0)
	v_cmp_neq_f64_e32 vcc, 1.0, v[1:2]
	v_cmp_neq_f64_e64 s[0:1], 0, v[3:4]
	s_or_b64 s[0:1], vcc, s[0:1]
	s_orn2_b64 s[0:1], s[0:1], exec
.LBB461_2:
	s_or_b64 exec, exec, s[2:3]
	s_and_saveexec_b64 s[2:3], s[0:1]
	s_cbranch_execz .LBB461_39
; %bb.3:
	s_load_dwordx4 s[0:3], s[4:5], 0x20
	s_load_dwordx2 s[8:9], s[4:5], 0x30
	s_waitcnt lgkmcnt(0)
	s_cmp_eq_u64 s[0:1], 0
	s_cbranch_scc1 .LBB461_5
; %bb.4:
	s_ashr_i32 s7, s6, 31
	s_lshl_b64 s[6:7], s[6:7], 2
	s_add_u32 s0, s0, s6
	s_addc_u32 s1, s1, s7
	s_load_dword s0, s[0:1], 0x0
	s_waitcnt lgkmcnt(0)
	s_sub_i32 s6, s0, s14
.LBB461_5:
	s_load_dword s7, s[4:5], 0x4
	s_load_dwordx2 s[12:13], s[4:5], 0x60
	v_mul_u32_u24_e32 v13, 0x889, v0
	v_mov_b32_e32 v9, 30
	v_mul_lo_u16_sdwa v9, v13, v9 dst_sel:DWORD dst_unused:UNUSED_PAD src0_sel:WORD_1 src1_sel:DWORD
	s_waitcnt lgkmcnt(0)
	s_cmp_eq_u32 s7, 1
	s_cselect_b64 s[0:1], -1, 0
	s_cmp_lg_u32 s7, 1
	s_cselect_b64 s[16:17], -1, 0
	s_ashr_i32 s7, s6, 31
	s_lshl_b64 s[10:11], s[6:7], 3
	s_add_u32 s2, s2, s10
	s_addc_u32 s3, s3, s11
	s_add_u32 s7, s2, 8
	s_addc_u32 s15, s3, 0
	;; [unrolled: 2-line block ×3, first 2 shown]
	s_cmp_eq_u64 s[8:9], 0
	s_cselect_b32 s9, s15, s11
	s_cselect_b32 s8, s7, s10
	s_load_dwordx2 s[18:19], s[8:9], 0x0
	s_load_dwordx2 s[20:21], s[2:3], 0x0
	v_sub_u16_e32 v20, v0, v9
	v_mov_b32_e32 v11, 0
	v_mov_b32_e32 v12, 0
	s_waitcnt lgkmcnt(0)
	v_mov_b32_e32 v9, s18
	v_mov_b32_e32 v10, s19
	v_cmp_ge_i64_e32 vcc, s[20:21], v[9:10]
	v_mov_b32_e32 v9, 0
	v_mov_b32_e32 v10, 0
	s_cbranch_vccnz .LBB461_10
; %bb.6:
	s_load_dwordx2 s[2:3], s[4:5], 0x48
	s_load_dwordx4 s[8:11], s[4:5], 0x38
	s_sub_u32 s4, s18, s14
	s_mov_b32 s7, 0xffff
	s_subb_u32 s5, s19, 0
	s_movk_i32 s15, 0x384
	v_and_b32_sdwa v9, s7, v13 dst_sel:DWORD dst_unused:UNUSED_PAD src0_sel:DWORD src1_sel:WORD_1
	v_subrev_u32_e32 v10, 30, v9
	v_cmp_gt_u32_e32 vcc, s15, v0
	s_sub_u32 s18, s20, s14
	v_cndmask_b32_e32 v9, v10, v9, vcc
	s_subb_u32 s19, s21, 0
	v_cndmask_b32_e64 v13, v20, v9, s[0:1]
	s_mul_i32 s0, s19, 0x1c20
	s_mul_hi_u32 s1, s18, 0x1c20
	s_add_i32 s1, s1, s0
	s_mul_i32 s0, s18, 0x1c20
	s_waitcnt lgkmcnt(0)
	s_add_u32 s0, s10, s0
	s_addc_u32 s1, s11, s1
	v_lshlrev_b32_e32 v9, 3, v0
	v_mov_b32_e32 v10, s1
	v_add_co_u32_e32 v14, vcc, s0, v9
	v_addc_co_u32_e32 v15, vcc, 0, v10, vcc
	s_movk_i32 s0, 0x383
	v_cmp_lt_u32_e32 vcc, s0, v0
	v_cndmask_b32_e64 v21, 0, 1, vcc
	v_mov_b32_e32 v9, s21
	v_add_co_u32_e32 v10, vcc, s20, v21
	v_addc_co_u32_e32 v11, vcc, 0, v9, vcc
	v_subrev_co_u32_e32 v9, vcc, s14, v10
	v_subbrev_co_u32_e32 v10, vcc, 0, v11, vcc
	v_lshlrev_b64 v[9:10], 2, v[9:10]
	v_mov_b32_e32 v11, s9
	v_add_co_u32_e32 v16, vcc, s8, v9
	v_addc_co_u32_e32 v17, vcc, v11, v10, vcc
	v_mov_b32_e32 v11, 0
	v_mov_b32_e32 v12, 0
	s_mov_b32 s8, 0
	v_mov_b32_e32 v19, s5
	v_mov_b32_e32 v9, v11
	s_brev_b32 s9, 1
	v_mov_b32_e32 v18, s4
	v_mov_b32_e32 v10, v12
	s_branch .LBB461_8
.LBB461_7:                              ;   in Loop: Header=BB461_8 Depth=1
	s_or_b64 exec, exec, s[0:1]
	s_add_u32 s18, s18, 1
	s_addc_u32 s19, s19, 0
	v_cmp_lt_i64_e32 vcc, s[18:19], v[18:19]
	v_add_co_u32_e64 v16, s[0:1], 4, v16
	v_addc_co_u32_e64 v17, s[0:1], 0, v17, s[0:1]
	s_cbranch_vccz .LBB461_10
.LBB461_8:                              ; =>This Inner Loop Header: Depth=1
	v_mov_b32_e32 v23, s19
	v_add_co_u32_e32 v22, vcc, s18, v21
	v_addc_co_u32_e32 v23, vcc, 0, v23, vcc
	v_cmp_gt_i64_e32 vcc, s[4:5], v[22:23]
	s_and_saveexec_b64 s[0:1], vcc
	s_cbranch_execz .LBB461_7
; %bb.9:                                ;   in Loop: Header=BB461_8 Depth=1
	global_load_dword v22, v[16:17], off
	v_mov_b32_e32 v24, s3
	global_load_dwordx2 v[26:27], v[14:15], off
	s_waitcnt vmcnt(1)
	v_subrev_u32_e32 v22, s14, v22
	v_mad_u64_u32 v[22:23], s[10:11], v22, 30, v[13:14]
	v_ashrrev_i32_e32 v23, 31, v22
	v_lshlrev_b64 v[22:23], 4, v[22:23]
	v_add_co_u32_e32 v22, vcc, s2, v22
	v_addc_co_u32_e32 v23, vcc, v24, v23, vcc
	global_load_dwordx4 v[22:25], v[22:23], off
	v_add_co_u32_e32 v14, vcc, 0x1c20, v14
	v_addc_co_u32_e32 v15, vcc, 0, v15, vcc
	s_waitcnt vmcnt(0)
	v_fma_f64 v[9:10], v[26:27], v[22:23], v[9:10]
	v_fma_f64 v[11:12], v[22:23], 0, v[11:12]
	;; [unrolled: 1-line block ×4, first 2 shown]
	s_branch .LBB461_7
.LBB461_10:
	v_lshlrev_b32_e32 v17, 4, v0
	s_and_b64 vcc, exec, s[16:17]
	ds_write_b128 v17, v[9:12]
	s_waitcnt lgkmcnt(0)
	s_barrier
	s_cbranch_vccz .LBB461_22
; %bb.11:
	v_cmp_gt_u16_e32 vcc, 14, v20
	s_and_saveexec_b64 s[0:1], vcc
	s_cbranch_execz .LBB461_13
; %bb.12:
	ds_read_b128 v[13:16], v17 offset:256
	ds_read_b128 v[21:24], v17
	s_waitcnt lgkmcnt(0)
	v_add_f64 v[13:14], v[13:14], v[21:22]
	v_add_f64 v[15:16], v[15:16], v[23:24]
	ds_write_b128 v17, v[13:16]
.LBB461_13:
	s_or_b64 exec, exec, s[0:1]
	v_cmp_gt_u16_e32 vcc, 8, v20
	s_waitcnt lgkmcnt(0)
	s_barrier
	s_and_saveexec_b64 s[0:1], vcc
	s_cbranch_execz .LBB461_15
; %bb.14:
	ds_read_b128 v[13:16], v17 offset:128
	ds_read_b128 v[21:24], v17
	s_waitcnt lgkmcnt(0)
	v_add_f64 v[13:14], v[13:14], v[21:22]
	v_add_f64 v[15:16], v[15:16], v[23:24]
	ds_write_b128 v17, v[13:16]
.LBB461_15:
	s_or_b64 exec, exec, s[0:1]
	v_cmp_gt_u16_e32 vcc, 4, v20
	s_waitcnt lgkmcnt(0)
	s_barrier
	;; [unrolled: 14-line block ×3, first 2 shown]
	s_and_saveexec_b64 s[0:1], vcc
	s_cbranch_execz .LBB461_19
; %bb.18:
	ds_read_b128 v[13:16], v17
	ds_read_b128 v[18:21], v17 offset:32
	s_waitcnt lgkmcnt(0)
	v_add_f64 v[13:14], v[18:19], v[13:14]
	v_add_f64 v[15:16], v[20:21], v[15:16]
	ds_write_b128 v17, v[13:16]
.LBB461_19:
	s_or_b64 exec, exec, s[0:1]
	v_mov_b32_e32 v16, v12
	v_mov_b32_e32 v14, v10
	v_cmp_gt_u32_e32 vcc, 30, v0
	v_mov_b32_e32 v15, v11
	v_mov_b32_e32 v13, v9
	s_waitcnt lgkmcnt(0)
	s_barrier
	s_and_saveexec_b64 s[0:1], vcc
	s_cbranch_execz .LBB461_21
; %bb.20:
	s_movk_i32 s2, 0x1d0
	v_mad_u32_u24 v18, v0, s2, v17
	ds_read_b128 v[13:16], v18
	ds_read_b128 v[18:21], v18 offset:16
	s_waitcnt lgkmcnt(0)
	v_add_f64 v[13:14], v[18:19], v[13:14]
	v_add_f64 v[15:16], v[20:21], v[15:16]
.LBB461_21:
	s_or_b64 exec, exec, s[0:1]
	s_branch .LBB461_34
.LBB461_22:
                                        ; implicit-def: $vgpr15_vgpr16
                                        ; implicit-def: $vgpr13_vgpr14
	s_cbranch_execz .LBB461_34
; %bb.23:
	s_movk_i32 s0, 0x1a4
	v_cmp_gt_u32_e32 vcc, s0, v0
	s_and_saveexec_b64 s[0:1], vcc
	s_cbranch_execz .LBB461_25
; %bb.24:
	ds_read_b128 v[13:16], v17 offset:7680
	ds_read_b128 v[18:21], v17
	s_waitcnt lgkmcnt(0)
	v_add_f64 v[13:14], v[13:14], v[18:19]
	v_add_f64 v[15:16], v[15:16], v[20:21]
	ds_write_b128 v17, v[13:16]
.LBB461_25:
	s_or_b64 exec, exec, s[0:1]
	s_movk_i32 s0, 0xf0
	v_cmp_gt_u32_e32 vcc, s0, v0
	s_waitcnt lgkmcnt(0)
	s_barrier
	s_and_saveexec_b64 s[0:1], vcc
	s_cbranch_execz .LBB461_27
; %bb.26:
	ds_read_b128 v[13:16], v17 offset:3840
	ds_read_b128 v[18:21], v17
	s_waitcnt lgkmcnt(0)
	v_add_f64 v[13:14], v[13:14], v[18:19]
	v_add_f64 v[15:16], v[15:16], v[20:21]
	ds_write_b128 v17, v[13:16]
.LBB461_27:
	s_or_b64 exec, exec, s[0:1]
	s_movk_i32 s0, 0x78
	v_cmp_gt_u32_e32 vcc, s0, v0
	s_waitcnt lgkmcnt(0)
	s_barrier
	s_and_saveexec_b64 s[0:1], vcc
	s_cbranch_execz .LBB461_29
; %bb.28:
	ds_read_b128 v[13:16], v17 offset:1920
	ds_read_b128 v[18:21], v17
	s_waitcnt lgkmcnt(0)
	v_add_f64 v[13:14], v[13:14], v[18:19]
	v_add_f64 v[15:16], v[15:16], v[20:21]
	ds_write_b128 v17, v[13:16]
.LBB461_29:
	s_or_b64 exec, exec, s[0:1]
	v_cmp_gt_u32_e32 vcc, 60, v0
	s_waitcnt lgkmcnt(0)
	s_barrier
	s_and_saveexec_b64 s[0:1], vcc
	s_cbranch_execz .LBB461_31
; %bb.30:
	ds_read_b128 v[13:16], v17 offset:960
	ds_read_b128 v[18:21], v17
	s_waitcnt lgkmcnt(0)
	v_add_f64 v[13:14], v[13:14], v[18:19]
	v_add_f64 v[15:16], v[15:16], v[20:21]
	ds_write_b128 v17, v[13:16]
.LBB461_31:
	s_or_b64 exec, exec, s[0:1]
	v_cmp_gt_u32_e32 vcc, 30, v0
	s_waitcnt lgkmcnt(0)
	s_and_saveexec_b64 s[0:1], vcc
	s_cbranch_execz .LBB461_33
; %bb.32:
	ds_read_b128 v[9:12], v17 offset:480
	ds_read_b128 v[13:16], v17
	s_waitcnt lgkmcnt(0)
	v_add_f64 v[9:10], v[9:10], v[13:14]
	v_add_f64 v[11:12], v[11:12], v[15:16]
.LBB461_33:
	s_or_b64 exec, exec, s[0:1]
	v_mov_b32_e32 v16, v12
	v_mov_b32_e32 v14, v10
	;; [unrolled: 1-line block ×4, first 2 shown]
.LBB461_34:
	v_cmp_gt_u32_e32 vcc, 30, v0
	s_and_b64 exec, exec, vcc
	s_cbranch_execz .LBB461_39
; %bb.35:
	v_mul_f64 v[9:10], v[15:16], -v[7:8]
	v_mul_f64 v[11:12], v[5:6], v[15:16]
	v_cmp_eq_f64_e32 vcc, 0, v[1:2]
	v_cmp_eq_f64_e64 s[0:1], 0, v[3:4]
	v_fma_f64 v[5:6], v[5:6], v[13:14], v[9:10]
	v_fma_f64 v[7:8], v[7:8], v[13:14], v[11:12]
	s_and_b64 s[0:1], vcc, s[0:1]
	s_and_saveexec_b64 s[2:3], s[0:1]
	s_xor_b64 s[0:1], exec, s[2:3]
	s_cbranch_execz .LBB461_37
; %bb.36:
	v_mad_u64_u32 v[0:1], s[2:3], s6, 30, v[0:1]
	v_mov_b32_e32 v1, 0
	v_mov_b32_e32 v2, s13
	v_lshlrev_b64 v[0:1], 4, v[0:1]
	v_add_co_u32_e32 v0, vcc, s12, v0
	v_addc_co_u32_e32 v1, vcc, v2, v1, vcc
	global_store_dwordx4 v[0:1], v[5:8], off
                                        ; implicit-def: $vgpr0
                                        ; implicit-def: $vgpr1_vgpr2
                                        ; implicit-def: $vgpr5_vgpr6
.LBB461_37:
	s_andn2_saveexec_b64 s[0:1], s[0:1]
	s_cbranch_execz .LBB461_39
; %bb.38:
	v_mad_u64_u32 v[9:10], s[0:1], s6, 30, v[0:1]
	v_mov_b32_e32 v10, 0
	v_mov_b32_e32 v0, s13
	v_lshlrev_b64 v[9:10], 4, v[9:10]
	v_add_co_u32_e32 v13, vcc, s12, v9
	v_addc_co_u32_e32 v14, vcc, v0, v10, vcc
	global_load_dwordx4 v[9:12], v[13:14], off
	s_waitcnt vmcnt(0)
	v_fma_f64 v[5:6], v[1:2], v[9:10], v[5:6]
	v_fma_f64 v[7:8], v[3:4], v[9:10], v[7:8]
	v_fma_f64 v[3:4], -v[3:4], v[11:12], v[5:6]
	v_fma_f64 v[5:6], v[1:2], v[11:12], v[7:8]
	global_store_dwordx4 v[13:14], v[3:6], off
.LBB461_39:
	s_endpgm
	.section	.rodata,"a",@progbits
	.p2align	6, 0x0
	.amdhsa_kernel _ZN9rocsparseL20bsrxmvn_17_32_kernelILj30E21rocsparse_complex_numIdElidS2_S2_EEvT2_20rocsparse_direction_NS_24const_host_device_scalarIT0_EES3_PKS3_PKT1_SC_S9_PKT3_PKT4_S7_PT5_21rocsparse_index_base_b
		.amdhsa_group_segment_fixed_size 14400
		.amdhsa_private_segment_fixed_size 0
		.amdhsa_kernarg_size 112
		.amdhsa_user_sgpr_count 6
		.amdhsa_user_sgpr_private_segment_buffer 1
		.amdhsa_user_sgpr_dispatch_ptr 0
		.amdhsa_user_sgpr_queue_ptr 0
		.amdhsa_user_sgpr_kernarg_segment_ptr 1
		.amdhsa_user_sgpr_dispatch_id 0
		.amdhsa_user_sgpr_flat_scratch_init 0
		.amdhsa_user_sgpr_private_segment_size 0
		.amdhsa_uses_dynamic_stack 0
		.amdhsa_system_sgpr_private_segment_wavefront_offset 0
		.amdhsa_system_sgpr_workgroup_id_x 1
		.amdhsa_system_sgpr_workgroup_id_y 0
		.amdhsa_system_sgpr_workgroup_id_z 0
		.amdhsa_system_sgpr_workgroup_info 0
		.amdhsa_system_vgpr_workitem_id 0
		.amdhsa_next_free_vgpr 29
		.amdhsa_next_free_sgpr 61
		.amdhsa_reserve_vcc 1
		.amdhsa_reserve_flat_scratch 0
		.amdhsa_float_round_mode_32 0
		.amdhsa_float_round_mode_16_64 0
		.amdhsa_float_denorm_mode_32 3
		.amdhsa_float_denorm_mode_16_64 3
		.amdhsa_dx10_clamp 1
		.amdhsa_ieee_mode 1
		.amdhsa_fp16_overflow 0
		.amdhsa_exception_fp_ieee_invalid_op 0
		.amdhsa_exception_fp_denorm_src 0
		.amdhsa_exception_fp_ieee_div_zero 0
		.amdhsa_exception_fp_ieee_overflow 0
		.amdhsa_exception_fp_ieee_underflow 0
		.amdhsa_exception_fp_ieee_inexact 0
		.amdhsa_exception_int_div_zero 0
	.end_amdhsa_kernel
	.section	.text._ZN9rocsparseL20bsrxmvn_17_32_kernelILj30E21rocsparse_complex_numIdElidS2_S2_EEvT2_20rocsparse_direction_NS_24const_host_device_scalarIT0_EES3_PKS3_PKT1_SC_S9_PKT3_PKT4_S7_PT5_21rocsparse_index_base_b,"axG",@progbits,_ZN9rocsparseL20bsrxmvn_17_32_kernelILj30E21rocsparse_complex_numIdElidS2_S2_EEvT2_20rocsparse_direction_NS_24const_host_device_scalarIT0_EES3_PKS3_PKT1_SC_S9_PKT3_PKT4_S7_PT5_21rocsparse_index_base_b,comdat
.Lfunc_end461:
	.size	_ZN9rocsparseL20bsrxmvn_17_32_kernelILj30E21rocsparse_complex_numIdElidS2_S2_EEvT2_20rocsparse_direction_NS_24const_host_device_scalarIT0_EES3_PKS3_PKT1_SC_S9_PKT3_PKT4_S7_PT5_21rocsparse_index_base_b, .Lfunc_end461-_ZN9rocsparseL20bsrxmvn_17_32_kernelILj30E21rocsparse_complex_numIdElidS2_S2_EEvT2_20rocsparse_direction_NS_24const_host_device_scalarIT0_EES3_PKS3_PKT1_SC_S9_PKT3_PKT4_S7_PT5_21rocsparse_index_base_b
                                        ; -- End function
	.set _ZN9rocsparseL20bsrxmvn_17_32_kernelILj30E21rocsparse_complex_numIdElidS2_S2_EEvT2_20rocsparse_direction_NS_24const_host_device_scalarIT0_EES3_PKS3_PKT1_SC_S9_PKT3_PKT4_S7_PT5_21rocsparse_index_base_b.num_vgpr, 28
	.set _ZN9rocsparseL20bsrxmvn_17_32_kernelILj30E21rocsparse_complex_numIdElidS2_S2_EEvT2_20rocsparse_direction_NS_24const_host_device_scalarIT0_EES3_PKS3_PKT1_SC_S9_PKT3_PKT4_S7_PT5_21rocsparse_index_base_b.num_agpr, 0
	.set _ZN9rocsparseL20bsrxmvn_17_32_kernelILj30E21rocsparse_complex_numIdElidS2_S2_EEvT2_20rocsparse_direction_NS_24const_host_device_scalarIT0_EES3_PKS3_PKT1_SC_S9_PKT3_PKT4_S7_PT5_21rocsparse_index_base_b.numbered_sgpr, 22
	.set _ZN9rocsparseL20bsrxmvn_17_32_kernelILj30E21rocsparse_complex_numIdElidS2_S2_EEvT2_20rocsparse_direction_NS_24const_host_device_scalarIT0_EES3_PKS3_PKT1_SC_S9_PKT3_PKT4_S7_PT5_21rocsparse_index_base_b.num_named_barrier, 0
	.set _ZN9rocsparseL20bsrxmvn_17_32_kernelILj30E21rocsparse_complex_numIdElidS2_S2_EEvT2_20rocsparse_direction_NS_24const_host_device_scalarIT0_EES3_PKS3_PKT1_SC_S9_PKT3_PKT4_S7_PT5_21rocsparse_index_base_b.private_seg_size, 0
	.set _ZN9rocsparseL20bsrxmvn_17_32_kernelILj30E21rocsparse_complex_numIdElidS2_S2_EEvT2_20rocsparse_direction_NS_24const_host_device_scalarIT0_EES3_PKS3_PKT1_SC_S9_PKT3_PKT4_S7_PT5_21rocsparse_index_base_b.uses_vcc, 1
	.set _ZN9rocsparseL20bsrxmvn_17_32_kernelILj30E21rocsparse_complex_numIdElidS2_S2_EEvT2_20rocsparse_direction_NS_24const_host_device_scalarIT0_EES3_PKS3_PKT1_SC_S9_PKT3_PKT4_S7_PT5_21rocsparse_index_base_b.uses_flat_scratch, 0
	.set _ZN9rocsparseL20bsrxmvn_17_32_kernelILj30E21rocsparse_complex_numIdElidS2_S2_EEvT2_20rocsparse_direction_NS_24const_host_device_scalarIT0_EES3_PKS3_PKT1_SC_S9_PKT3_PKT4_S7_PT5_21rocsparse_index_base_b.has_dyn_sized_stack, 0
	.set _ZN9rocsparseL20bsrxmvn_17_32_kernelILj30E21rocsparse_complex_numIdElidS2_S2_EEvT2_20rocsparse_direction_NS_24const_host_device_scalarIT0_EES3_PKS3_PKT1_SC_S9_PKT3_PKT4_S7_PT5_21rocsparse_index_base_b.has_recursion, 0
	.set _ZN9rocsparseL20bsrxmvn_17_32_kernelILj30E21rocsparse_complex_numIdElidS2_S2_EEvT2_20rocsparse_direction_NS_24const_host_device_scalarIT0_EES3_PKS3_PKT1_SC_S9_PKT3_PKT4_S7_PT5_21rocsparse_index_base_b.has_indirect_call, 0
	.section	.AMDGPU.csdata,"",@progbits
; Kernel info:
; codeLenInByte = 1728
; TotalNumSgprs: 26
; NumVgprs: 28
; ScratchSize: 0
; MemoryBound: 0
; FloatMode: 240
; IeeeMode: 1
; LDSByteSize: 14400 bytes/workgroup (compile time only)
; SGPRBlocks: 8
; VGPRBlocks: 7
; NumSGPRsForWavesPerEU: 65
; NumVGPRsForWavesPerEU: 29
; Occupancy: 8
; WaveLimiterHint : 1
; COMPUTE_PGM_RSRC2:SCRATCH_EN: 0
; COMPUTE_PGM_RSRC2:USER_SGPR: 6
; COMPUTE_PGM_RSRC2:TRAP_HANDLER: 0
; COMPUTE_PGM_RSRC2:TGID_X_EN: 1
; COMPUTE_PGM_RSRC2:TGID_Y_EN: 0
; COMPUTE_PGM_RSRC2:TGID_Z_EN: 0
; COMPUTE_PGM_RSRC2:TIDIG_COMP_CNT: 0
	.section	.text._ZN9rocsparseL20bsrxmvn_17_32_kernelILj31E21rocsparse_complex_numIdElidS2_S2_EEvT2_20rocsparse_direction_NS_24const_host_device_scalarIT0_EES3_PKS3_PKT1_SC_S9_PKT3_PKT4_S7_PT5_21rocsparse_index_base_b,"axG",@progbits,_ZN9rocsparseL20bsrxmvn_17_32_kernelILj31E21rocsparse_complex_numIdElidS2_S2_EEvT2_20rocsparse_direction_NS_24const_host_device_scalarIT0_EES3_PKS3_PKT1_SC_S9_PKT3_PKT4_S7_PT5_21rocsparse_index_base_b,comdat
	.globl	_ZN9rocsparseL20bsrxmvn_17_32_kernelILj31E21rocsparse_complex_numIdElidS2_S2_EEvT2_20rocsparse_direction_NS_24const_host_device_scalarIT0_EES3_PKS3_PKT1_SC_S9_PKT3_PKT4_S7_PT5_21rocsparse_index_base_b ; -- Begin function _ZN9rocsparseL20bsrxmvn_17_32_kernelILj31E21rocsparse_complex_numIdElidS2_S2_EEvT2_20rocsparse_direction_NS_24const_host_device_scalarIT0_EES3_PKS3_PKT1_SC_S9_PKT3_PKT4_S7_PT5_21rocsparse_index_base_b
	.p2align	8
	.type	_ZN9rocsparseL20bsrxmvn_17_32_kernelILj31E21rocsparse_complex_numIdElidS2_S2_EEvT2_20rocsparse_direction_NS_24const_host_device_scalarIT0_EES3_PKS3_PKT1_SC_S9_PKT3_PKT4_S7_PT5_21rocsparse_index_base_b,@function
_ZN9rocsparseL20bsrxmvn_17_32_kernelILj31E21rocsparse_complex_numIdElidS2_S2_EEvT2_20rocsparse_direction_NS_24const_host_device_scalarIT0_EES3_PKS3_PKT1_SC_S9_PKT3_PKT4_S7_PT5_21rocsparse_index_base_b: ; @_ZN9rocsparseL20bsrxmvn_17_32_kernelILj31E21rocsparse_complex_numIdElidS2_S2_EEvT2_20rocsparse_direction_NS_24const_host_device_scalarIT0_EES3_PKS3_PKT1_SC_S9_PKT3_PKT4_S7_PT5_21rocsparse_index_base_b
; %bb.0:
	s_load_dwordx2 s[0:1], s[4:5], 0x8
	s_load_dwordx2 s[14:15], s[4:5], 0x68
	s_add_u32 s7, s4, 8
	s_addc_u32 s8, s5, 0
	s_add_u32 s9, s4, 0x50
	s_addc_u32 s10, s5, 0
	s_waitcnt lgkmcnt(0)
	s_bitcmp1_b32 s15, 0
	s_cselect_b32 s1, s8, s1
	s_cselect_b32 s0, s7, s0
	v_mov_b32_e32 v1, s0
	v_mov_b32_e32 v2, s1
	flat_load_dwordx4 v[5:8], v[1:2]
	s_load_dwordx2 s[2:3], s[4:5], 0x50
	s_waitcnt lgkmcnt(0)
	s_cselect_b32 s0, s10, s3
	s_cselect_b32 s1, s9, s2
	v_mov_b32_e32 v1, s1
	v_mov_b32_e32 v2, s0
	flat_load_dwordx4 v[1:4], v[1:2]
	s_waitcnt vmcnt(0)
	v_cmp_eq_f64_e32 vcc, 0, v[5:6]
	v_cmp_eq_f64_e64 s[0:1], 0, v[7:8]
	s_and_b64 s[8:9], vcc, s[0:1]
	s_mov_b64 s[0:1], -1
	s_and_saveexec_b64 s[2:3], s[8:9]
	s_cbranch_execz .LBB462_2
; %bb.1:
	s_waitcnt lgkmcnt(0)
	v_cmp_neq_f64_e32 vcc, 1.0, v[1:2]
	v_cmp_neq_f64_e64 s[0:1], 0, v[3:4]
	s_or_b64 s[0:1], vcc, s[0:1]
	s_orn2_b64 s[0:1], s[0:1], exec
.LBB462_2:
	s_or_b64 exec, exec, s[2:3]
	s_and_saveexec_b64 s[2:3], s[0:1]
	s_cbranch_execz .LBB462_39
; %bb.3:
	s_load_dwordx4 s[0:3], s[4:5], 0x20
	s_load_dwordx2 s[8:9], s[4:5], 0x30
	s_waitcnt lgkmcnt(0)
	s_cmp_eq_u64 s[0:1], 0
	s_cbranch_scc1 .LBB462_5
; %bb.4:
	s_ashr_i32 s7, s6, 31
	s_lshl_b64 s[6:7], s[6:7], 2
	s_add_u32 s0, s0, s6
	s_addc_u32 s1, s1, s7
	s_load_dword s0, s[0:1], 0x0
	s_waitcnt lgkmcnt(0)
	s_sub_i32 s6, s0, s14
.LBB462_5:
	s_load_dword s7, s[4:5], 0x4
	s_load_dwordx2 s[12:13], s[4:5], 0x60
	v_mul_u32_u24_e32 v13, 0x843, v0
	v_mov_b32_e32 v9, 31
	v_mul_lo_u16_sdwa v9, v13, v9 dst_sel:DWORD dst_unused:UNUSED_PAD src0_sel:WORD_1 src1_sel:DWORD
	s_waitcnt lgkmcnt(0)
	s_cmp_eq_u32 s7, 1
	s_cselect_b64 s[0:1], -1, 0
	s_cmp_lg_u32 s7, 1
	s_cselect_b64 s[16:17], -1, 0
	s_ashr_i32 s7, s6, 31
	s_lshl_b64 s[10:11], s[6:7], 3
	s_add_u32 s2, s2, s10
	s_addc_u32 s3, s3, s11
	s_add_u32 s7, s2, 8
	s_addc_u32 s15, s3, 0
	;; [unrolled: 2-line block ×3, first 2 shown]
	s_cmp_eq_u64 s[8:9], 0
	s_cselect_b32 s9, s15, s11
	s_cselect_b32 s8, s7, s10
	s_load_dwordx2 s[18:19], s[8:9], 0x0
	s_load_dwordx2 s[20:21], s[2:3], 0x0
	v_sub_u16_e32 v20, v0, v9
	v_mov_b32_e32 v11, 0
	v_mov_b32_e32 v12, 0
	s_waitcnt lgkmcnt(0)
	v_mov_b32_e32 v9, s18
	v_mov_b32_e32 v10, s19
	v_cmp_ge_i64_e32 vcc, s[20:21], v[9:10]
	v_mov_b32_e32 v9, 0
	v_mov_b32_e32 v10, 0
	s_cbranch_vccnz .LBB462_10
; %bb.6:
	s_load_dwordx2 s[2:3], s[4:5], 0x48
	s_load_dwordx4 s[8:11], s[4:5], 0x38
	s_sub_u32 s4, s18, s14
	s_mov_b32 s7, 0xffff
	s_subb_u32 s5, s19, 0
	s_movk_i32 s15, 0x3c1
	v_and_b32_sdwa v9, s7, v13 dst_sel:DWORD dst_unused:UNUSED_PAD src0_sel:DWORD src1_sel:WORD_1
	v_subrev_u32_e32 v10, 31, v9
	v_cmp_gt_u32_e32 vcc, s15, v0
	s_sub_u32 s18, s20, s14
	v_cndmask_b32_e32 v9, v10, v9, vcc
	s_subb_u32 s19, s21, 0
	v_cndmask_b32_e64 v13, v20, v9, s[0:1]
	s_mul_i32 s0, s19, 0x1e08
	s_mul_hi_u32 s1, s18, 0x1e08
	s_add_i32 s1, s1, s0
	s_mul_i32 s0, s18, 0x1e08
	s_waitcnt lgkmcnt(0)
	s_add_u32 s0, s10, s0
	s_addc_u32 s1, s11, s1
	v_lshlrev_b32_e32 v9, 3, v0
	v_mov_b32_e32 v10, s1
	v_add_co_u32_e32 v14, vcc, s0, v9
	v_addc_co_u32_e32 v15, vcc, 0, v10, vcc
	s_movk_i32 s0, 0x3c0
	v_cmp_lt_u32_e32 vcc, s0, v0
	v_cndmask_b32_e64 v21, 0, 1, vcc
	v_mov_b32_e32 v9, s21
	v_add_co_u32_e32 v10, vcc, s20, v21
	v_addc_co_u32_e32 v11, vcc, 0, v9, vcc
	v_subrev_co_u32_e32 v9, vcc, s14, v10
	v_subbrev_co_u32_e32 v10, vcc, 0, v11, vcc
	v_lshlrev_b64 v[9:10], 2, v[9:10]
	v_mov_b32_e32 v11, s9
	v_add_co_u32_e32 v16, vcc, s8, v9
	v_addc_co_u32_e32 v17, vcc, v11, v10, vcc
	v_mov_b32_e32 v11, 0
	v_mov_b32_e32 v12, 0
	s_mov_b32 s8, 0
	v_mov_b32_e32 v19, s5
	v_mov_b32_e32 v9, v11
	s_brev_b32 s9, 1
	v_mov_b32_e32 v18, s4
	v_mov_b32_e32 v10, v12
	s_branch .LBB462_8
.LBB462_7:                              ;   in Loop: Header=BB462_8 Depth=1
	s_or_b64 exec, exec, s[0:1]
	s_add_u32 s18, s18, 1
	s_addc_u32 s19, s19, 0
	v_cmp_lt_i64_e32 vcc, s[18:19], v[18:19]
	v_add_co_u32_e64 v16, s[0:1], 4, v16
	v_addc_co_u32_e64 v17, s[0:1], 0, v17, s[0:1]
	s_cbranch_vccz .LBB462_10
.LBB462_8:                              ; =>This Inner Loop Header: Depth=1
	v_mov_b32_e32 v23, s19
	v_add_co_u32_e32 v22, vcc, s18, v21
	v_addc_co_u32_e32 v23, vcc, 0, v23, vcc
	v_cmp_gt_i64_e32 vcc, s[4:5], v[22:23]
	s_and_saveexec_b64 s[0:1], vcc
	s_cbranch_execz .LBB462_7
; %bb.9:                                ;   in Loop: Header=BB462_8 Depth=1
	global_load_dword v22, v[16:17], off
	v_mov_b32_e32 v24, s3
	global_load_dwordx2 v[26:27], v[14:15], off
	s_waitcnt vmcnt(1)
	v_subrev_u32_e32 v22, s14, v22
	v_mad_u64_u32 v[22:23], s[10:11], v22, 31, v[13:14]
	v_ashrrev_i32_e32 v23, 31, v22
	v_lshlrev_b64 v[22:23], 4, v[22:23]
	v_add_co_u32_e32 v22, vcc, s2, v22
	v_addc_co_u32_e32 v23, vcc, v24, v23, vcc
	global_load_dwordx4 v[22:25], v[22:23], off
	v_add_co_u32_e32 v14, vcc, 0x1e08, v14
	v_addc_co_u32_e32 v15, vcc, 0, v15, vcc
	s_waitcnt vmcnt(0)
	v_fma_f64 v[9:10], v[26:27], v[22:23], v[9:10]
	v_fma_f64 v[11:12], v[22:23], 0, v[11:12]
	;; [unrolled: 1-line block ×4, first 2 shown]
	s_branch .LBB462_7
.LBB462_10:
	v_lshlrev_b32_e32 v17, 4, v0
	s_and_b64 vcc, exec, s[16:17]
	ds_write_b128 v17, v[9:12]
	s_waitcnt lgkmcnt(0)
	s_barrier
	s_cbranch_vccz .LBB462_22
; %bb.11:
	v_cmp_gt_u16_e32 vcc, 15, v20
	s_and_saveexec_b64 s[0:1], vcc
	s_cbranch_execz .LBB462_13
; %bb.12:
	ds_read_b128 v[13:16], v17 offset:256
	ds_read_b128 v[21:24], v17
	s_waitcnt lgkmcnt(0)
	v_add_f64 v[13:14], v[13:14], v[21:22]
	v_add_f64 v[15:16], v[15:16], v[23:24]
	ds_write_b128 v17, v[13:16]
.LBB462_13:
	s_or_b64 exec, exec, s[0:1]
	v_cmp_gt_u16_e32 vcc, 8, v20
	s_waitcnt lgkmcnt(0)
	s_barrier
	s_and_saveexec_b64 s[0:1], vcc
	s_cbranch_execz .LBB462_15
; %bb.14:
	ds_read_b128 v[13:16], v17 offset:128
	ds_read_b128 v[21:24], v17
	s_waitcnt lgkmcnt(0)
	v_add_f64 v[13:14], v[13:14], v[21:22]
	v_add_f64 v[15:16], v[15:16], v[23:24]
	ds_write_b128 v17, v[13:16]
.LBB462_15:
	s_or_b64 exec, exec, s[0:1]
	v_cmp_gt_u16_e32 vcc, 4, v20
	s_waitcnt lgkmcnt(0)
	s_barrier
	;; [unrolled: 14-line block ×3, first 2 shown]
	s_and_saveexec_b64 s[0:1], vcc
	s_cbranch_execz .LBB462_19
; %bb.18:
	ds_read_b128 v[13:16], v17
	ds_read_b128 v[18:21], v17 offset:32
	s_waitcnt lgkmcnt(0)
	v_add_f64 v[13:14], v[18:19], v[13:14]
	v_add_f64 v[15:16], v[20:21], v[15:16]
	ds_write_b128 v17, v[13:16]
.LBB462_19:
	s_or_b64 exec, exec, s[0:1]
	v_mov_b32_e32 v16, v12
	v_mov_b32_e32 v14, v10
	v_cmp_gt_u32_e32 vcc, 31, v0
	v_mov_b32_e32 v15, v11
	v_mov_b32_e32 v13, v9
	s_waitcnt lgkmcnt(0)
	s_barrier
	s_and_saveexec_b64 s[0:1], vcc
	s_cbranch_execz .LBB462_21
; %bb.20:
	s_movk_i32 s2, 0x1e0
	v_mad_u32_u24 v18, v0, s2, v17
	ds_read_b128 v[13:16], v18
	ds_read_b128 v[18:21], v18 offset:16
	s_waitcnt lgkmcnt(0)
	v_add_f64 v[13:14], v[18:19], v[13:14]
	v_add_f64 v[15:16], v[20:21], v[15:16]
.LBB462_21:
	s_or_b64 exec, exec, s[0:1]
	s_branch .LBB462_34
.LBB462_22:
                                        ; implicit-def: $vgpr15_vgpr16
                                        ; implicit-def: $vgpr13_vgpr14
	s_cbranch_execz .LBB462_34
; %bb.23:
	s_movk_i32 s0, 0x1d1
	v_cmp_gt_u32_e32 vcc, s0, v0
	s_and_saveexec_b64 s[0:1], vcc
	s_cbranch_execz .LBB462_25
; %bb.24:
	ds_read_b128 v[13:16], v17 offset:7936
	ds_read_b128 v[18:21], v17
	s_waitcnt lgkmcnt(0)
	v_add_f64 v[13:14], v[13:14], v[18:19]
	v_add_f64 v[15:16], v[15:16], v[20:21]
	ds_write_b128 v17, v[13:16]
.LBB462_25:
	s_or_b64 exec, exec, s[0:1]
	s_movk_i32 s0, 0xf8
	v_cmp_gt_u32_e32 vcc, s0, v0
	s_waitcnt lgkmcnt(0)
	s_barrier
	s_and_saveexec_b64 s[0:1], vcc
	s_cbranch_execz .LBB462_27
; %bb.26:
	ds_read_b128 v[13:16], v17 offset:3968
	ds_read_b128 v[18:21], v17
	s_waitcnt lgkmcnt(0)
	v_add_f64 v[13:14], v[13:14], v[18:19]
	v_add_f64 v[15:16], v[15:16], v[20:21]
	ds_write_b128 v17, v[13:16]
.LBB462_27:
	s_or_b64 exec, exec, s[0:1]
	s_movk_i32 s0, 0x7c
	v_cmp_gt_u32_e32 vcc, s0, v0
	s_waitcnt lgkmcnt(0)
	s_barrier
	s_and_saveexec_b64 s[0:1], vcc
	s_cbranch_execz .LBB462_29
; %bb.28:
	ds_read_b128 v[13:16], v17 offset:1984
	ds_read_b128 v[18:21], v17
	s_waitcnt lgkmcnt(0)
	v_add_f64 v[13:14], v[13:14], v[18:19]
	v_add_f64 v[15:16], v[15:16], v[20:21]
	ds_write_b128 v17, v[13:16]
.LBB462_29:
	s_or_b64 exec, exec, s[0:1]
	v_cmp_gt_u32_e32 vcc, 62, v0
	s_waitcnt lgkmcnt(0)
	s_barrier
	s_and_saveexec_b64 s[0:1], vcc
	s_cbranch_execz .LBB462_31
; %bb.30:
	ds_read_b128 v[13:16], v17 offset:992
	ds_read_b128 v[18:21], v17
	s_waitcnt lgkmcnt(0)
	v_add_f64 v[13:14], v[13:14], v[18:19]
	v_add_f64 v[15:16], v[15:16], v[20:21]
	ds_write_b128 v17, v[13:16]
.LBB462_31:
	s_or_b64 exec, exec, s[0:1]
	v_cmp_gt_u32_e32 vcc, 31, v0
	s_waitcnt lgkmcnt(0)
	s_and_saveexec_b64 s[0:1], vcc
	s_cbranch_execz .LBB462_33
; %bb.32:
	ds_read_b128 v[9:12], v17 offset:496
	ds_read_b128 v[13:16], v17
	s_waitcnt lgkmcnt(0)
	v_add_f64 v[9:10], v[9:10], v[13:14]
	v_add_f64 v[11:12], v[11:12], v[15:16]
.LBB462_33:
	s_or_b64 exec, exec, s[0:1]
	v_mov_b32_e32 v16, v12
	v_mov_b32_e32 v14, v10
	v_mov_b32_e32 v15, v11
	v_mov_b32_e32 v13, v9
.LBB462_34:
	v_cmp_gt_u32_e32 vcc, 31, v0
	s_and_b64 exec, exec, vcc
	s_cbranch_execz .LBB462_39
; %bb.35:
	v_mul_f64 v[9:10], v[15:16], -v[7:8]
	v_mul_f64 v[11:12], v[5:6], v[15:16]
	v_cmp_eq_f64_e32 vcc, 0, v[1:2]
	v_cmp_eq_f64_e64 s[0:1], 0, v[3:4]
	v_fma_f64 v[5:6], v[5:6], v[13:14], v[9:10]
	v_fma_f64 v[7:8], v[7:8], v[13:14], v[11:12]
	s_and_b64 s[0:1], vcc, s[0:1]
	s_and_saveexec_b64 s[2:3], s[0:1]
	s_xor_b64 s[0:1], exec, s[2:3]
	s_cbranch_execz .LBB462_37
; %bb.36:
	v_mad_u64_u32 v[0:1], s[2:3], s6, 31, v[0:1]
	v_mov_b32_e32 v1, 0
	v_mov_b32_e32 v2, s13
	v_lshlrev_b64 v[0:1], 4, v[0:1]
	v_add_co_u32_e32 v0, vcc, s12, v0
	v_addc_co_u32_e32 v1, vcc, v2, v1, vcc
	global_store_dwordx4 v[0:1], v[5:8], off
                                        ; implicit-def: $vgpr0
                                        ; implicit-def: $vgpr1_vgpr2
                                        ; implicit-def: $vgpr5_vgpr6
.LBB462_37:
	s_andn2_saveexec_b64 s[0:1], s[0:1]
	s_cbranch_execz .LBB462_39
; %bb.38:
	v_mad_u64_u32 v[9:10], s[0:1], s6, 31, v[0:1]
	v_mov_b32_e32 v10, 0
	v_mov_b32_e32 v0, s13
	v_lshlrev_b64 v[9:10], 4, v[9:10]
	v_add_co_u32_e32 v13, vcc, s12, v9
	v_addc_co_u32_e32 v14, vcc, v0, v10, vcc
	global_load_dwordx4 v[9:12], v[13:14], off
	s_waitcnt vmcnt(0)
	v_fma_f64 v[5:6], v[1:2], v[9:10], v[5:6]
	v_fma_f64 v[7:8], v[3:4], v[9:10], v[7:8]
	v_fma_f64 v[3:4], -v[3:4], v[11:12], v[5:6]
	v_fma_f64 v[5:6], v[1:2], v[11:12], v[7:8]
	global_store_dwordx4 v[13:14], v[3:6], off
.LBB462_39:
	s_endpgm
	.section	.rodata,"a",@progbits
	.p2align	6, 0x0
	.amdhsa_kernel _ZN9rocsparseL20bsrxmvn_17_32_kernelILj31E21rocsparse_complex_numIdElidS2_S2_EEvT2_20rocsparse_direction_NS_24const_host_device_scalarIT0_EES3_PKS3_PKT1_SC_S9_PKT3_PKT4_S7_PT5_21rocsparse_index_base_b
		.amdhsa_group_segment_fixed_size 15376
		.amdhsa_private_segment_fixed_size 0
		.amdhsa_kernarg_size 112
		.amdhsa_user_sgpr_count 6
		.amdhsa_user_sgpr_private_segment_buffer 1
		.amdhsa_user_sgpr_dispatch_ptr 0
		.amdhsa_user_sgpr_queue_ptr 0
		.amdhsa_user_sgpr_kernarg_segment_ptr 1
		.amdhsa_user_sgpr_dispatch_id 0
		.amdhsa_user_sgpr_flat_scratch_init 0
		.amdhsa_user_sgpr_private_segment_size 0
		.amdhsa_uses_dynamic_stack 0
		.amdhsa_system_sgpr_private_segment_wavefront_offset 0
		.amdhsa_system_sgpr_workgroup_id_x 1
		.amdhsa_system_sgpr_workgroup_id_y 0
		.amdhsa_system_sgpr_workgroup_id_z 0
		.amdhsa_system_sgpr_workgroup_info 0
		.amdhsa_system_vgpr_workitem_id 0
		.amdhsa_next_free_vgpr 29
		.amdhsa_next_free_sgpr 61
		.amdhsa_reserve_vcc 1
		.amdhsa_reserve_flat_scratch 0
		.amdhsa_float_round_mode_32 0
		.amdhsa_float_round_mode_16_64 0
		.amdhsa_float_denorm_mode_32 3
		.amdhsa_float_denorm_mode_16_64 3
		.amdhsa_dx10_clamp 1
		.amdhsa_ieee_mode 1
		.amdhsa_fp16_overflow 0
		.amdhsa_exception_fp_ieee_invalid_op 0
		.amdhsa_exception_fp_denorm_src 0
		.amdhsa_exception_fp_ieee_div_zero 0
		.amdhsa_exception_fp_ieee_overflow 0
		.amdhsa_exception_fp_ieee_underflow 0
		.amdhsa_exception_fp_ieee_inexact 0
		.amdhsa_exception_int_div_zero 0
	.end_amdhsa_kernel
	.section	.text._ZN9rocsparseL20bsrxmvn_17_32_kernelILj31E21rocsparse_complex_numIdElidS2_S2_EEvT2_20rocsparse_direction_NS_24const_host_device_scalarIT0_EES3_PKS3_PKT1_SC_S9_PKT3_PKT4_S7_PT5_21rocsparse_index_base_b,"axG",@progbits,_ZN9rocsparseL20bsrxmvn_17_32_kernelILj31E21rocsparse_complex_numIdElidS2_S2_EEvT2_20rocsparse_direction_NS_24const_host_device_scalarIT0_EES3_PKS3_PKT1_SC_S9_PKT3_PKT4_S7_PT5_21rocsparse_index_base_b,comdat
.Lfunc_end462:
	.size	_ZN9rocsparseL20bsrxmvn_17_32_kernelILj31E21rocsparse_complex_numIdElidS2_S2_EEvT2_20rocsparse_direction_NS_24const_host_device_scalarIT0_EES3_PKS3_PKT1_SC_S9_PKT3_PKT4_S7_PT5_21rocsparse_index_base_b, .Lfunc_end462-_ZN9rocsparseL20bsrxmvn_17_32_kernelILj31E21rocsparse_complex_numIdElidS2_S2_EEvT2_20rocsparse_direction_NS_24const_host_device_scalarIT0_EES3_PKS3_PKT1_SC_S9_PKT3_PKT4_S7_PT5_21rocsparse_index_base_b
                                        ; -- End function
	.set _ZN9rocsparseL20bsrxmvn_17_32_kernelILj31E21rocsparse_complex_numIdElidS2_S2_EEvT2_20rocsparse_direction_NS_24const_host_device_scalarIT0_EES3_PKS3_PKT1_SC_S9_PKT3_PKT4_S7_PT5_21rocsparse_index_base_b.num_vgpr, 28
	.set _ZN9rocsparseL20bsrxmvn_17_32_kernelILj31E21rocsparse_complex_numIdElidS2_S2_EEvT2_20rocsparse_direction_NS_24const_host_device_scalarIT0_EES3_PKS3_PKT1_SC_S9_PKT3_PKT4_S7_PT5_21rocsparse_index_base_b.num_agpr, 0
	.set _ZN9rocsparseL20bsrxmvn_17_32_kernelILj31E21rocsparse_complex_numIdElidS2_S2_EEvT2_20rocsparse_direction_NS_24const_host_device_scalarIT0_EES3_PKS3_PKT1_SC_S9_PKT3_PKT4_S7_PT5_21rocsparse_index_base_b.numbered_sgpr, 22
	.set _ZN9rocsparseL20bsrxmvn_17_32_kernelILj31E21rocsparse_complex_numIdElidS2_S2_EEvT2_20rocsparse_direction_NS_24const_host_device_scalarIT0_EES3_PKS3_PKT1_SC_S9_PKT3_PKT4_S7_PT5_21rocsparse_index_base_b.num_named_barrier, 0
	.set _ZN9rocsparseL20bsrxmvn_17_32_kernelILj31E21rocsparse_complex_numIdElidS2_S2_EEvT2_20rocsparse_direction_NS_24const_host_device_scalarIT0_EES3_PKS3_PKT1_SC_S9_PKT3_PKT4_S7_PT5_21rocsparse_index_base_b.private_seg_size, 0
	.set _ZN9rocsparseL20bsrxmvn_17_32_kernelILj31E21rocsparse_complex_numIdElidS2_S2_EEvT2_20rocsparse_direction_NS_24const_host_device_scalarIT0_EES3_PKS3_PKT1_SC_S9_PKT3_PKT4_S7_PT5_21rocsparse_index_base_b.uses_vcc, 1
	.set _ZN9rocsparseL20bsrxmvn_17_32_kernelILj31E21rocsparse_complex_numIdElidS2_S2_EEvT2_20rocsparse_direction_NS_24const_host_device_scalarIT0_EES3_PKS3_PKT1_SC_S9_PKT3_PKT4_S7_PT5_21rocsparse_index_base_b.uses_flat_scratch, 0
	.set _ZN9rocsparseL20bsrxmvn_17_32_kernelILj31E21rocsparse_complex_numIdElidS2_S2_EEvT2_20rocsparse_direction_NS_24const_host_device_scalarIT0_EES3_PKS3_PKT1_SC_S9_PKT3_PKT4_S7_PT5_21rocsparse_index_base_b.has_dyn_sized_stack, 0
	.set _ZN9rocsparseL20bsrxmvn_17_32_kernelILj31E21rocsparse_complex_numIdElidS2_S2_EEvT2_20rocsparse_direction_NS_24const_host_device_scalarIT0_EES3_PKS3_PKT1_SC_S9_PKT3_PKT4_S7_PT5_21rocsparse_index_base_b.has_recursion, 0
	.set _ZN9rocsparseL20bsrxmvn_17_32_kernelILj31E21rocsparse_complex_numIdElidS2_S2_EEvT2_20rocsparse_direction_NS_24const_host_device_scalarIT0_EES3_PKS3_PKT1_SC_S9_PKT3_PKT4_S7_PT5_21rocsparse_index_base_b.has_indirect_call, 0
	.section	.AMDGPU.csdata,"",@progbits
; Kernel info:
; codeLenInByte = 1728
; TotalNumSgprs: 26
; NumVgprs: 28
; ScratchSize: 0
; MemoryBound: 0
; FloatMode: 240
; IeeeMode: 1
; LDSByteSize: 15376 bytes/workgroup (compile time only)
; SGPRBlocks: 8
; VGPRBlocks: 7
; NumSGPRsForWavesPerEU: 65
; NumVGPRsForWavesPerEU: 29
; Occupancy: 8
; WaveLimiterHint : 1
; COMPUTE_PGM_RSRC2:SCRATCH_EN: 0
; COMPUTE_PGM_RSRC2:USER_SGPR: 6
; COMPUTE_PGM_RSRC2:TRAP_HANDLER: 0
; COMPUTE_PGM_RSRC2:TGID_X_EN: 1
; COMPUTE_PGM_RSRC2:TGID_Y_EN: 0
; COMPUTE_PGM_RSRC2:TGID_Z_EN: 0
; COMPUTE_PGM_RSRC2:TIDIG_COMP_CNT: 0
	.section	.text._ZN9rocsparseL20bsrxmvn_17_32_kernelILj32E21rocsparse_complex_numIdElidS2_S2_EEvT2_20rocsparse_direction_NS_24const_host_device_scalarIT0_EES3_PKS3_PKT1_SC_S9_PKT3_PKT4_S7_PT5_21rocsparse_index_base_b,"axG",@progbits,_ZN9rocsparseL20bsrxmvn_17_32_kernelILj32E21rocsparse_complex_numIdElidS2_S2_EEvT2_20rocsparse_direction_NS_24const_host_device_scalarIT0_EES3_PKS3_PKT1_SC_S9_PKT3_PKT4_S7_PT5_21rocsparse_index_base_b,comdat
	.globl	_ZN9rocsparseL20bsrxmvn_17_32_kernelILj32E21rocsparse_complex_numIdElidS2_S2_EEvT2_20rocsparse_direction_NS_24const_host_device_scalarIT0_EES3_PKS3_PKT1_SC_S9_PKT3_PKT4_S7_PT5_21rocsparse_index_base_b ; -- Begin function _ZN9rocsparseL20bsrxmvn_17_32_kernelILj32E21rocsparse_complex_numIdElidS2_S2_EEvT2_20rocsparse_direction_NS_24const_host_device_scalarIT0_EES3_PKS3_PKT1_SC_S9_PKT3_PKT4_S7_PT5_21rocsparse_index_base_b
	.p2align	8
	.type	_ZN9rocsparseL20bsrxmvn_17_32_kernelILj32E21rocsparse_complex_numIdElidS2_S2_EEvT2_20rocsparse_direction_NS_24const_host_device_scalarIT0_EES3_PKS3_PKT1_SC_S9_PKT3_PKT4_S7_PT5_21rocsparse_index_base_b,@function
_ZN9rocsparseL20bsrxmvn_17_32_kernelILj32E21rocsparse_complex_numIdElidS2_S2_EEvT2_20rocsparse_direction_NS_24const_host_device_scalarIT0_EES3_PKS3_PKT1_SC_S9_PKT3_PKT4_S7_PT5_21rocsparse_index_base_b: ; @_ZN9rocsparseL20bsrxmvn_17_32_kernelILj32E21rocsparse_complex_numIdElidS2_S2_EEvT2_20rocsparse_direction_NS_24const_host_device_scalarIT0_EES3_PKS3_PKT1_SC_S9_PKT3_PKT4_S7_PT5_21rocsparse_index_base_b
; %bb.0:
	s_load_dwordx2 s[0:1], s[4:5], 0x8
	s_load_dwordx2 s[8:9], s[4:5], 0x68
	s_add_u32 s7, s4, 8
	s_addc_u32 s10, s5, 0
	s_add_u32 s11, s4, 0x50
	s_addc_u32 s12, s5, 0
	s_waitcnt lgkmcnt(0)
	s_bitcmp1_b32 s9, 0
	s_cselect_b32 s1, s10, s1
	s_cselect_b32 s0, s7, s0
	v_mov_b32_e32 v1, s0
	v_mov_b32_e32 v2, s1
	flat_load_dwordx4 v[5:8], v[1:2]
	s_load_dwordx2 s[2:3], s[4:5], 0x50
	s_waitcnt lgkmcnt(0)
	s_cselect_b32 s0, s12, s3
	s_cselect_b32 s1, s11, s2
	v_mov_b32_e32 v1, s1
	v_mov_b32_e32 v2, s0
	flat_load_dwordx4 v[1:4], v[1:2]
	s_waitcnt vmcnt(0)
	v_cmp_eq_f64_e32 vcc, 0, v[5:6]
	v_cmp_eq_f64_e64 s[0:1], 0, v[7:8]
	s_and_b64 s[10:11], vcc, s[0:1]
	s_mov_b64 s[0:1], -1
	s_and_saveexec_b64 s[2:3], s[10:11]
	s_cbranch_execz .LBB463_2
; %bb.1:
	s_waitcnt lgkmcnt(0)
	v_cmp_neq_f64_e32 vcc, 1.0, v[1:2]
	v_cmp_neq_f64_e64 s[0:1], 0, v[3:4]
	s_or_b64 s[0:1], vcc, s[0:1]
	s_orn2_b64 s[0:1], s[0:1], exec
.LBB463_2:
	s_or_b64 exec, exec, s[2:3]
	s_and_saveexec_b64 s[2:3], s[0:1]
	s_cbranch_execz .LBB463_37
; %bb.3:
	s_load_dwordx4 s[0:3], s[4:5], 0x20
	s_load_dwordx2 s[12:13], s[4:5], 0x30
	s_waitcnt lgkmcnt(0)
	s_cmp_eq_u64 s[0:1], 0
	s_cbranch_scc1 .LBB463_5
; %bb.4:
	s_ashr_i32 s7, s6, 31
	s_lshl_b64 s[6:7], s[6:7], 2
	s_add_u32 s0, s0, s6
	s_addc_u32 s1, s1, s7
	s_load_dword s0, s[0:1], 0x0
	s_waitcnt lgkmcnt(0)
	s_sub_i32 s6, s0, s8
.LBB463_5:
	s_load_dword s7, s[4:5], 0x4
	v_mov_b32_e32 v11, 0
	v_and_b32_e32 v18, 31, v0
	v_mov_b32_e32 v12, 0
	s_waitcnt lgkmcnt(0)
	s_cmp_eq_u32 s7, 1
	s_cselect_b64 s[0:1], -1, 0
	s_cmp_lg_u32 s7, 1
	s_cselect_b64 s[10:11], -1, 0
	s_ashr_i32 s7, s6, 31
	s_lshl_b64 s[14:15], s[6:7], 3
	s_add_u32 s18, s2, s14
	s_addc_u32 s19, s3, s15
	s_add_u32 s2, s18, 8
	s_addc_u32 s3, s19, 0
	;; [unrolled: 2-line block ×3, first 2 shown]
	s_cmp_eq_u64 s[12:13], 0
	s_cselect_b32 s13, s3, s9
	s_cselect_b32 s12, s2, s7
	s_load_dwordx2 s[16:17], s[12:13], 0x0
	s_load_dwordx2 s[14:15], s[18:19], 0x0
	;; [unrolled: 1-line block ×3, first 2 shown]
	s_waitcnt lgkmcnt(0)
	v_mov_b32_e32 v9, s16
	v_mov_b32_e32 v10, s17
	v_cmp_ge_i64_e32 vcc, s[14:15], v[9:10]
	v_mov_b32_e32 v9, 0
	v_mov_b32_e32 v10, 0
	s_cbranch_vccnz .LBB463_8
; %bb.6:
	s_load_dwordx2 s[12:13], s[4:5], 0x48
	s_load_dwordx4 s[20:23], s[4:5], 0x38
	s_sub_u32 s16, s16, s8
	s_subb_u32 s17, s17, 0
	v_lshrrev_b32_e32 v9, 5, v0
	v_cndmask_b32_e64 v17, v18, v9, s[0:1]
	s_sub_u32 s0, s14, s8
	s_subb_u32 s1, s15, 0
	s_lshl_b64 s[4:5], s[0:1], 13
	s_waitcnt lgkmcnt(0)
	s_add_u32 s4, s22, s4
	s_mov_b32 s9, 0
	s_addc_u32 s5, s23, s5
	v_lshlrev_b32_e32 v9, 3, v0
	v_mov_b32_e32 v10, s5
	v_add_co_u32_e32 v13, vcc, s4, v9
	s_lshl_b64 s[4:5], s[14:15], 2
	s_lshl_b64 s[14:15], s[8:9], 2
	s_sub_u32 s4, s4, s14
	s_subb_u32 s5, s5, s15
	v_mov_b32_e32 v11, 0
	v_addc_co_u32_e32 v14, vcc, 0, v10, vcc
	s_add_u32 s4, s20, s4
	v_mov_b32_e32 v12, 0
	s_mov_b32 s14, 0
	v_mov_b32_e32 v15, s16
	v_mov_b32_e32 v9, v11
	s_addc_u32 s5, s21, s5
	v_mov_b32_e32 v19, s13
	s_brev_b32 s15, 1
	v_mov_b32_e32 v16, s17
	v_mov_b32_e32 v10, v12
.LBB463_7:                              ; =>This Inner Loop Header: Depth=1
	s_load_dword s7, s[4:5], 0x0
	global_load_dwordx2 v[24:25], v[13:14], off
	s_waitcnt lgkmcnt(0)
	s_sub_i32 s7, s7, s8
	v_lshl_or_b32 v20, s7, 5, v17
	v_ashrrev_i32_e32 v21, 31, v20
	v_lshlrev_b64 v[20:21], 4, v[20:21]
	s_add_u32 s0, s0, 1
	v_add_co_u32_e32 v20, vcc, s12, v20
	v_addc_co_u32_e32 v21, vcc, v19, v21, vcc
	global_load_dwordx4 v[20:23], v[20:21], off
	v_add_co_u32_e32 v13, vcc, 0x2000, v13
	v_addc_co_u32_e32 v14, vcc, 0, v14, vcc
	s_addc_u32 s1, s1, 0
	v_cmp_lt_i64_e32 vcc, s[0:1], v[15:16]
	s_add_u32 s4, s4, 4
	s_addc_u32 s5, s5, 0
	s_and_b64 vcc, exec, vcc
	s_waitcnt vmcnt(0)
	v_fma_f64 v[9:10], v[24:25], v[20:21], v[9:10]
	v_fma_f64 v[11:12], v[20:21], 0, v[11:12]
	;; [unrolled: 1-line block ×4, first 2 shown]
	s_cbranch_vccnz .LBB463_7
.LBB463_8:
	v_lshlrev_b32_e32 v17, 4, v0
	s_and_b64 vcc, exec, s[10:11]
	ds_write_b128 v17, v[9:12]
	s_waitcnt lgkmcnt(0)
	s_barrier
	s_cbranch_vccz .LBB463_20
; %bb.9:
	v_cmp_gt_u32_e32 vcc, 16, v18
	s_and_saveexec_b64 s[0:1], vcc
	s_cbranch_execz .LBB463_11
; %bb.10:
	ds_read_b128 v[13:16], v17 offset:256
	ds_read_b128 v[19:22], v17
	s_waitcnt lgkmcnt(0)
	v_add_f64 v[13:14], v[13:14], v[19:20]
	v_add_f64 v[15:16], v[15:16], v[21:22]
	ds_write_b128 v17, v[13:16]
.LBB463_11:
	s_or_b64 exec, exec, s[0:1]
	v_cmp_gt_u32_e32 vcc, 8, v18
	s_waitcnt lgkmcnt(0)
	s_barrier
	s_and_saveexec_b64 s[0:1], vcc
	s_cbranch_execz .LBB463_13
; %bb.12:
	ds_read_b128 v[13:16], v17 offset:128
	ds_read_b128 v[19:22], v17
	s_waitcnt lgkmcnt(0)
	v_add_f64 v[13:14], v[13:14], v[19:20]
	v_add_f64 v[15:16], v[15:16], v[21:22]
	ds_write_b128 v17, v[13:16]
.LBB463_13:
	s_or_b64 exec, exec, s[0:1]
	v_cmp_gt_u32_e32 vcc, 4, v18
	s_waitcnt lgkmcnt(0)
	s_barrier
	;; [unrolled: 14-line block ×3, first 2 shown]
	s_and_saveexec_b64 s[0:1], vcc
	s_cbranch_execz .LBB463_17
; %bb.16:
	ds_read_b128 v[13:16], v17
	ds_read_b128 v[18:21], v17 offset:32
	s_waitcnt lgkmcnt(0)
	v_add_f64 v[13:14], v[18:19], v[13:14]
	v_add_f64 v[15:16], v[20:21], v[15:16]
	ds_write_b128 v17, v[13:16]
.LBB463_17:
	s_or_b64 exec, exec, s[0:1]
	v_mov_b32_e32 v16, v12
	v_mov_b32_e32 v14, v10
	v_cmp_gt_u32_e32 vcc, 32, v0
	v_mov_b32_e32 v15, v11
	v_mov_b32_e32 v13, v9
	s_waitcnt lgkmcnt(0)
	s_barrier
	s_and_saveexec_b64 s[0:1], vcc
	s_cbranch_execz .LBB463_19
; %bb.18:
	s_movk_i32 s4, 0x1f0
	v_mad_u32_u24 v18, v0, s4, v17
	ds_read_b128 v[13:16], v18
	ds_read_b128 v[18:21], v18 offset:16
	s_waitcnt lgkmcnt(0)
	v_add_f64 v[13:14], v[18:19], v[13:14]
	v_add_f64 v[15:16], v[20:21], v[15:16]
.LBB463_19:
	s_or_b64 exec, exec, s[0:1]
	s_branch .LBB463_32
.LBB463_20:
                                        ; implicit-def: $vgpr15_vgpr16
                                        ; implicit-def: $vgpr13_vgpr14
	s_cbranch_execz .LBB463_32
; %bb.21:
	s_movk_i32 s0, 0x200
	v_cmp_gt_u32_e32 vcc, s0, v0
	s_and_saveexec_b64 s[0:1], vcc
	s_cbranch_execz .LBB463_23
; %bb.22:
	ds_read_b128 v[13:16], v17 offset:8192
	ds_read_b128 v[18:21], v17
	s_waitcnt lgkmcnt(0)
	v_add_f64 v[13:14], v[13:14], v[18:19]
	v_add_f64 v[15:16], v[15:16], v[20:21]
	ds_write_b128 v17, v[13:16]
.LBB463_23:
	s_or_b64 exec, exec, s[0:1]
	s_movk_i32 s0, 0x100
	v_cmp_gt_u32_e32 vcc, s0, v0
	s_waitcnt lgkmcnt(0)
	s_barrier
	s_and_saveexec_b64 s[0:1], vcc
	s_cbranch_execz .LBB463_25
; %bb.24:
	ds_read_b128 v[13:16], v17 offset:4096
	ds_read_b128 v[18:21], v17
	s_waitcnt lgkmcnt(0)
	v_add_f64 v[13:14], v[13:14], v[18:19]
	v_add_f64 v[15:16], v[15:16], v[20:21]
	ds_write_b128 v17, v[13:16]
.LBB463_25:
	s_or_b64 exec, exec, s[0:1]
	s_movk_i32 s0, 0x80
	v_cmp_gt_u32_e32 vcc, s0, v0
	s_waitcnt lgkmcnt(0)
	s_barrier
	s_and_saveexec_b64 s[0:1], vcc
	s_cbranch_execz .LBB463_27
; %bb.26:
	ds_read_b128 v[13:16], v17 offset:2048
	ds_read_b128 v[18:21], v17
	s_waitcnt lgkmcnt(0)
	v_add_f64 v[13:14], v[13:14], v[18:19]
	v_add_f64 v[15:16], v[15:16], v[20:21]
	ds_write_b128 v17, v[13:16]
.LBB463_27:
	s_or_b64 exec, exec, s[0:1]
	v_cmp_gt_u32_e32 vcc, 64, v0
	s_waitcnt lgkmcnt(0)
	s_barrier
	s_and_saveexec_b64 s[0:1], vcc
	s_cbranch_execz .LBB463_29
; %bb.28:
	ds_read_b128 v[13:16], v17 offset:1024
	ds_read_b128 v[18:21], v17
	s_waitcnt lgkmcnt(0)
	v_add_f64 v[13:14], v[13:14], v[18:19]
	v_add_f64 v[15:16], v[15:16], v[20:21]
	ds_write_b128 v17, v[13:16]
.LBB463_29:
	s_or_b64 exec, exec, s[0:1]
	v_cmp_gt_u32_e32 vcc, 32, v0
	s_waitcnt lgkmcnt(0)
	s_and_saveexec_b64 s[0:1], vcc
	s_cbranch_execz .LBB463_31
; %bb.30:
	ds_read_b128 v[9:12], v17 offset:512
	ds_read_b128 v[13:16], v17
	s_waitcnt lgkmcnt(0)
	v_add_f64 v[9:10], v[9:10], v[13:14]
	v_add_f64 v[11:12], v[11:12], v[15:16]
.LBB463_31:
	s_or_b64 exec, exec, s[0:1]
	v_mov_b32_e32 v16, v12
	v_mov_b32_e32 v14, v10
	;; [unrolled: 1-line block ×4, first 2 shown]
.LBB463_32:
	v_cmp_gt_u32_e32 vcc, 32, v0
	s_and_b64 exec, exec, vcc
	s_cbranch_execz .LBB463_37
; %bb.33:
	v_mul_f64 v[9:10], v[15:16], -v[7:8]
	v_mul_f64 v[11:12], v[5:6], v[15:16]
	v_cmp_eq_f64_e32 vcc, 0, v[1:2]
	v_cmp_eq_f64_e64 s[0:1], 0, v[3:4]
	v_fma_f64 v[5:6], v[5:6], v[13:14], v[9:10]
	v_fma_f64 v[7:8], v[7:8], v[13:14], v[11:12]
	v_lshl_or_b32 v9, s6, 5, v0
	s_and_b64 s[0:1], vcc, s[0:1]
	s_and_saveexec_b64 s[4:5], s[0:1]
	s_xor_b64 s[0:1], exec, s[4:5]
	s_cbranch_execz .LBB463_35
; %bb.34:
	v_mov_b32_e32 v10, 0
	v_lshlrev_b64 v[0:1], 4, v[9:10]
	v_mov_b32_e32 v2, s3
	v_add_co_u32_e32 v0, vcc, s2, v0
	v_addc_co_u32_e32 v1, vcc, v2, v1, vcc
	global_store_dwordx4 v[0:1], v[5:8], off
                                        ; implicit-def: $vgpr9
                                        ; implicit-def: $vgpr1_vgpr2
                                        ; implicit-def: $vgpr5_vgpr6
.LBB463_35:
	s_andn2_saveexec_b64 s[0:1], s[0:1]
	s_cbranch_execz .LBB463_37
; %bb.36:
	v_mov_b32_e32 v10, 0
	v_lshlrev_b64 v[9:10], 4, v[9:10]
	v_mov_b32_e32 v0, s3
	v_add_co_u32_e32 v13, vcc, s2, v9
	v_addc_co_u32_e32 v14, vcc, v0, v10, vcc
	global_load_dwordx4 v[9:12], v[13:14], off
	s_waitcnt vmcnt(0)
	v_fma_f64 v[5:6], v[1:2], v[9:10], v[5:6]
	v_fma_f64 v[7:8], v[3:4], v[9:10], v[7:8]
	v_fma_f64 v[3:4], -v[3:4], v[11:12], v[5:6]
	v_fma_f64 v[5:6], v[1:2], v[11:12], v[7:8]
	global_store_dwordx4 v[13:14], v[3:6], off
.LBB463_37:
	s_endpgm
	.section	.rodata,"a",@progbits
	.p2align	6, 0x0
	.amdhsa_kernel _ZN9rocsparseL20bsrxmvn_17_32_kernelILj32E21rocsparse_complex_numIdElidS2_S2_EEvT2_20rocsparse_direction_NS_24const_host_device_scalarIT0_EES3_PKS3_PKT1_SC_S9_PKT3_PKT4_S7_PT5_21rocsparse_index_base_b
		.amdhsa_group_segment_fixed_size 16384
		.amdhsa_private_segment_fixed_size 0
		.amdhsa_kernarg_size 112
		.amdhsa_user_sgpr_count 6
		.amdhsa_user_sgpr_private_segment_buffer 1
		.amdhsa_user_sgpr_dispatch_ptr 0
		.amdhsa_user_sgpr_queue_ptr 0
		.amdhsa_user_sgpr_kernarg_segment_ptr 1
		.amdhsa_user_sgpr_dispatch_id 0
		.amdhsa_user_sgpr_flat_scratch_init 0
		.amdhsa_user_sgpr_private_segment_size 0
		.amdhsa_uses_dynamic_stack 0
		.amdhsa_system_sgpr_private_segment_wavefront_offset 0
		.amdhsa_system_sgpr_workgroup_id_x 1
		.amdhsa_system_sgpr_workgroup_id_y 0
		.amdhsa_system_sgpr_workgroup_id_z 0
		.amdhsa_system_sgpr_workgroup_info 0
		.amdhsa_system_vgpr_workitem_id 0
		.amdhsa_next_free_vgpr 29
		.amdhsa_next_free_sgpr 61
		.amdhsa_reserve_vcc 1
		.amdhsa_reserve_flat_scratch 0
		.amdhsa_float_round_mode_32 0
		.amdhsa_float_round_mode_16_64 0
		.amdhsa_float_denorm_mode_32 3
		.amdhsa_float_denorm_mode_16_64 3
		.amdhsa_dx10_clamp 1
		.amdhsa_ieee_mode 1
		.amdhsa_fp16_overflow 0
		.amdhsa_exception_fp_ieee_invalid_op 0
		.amdhsa_exception_fp_denorm_src 0
		.amdhsa_exception_fp_ieee_div_zero 0
		.amdhsa_exception_fp_ieee_overflow 0
		.amdhsa_exception_fp_ieee_underflow 0
		.amdhsa_exception_fp_ieee_inexact 0
		.amdhsa_exception_int_div_zero 0
	.end_amdhsa_kernel
	.section	.text._ZN9rocsparseL20bsrxmvn_17_32_kernelILj32E21rocsparse_complex_numIdElidS2_S2_EEvT2_20rocsparse_direction_NS_24const_host_device_scalarIT0_EES3_PKS3_PKT1_SC_S9_PKT3_PKT4_S7_PT5_21rocsparse_index_base_b,"axG",@progbits,_ZN9rocsparseL20bsrxmvn_17_32_kernelILj32E21rocsparse_complex_numIdElidS2_S2_EEvT2_20rocsparse_direction_NS_24const_host_device_scalarIT0_EES3_PKS3_PKT1_SC_S9_PKT3_PKT4_S7_PT5_21rocsparse_index_base_b,comdat
.Lfunc_end463:
	.size	_ZN9rocsparseL20bsrxmvn_17_32_kernelILj32E21rocsparse_complex_numIdElidS2_S2_EEvT2_20rocsparse_direction_NS_24const_host_device_scalarIT0_EES3_PKS3_PKT1_SC_S9_PKT3_PKT4_S7_PT5_21rocsparse_index_base_b, .Lfunc_end463-_ZN9rocsparseL20bsrxmvn_17_32_kernelILj32E21rocsparse_complex_numIdElidS2_S2_EEvT2_20rocsparse_direction_NS_24const_host_device_scalarIT0_EES3_PKS3_PKT1_SC_S9_PKT3_PKT4_S7_PT5_21rocsparse_index_base_b
                                        ; -- End function
	.set _ZN9rocsparseL20bsrxmvn_17_32_kernelILj32E21rocsparse_complex_numIdElidS2_S2_EEvT2_20rocsparse_direction_NS_24const_host_device_scalarIT0_EES3_PKS3_PKT1_SC_S9_PKT3_PKT4_S7_PT5_21rocsparse_index_base_b.num_vgpr, 26
	.set _ZN9rocsparseL20bsrxmvn_17_32_kernelILj32E21rocsparse_complex_numIdElidS2_S2_EEvT2_20rocsparse_direction_NS_24const_host_device_scalarIT0_EES3_PKS3_PKT1_SC_S9_PKT3_PKT4_S7_PT5_21rocsparse_index_base_b.num_agpr, 0
	.set _ZN9rocsparseL20bsrxmvn_17_32_kernelILj32E21rocsparse_complex_numIdElidS2_S2_EEvT2_20rocsparse_direction_NS_24const_host_device_scalarIT0_EES3_PKS3_PKT1_SC_S9_PKT3_PKT4_S7_PT5_21rocsparse_index_base_b.numbered_sgpr, 24
	.set _ZN9rocsparseL20bsrxmvn_17_32_kernelILj32E21rocsparse_complex_numIdElidS2_S2_EEvT2_20rocsparse_direction_NS_24const_host_device_scalarIT0_EES3_PKS3_PKT1_SC_S9_PKT3_PKT4_S7_PT5_21rocsparse_index_base_b.num_named_barrier, 0
	.set _ZN9rocsparseL20bsrxmvn_17_32_kernelILj32E21rocsparse_complex_numIdElidS2_S2_EEvT2_20rocsparse_direction_NS_24const_host_device_scalarIT0_EES3_PKS3_PKT1_SC_S9_PKT3_PKT4_S7_PT5_21rocsparse_index_base_b.private_seg_size, 0
	.set _ZN9rocsparseL20bsrxmvn_17_32_kernelILj32E21rocsparse_complex_numIdElidS2_S2_EEvT2_20rocsparse_direction_NS_24const_host_device_scalarIT0_EES3_PKS3_PKT1_SC_S9_PKT3_PKT4_S7_PT5_21rocsparse_index_base_b.uses_vcc, 1
	.set _ZN9rocsparseL20bsrxmvn_17_32_kernelILj32E21rocsparse_complex_numIdElidS2_S2_EEvT2_20rocsparse_direction_NS_24const_host_device_scalarIT0_EES3_PKS3_PKT1_SC_S9_PKT3_PKT4_S7_PT5_21rocsparse_index_base_b.uses_flat_scratch, 0
	.set _ZN9rocsparseL20bsrxmvn_17_32_kernelILj32E21rocsparse_complex_numIdElidS2_S2_EEvT2_20rocsparse_direction_NS_24const_host_device_scalarIT0_EES3_PKS3_PKT1_SC_S9_PKT3_PKT4_S7_PT5_21rocsparse_index_base_b.has_dyn_sized_stack, 0
	.set _ZN9rocsparseL20bsrxmvn_17_32_kernelILj32E21rocsparse_complex_numIdElidS2_S2_EEvT2_20rocsparse_direction_NS_24const_host_device_scalarIT0_EES3_PKS3_PKT1_SC_S9_PKT3_PKT4_S7_PT5_21rocsparse_index_base_b.has_recursion, 0
	.set _ZN9rocsparseL20bsrxmvn_17_32_kernelILj32E21rocsparse_complex_numIdElidS2_S2_EEvT2_20rocsparse_direction_NS_24const_host_device_scalarIT0_EES3_PKS3_PKT1_SC_S9_PKT3_PKT4_S7_PT5_21rocsparse_index_base_b.has_indirect_call, 0
	.section	.AMDGPU.csdata,"",@progbits
; Kernel info:
; codeLenInByte = 1580
; TotalNumSgprs: 28
; NumVgprs: 26
; ScratchSize: 0
; MemoryBound: 0
; FloatMode: 240
; IeeeMode: 1
; LDSByteSize: 16384 bytes/workgroup (compile time only)
; SGPRBlocks: 8
; VGPRBlocks: 7
; NumSGPRsForWavesPerEU: 65
; NumVGPRsForWavesPerEU: 29
; Occupancy: 8
; WaveLimiterHint : 1
; COMPUTE_PGM_RSRC2:SCRATCH_EN: 0
; COMPUTE_PGM_RSRC2:USER_SGPR: 6
; COMPUTE_PGM_RSRC2:TRAP_HANDLER: 0
; COMPUTE_PGM_RSRC2:TGID_X_EN: 1
; COMPUTE_PGM_RSRC2:TGID_Y_EN: 0
; COMPUTE_PGM_RSRC2:TGID_Z_EN: 0
; COMPUTE_PGM_RSRC2:TIDIG_COMP_CNT: 0
	.section	.text._ZN9rocsparseL20bsrxmvn_17_32_kernelILj17E21rocsparse_complex_numIdElldS2_S2_EEvT2_20rocsparse_direction_NS_24const_host_device_scalarIT0_EES3_PKS3_PKT1_SC_S9_PKT3_PKT4_S7_PT5_21rocsparse_index_base_b,"axG",@progbits,_ZN9rocsparseL20bsrxmvn_17_32_kernelILj17E21rocsparse_complex_numIdElldS2_S2_EEvT2_20rocsparse_direction_NS_24const_host_device_scalarIT0_EES3_PKS3_PKT1_SC_S9_PKT3_PKT4_S7_PT5_21rocsparse_index_base_b,comdat
	.globl	_ZN9rocsparseL20bsrxmvn_17_32_kernelILj17E21rocsparse_complex_numIdElldS2_S2_EEvT2_20rocsparse_direction_NS_24const_host_device_scalarIT0_EES3_PKS3_PKT1_SC_S9_PKT3_PKT4_S7_PT5_21rocsparse_index_base_b ; -- Begin function _ZN9rocsparseL20bsrxmvn_17_32_kernelILj17E21rocsparse_complex_numIdElldS2_S2_EEvT2_20rocsparse_direction_NS_24const_host_device_scalarIT0_EES3_PKS3_PKT1_SC_S9_PKT3_PKT4_S7_PT5_21rocsparse_index_base_b
	.p2align	8
	.type	_ZN9rocsparseL20bsrxmvn_17_32_kernelILj17E21rocsparse_complex_numIdElldS2_S2_EEvT2_20rocsparse_direction_NS_24const_host_device_scalarIT0_EES3_PKS3_PKT1_SC_S9_PKT3_PKT4_S7_PT5_21rocsparse_index_base_b,@function
_ZN9rocsparseL20bsrxmvn_17_32_kernelILj17E21rocsparse_complex_numIdElldS2_S2_EEvT2_20rocsparse_direction_NS_24const_host_device_scalarIT0_EES3_PKS3_PKT1_SC_S9_PKT3_PKT4_S7_PT5_21rocsparse_index_base_b: ; @_ZN9rocsparseL20bsrxmvn_17_32_kernelILj17E21rocsparse_complex_numIdElldS2_S2_EEvT2_20rocsparse_direction_NS_24const_host_device_scalarIT0_EES3_PKS3_PKT1_SC_S9_PKT3_PKT4_S7_PT5_21rocsparse_index_base_b
; %bb.0:
	s_load_dwordx2 s[0:1], s[4:5], 0x10
	s_load_dwordx2 s[14:15], s[4:5], 0x70
	s_add_u32 s7, s4, 16
	s_addc_u32 s8, s5, 0
	s_add_u32 s9, s4, 0x58
	s_addc_u32 s10, s5, 0
	s_waitcnt lgkmcnt(0)
	s_bitcmp1_b32 s15, 0
	s_cselect_b32 s1, s8, s1
	s_cselect_b32 s0, s7, s0
	v_mov_b32_e32 v1, s0
	v_mov_b32_e32 v2, s1
	flat_load_dwordx4 v[5:8], v[1:2]
	s_load_dwordx2 s[2:3], s[4:5], 0x58
	s_waitcnt lgkmcnt(0)
	s_cselect_b32 s0, s10, s3
	s_cselect_b32 s1, s9, s2
	v_mov_b32_e32 v1, s1
	v_mov_b32_e32 v2, s0
	flat_load_dwordx4 v[1:4], v[1:2]
	s_waitcnt vmcnt(0)
	v_cmp_eq_f64_e32 vcc, 0, v[5:6]
	v_cmp_eq_f64_e64 s[0:1], 0, v[7:8]
	s_and_b64 s[8:9], vcc, s[0:1]
	s_mov_b64 s[0:1], -1
	s_and_saveexec_b64 s[2:3], s[8:9]
	s_cbranch_execz .LBB464_2
; %bb.1:
	s_waitcnt lgkmcnt(0)
	v_cmp_neq_f64_e32 vcc, 1.0, v[1:2]
	v_cmp_neq_f64_e64 s[0:1], 0, v[3:4]
	s_or_b64 s[0:1], vcc, s[0:1]
	s_orn2_b64 s[0:1], s[0:1], exec
.LBB464_2:
	s_or_b64 exec, exec, s[2:3]
	s_and_saveexec_b64 s[2:3], s[0:1]
	s_cbranch_execz .LBB464_39
; %bb.3:
	s_load_dwordx4 s[0:3], s[4:5], 0x28
	s_load_dwordx2 s[8:9], s[4:5], 0x38
	s_mov_b32 s7, 0
	s_waitcnt lgkmcnt(0)
	s_cmp_eq_u64 s[0:1], 0
	s_cbranch_scc1 .LBB464_5
; %bb.4:
	s_lshl_b64 s[6:7], s[6:7], 3
	s_add_u32 s0, s0, s6
	s_addc_u32 s1, s1, s7
	s_load_dwordx2 s[0:1], s[0:1], 0x0
	s_waitcnt lgkmcnt(0)
	s_sub_u32 s6, s0, s14
	s_subb_u32 s7, s1, 0
.LBB464_5:
	s_load_dword s10, s[4:5], 0x8
	s_load_dwordx2 s[12:13], s[4:5], 0x68
	v_mul_u32_u24_e32 v13, 0xf10, v0
	v_mov_b32_e32 v9, 17
	v_mul_lo_u16_sdwa v9, v13, v9 dst_sel:DWORD dst_unused:UNUSED_PAD src0_sel:WORD_1 src1_sel:DWORD
	s_waitcnt lgkmcnt(0)
	s_cmp_eq_u32 s10, 1
	s_cselect_b64 s[0:1], -1, 0
	s_cmp_lg_u32 s10, 1
	s_cselect_b64 s[16:17], -1, 0
	s_lshl_b64 s[10:11], s[6:7], 3
	s_add_u32 s20, s2, s10
	s_addc_u32 s21, s3, s11
	s_add_u32 s2, s20, 8
	s_addc_u32 s3, s21, 0
	;; [unrolled: 2-line block ×3, first 2 shown]
	s_cmp_eq_u64 s[8:9], 0
	s_cselect_b32 s9, s3, s11
	s_cselect_b32 s8, s2, s10
	s_load_dwordx2 s[2:3], s[8:9], 0x0
	s_load_dwordx2 s[18:19], s[20:21], 0x0
	v_sub_u16_e32 v21, v0, v9
	v_mov_b32_e32 v11, 0
	v_mov_b32_e32 v12, 0
	s_waitcnt lgkmcnt(0)
	v_mov_b32_e32 v10, s3
	v_mov_b32_e32 v9, s2
	v_cmp_ge_i64_e32 vcc, s[18:19], v[9:10]
	v_mov_b32_e32 v9, 0
	v_mov_b32_e32 v10, 0
	s_cbranch_vccnz .LBB464_10
; %bb.6:
	v_mov_b32_e32 v9, 31
	v_mul_lo_u16_sdwa v9, v13, v9 dst_sel:DWORD dst_unused:UNUSED_PAD src0_sel:WORD_1 src1_sel:DWORD
	v_lshrrev_b16_e32 v9, 9, v9
	v_mul_lo_u16_e32 v9, 17, v9
	s_sub_u32 s2, s2, s14
	s_load_dwordx2 s[20:21], s[4:5], 0x50
	s_load_dwordx4 s[8:11], s[4:5], 0x40
	v_sub_u16_sdwa v9, v13, v9 dst_sel:DWORD dst_unused:UNUSED_PAD src0_sel:WORD_1 src1_sel:DWORD
	s_subb_u32 s3, s3, 0
	v_and_b32_e32 v9, 0xff, v9
	s_sub_u32 s4, s18, s14
	v_cndmask_b32_e64 v9, v21, v9, s[0:1]
	s_subb_u32 s5, s19, 0
	v_lshlrev_b32_e32 v9, 4, v9
	s_mul_i32 s0, s5, 0x908
	s_mul_hi_u32 s1, s4, 0x908
	s_waitcnt lgkmcnt(0)
	v_mov_b32_e32 v10, s21
	v_add_co_u32_e32 v13, vcc, s20, v9
	s_add_i32 s1, s1, s0
	s_mul_i32 s0, s4, 0x908
	v_addc_co_u32_e32 v14, vcc, 0, v10, vcc
	s_add_u32 s0, s10, s0
	v_lshlrev_b32_e32 v9, 3, v0
	s_addc_u32 s1, s11, s1
	v_add_co_u32_e32 v15, vcc, s0, v9
	s_movk_i32 s0, 0xe3
	v_mov_b32_e32 v10, s1
	v_mul_u32_u24_sdwa v9, v0, s0 dst_sel:DWORD dst_unused:UNUSED_PAD src0_sel:WORD_0 src1_sel:DWORD
	v_addc_co_u32_e32 v16, vcc, 0, v10, vcc
	v_lshrrev_b32_e32 v22, 16, v9
	v_mov_b32_e32 v9, s19
	v_add_co_u32_e32 v10, vcc, s18, v22
	v_addc_co_u32_e32 v11, vcc, 0, v9, vcc
	v_subrev_co_u32_e32 v9, vcc, s14, v10
	v_subbrev_co_u32_e32 v10, vcc, 0, v11, vcc
	v_lshlrev_b64 v[9:10], 3, v[9:10]
	v_mov_b32_e32 v11, s9
	v_add_co_u32_e32 v17, vcc, s8, v9
	v_addc_co_u32_e32 v18, vcc, v11, v10, vcc
	v_mov_b32_e32 v11, 0
	v_mov_b32_e32 v12, 0
	s_mov_b32 s8, 0
	v_mov_b32_e32 v20, s3
	v_mov_b32_e32 v9, v11
	s_movk_i32 s10, 0x110
	s_brev_b32 s9, 1
	v_mov_b32_e32 v19, s2
	v_mov_b32_e32 v10, v12
	s_branch .LBB464_8
.LBB464_7:                              ;   in Loop: Header=BB464_8 Depth=1
	s_or_b64 exec, exec, s[0:1]
	s_add_u32 s4, s4, 1
	s_addc_u32 s5, s5, 0
	v_cmp_lt_i64_e32 vcc, s[4:5], v[19:20]
	v_add_co_u32_e64 v17, s[0:1], 8, v17
	v_addc_co_u32_e64 v18, s[0:1], 0, v18, s[0:1]
	s_cbranch_vccz .LBB464_10
.LBB464_8:                              ; =>This Inner Loop Header: Depth=1
	v_mov_b32_e32 v24, s5
	v_add_co_u32_e32 v23, vcc, s4, v22
	v_addc_co_u32_e32 v24, vcc, 0, v24, vcc
	v_cmp_gt_i64_e32 vcc, s[2:3], v[23:24]
	s_and_saveexec_b64 s[0:1], vcc
	s_cbranch_execz .LBB464_7
; %bb.9:                                ;   in Loop: Header=BB464_8 Depth=1
	global_load_dwordx2 v[23:24], v[17:18], off
	s_waitcnt vmcnt(0)
	v_subrev_co_u32_e32 v23, vcc, s14, v23
	v_subbrev_co_u32_e32 v25, vcc, 0, v24, vcc
	v_mad_u64_u32 v[23:24], s[18:19], v23, s10, v[13:14]
	v_mad_u64_u32 v[24:25], s[18:19], v25, s10, v[24:25]
	global_load_dwordx2 v[27:28], v[15:16], off
	s_nop 0
	global_load_dwordx4 v[23:26], v[23:24], off
	v_add_co_u32_e32 v15, vcc, 0x908, v15
	v_addc_co_u32_e32 v16, vcc, 0, v16, vcc
	s_waitcnt vmcnt(0)
	v_fma_f64 v[9:10], v[27:28], v[23:24], v[9:10]
	v_fma_f64 v[11:12], v[23:24], 0, v[11:12]
	;; [unrolled: 1-line block ×4, first 2 shown]
	s_branch .LBB464_7
.LBB464_10:
	v_lshlrev_b32_e32 v17, 4, v0
	s_and_b64 vcc, exec, s[16:17]
	ds_write_b128 v17, v[9:12]
	s_waitcnt lgkmcnt(0)
	s_barrier
	s_cbranch_vccz .LBB464_22
; %bb.11:
	v_cmp_eq_u16_e32 vcc, 0, v21
	s_and_saveexec_b64 s[0:1], vcc
	s_cbranch_execz .LBB464_13
; %bb.12:
	ds_read_b128 v[13:16], v17 offset:256
	ds_read_b128 v[22:25], v17
	s_waitcnt lgkmcnt(0)
	v_add_f64 v[13:14], v[13:14], v[22:23]
	v_add_f64 v[15:16], v[15:16], v[24:25]
	ds_write_b128 v17, v[13:16]
.LBB464_13:
	s_or_b64 exec, exec, s[0:1]
	v_cmp_gt_u16_e32 vcc, 8, v21
	s_waitcnt lgkmcnt(0)
	s_barrier
	s_and_saveexec_b64 s[0:1], vcc
	s_cbranch_execz .LBB464_15
; %bb.14:
	ds_read_b128 v[13:16], v17 offset:128
	ds_read_b128 v[22:25], v17
	s_waitcnt lgkmcnt(0)
	v_add_f64 v[13:14], v[13:14], v[22:23]
	v_add_f64 v[15:16], v[15:16], v[24:25]
	ds_write_b128 v17, v[13:16]
.LBB464_15:
	s_or_b64 exec, exec, s[0:1]
	v_cmp_gt_u16_e32 vcc, 4, v21
	s_waitcnt lgkmcnt(0)
	s_barrier
	;; [unrolled: 14-line block ×3, first 2 shown]
	s_and_saveexec_b64 s[0:1], vcc
	s_cbranch_execz .LBB464_19
; %bb.18:
	ds_read_b128 v[13:16], v17
	ds_read_b128 v[18:21], v17 offset:32
	s_waitcnt lgkmcnt(0)
	v_add_f64 v[13:14], v[18:19], v[13:14]
	v_add_f64 v[15:16], v[20:21], v[15:16]
	ds_write_b128 v17, v[13:16]
.LBB464_19:
	s_or_b64 exec, exec, s[0:1]
	v_mov_b32_e32 v16, v12
	v_mov_b32_e32 v14, v10
	v_cmp_gt_u32_e32 vcc, 17, v0
	v_mov_b32_e32 v15, v11
	v_mov_b32_e32 v13, v9
	s_waitcnt lgkmcnt(0)
	s_barrier
	s_and_saveexec_b64 s[0:1], vcc
	s_cbranch_execz .LBB464_21
; %bb.20:
	v_lshl_add_u32 v18, v0, 8, v17
	ds_read_b128 v[13:16], v18
	ds_read_b128 v[18:21], v18 offset:16
	s_waitcnt lgkmcnt(0)
	v_add_f64 v[13:14], v[18:19], v[13:14]
	v_add_f64 v[15:16], v[20:21], v[15:16]
.LBB464_21:
	s_or_b64 exec, exec, s[0:1]
	v_cmp_gt_u32_e64 s[0:1], 17, v0
	s_branch .LBB464_34
.LBB464_22:
                                        ; implicit-def: $vgpr15_vgpr16
                                        ; implicit-def: $vgpr13_vgpr14
	v_cmp_gt_u32_e64 s[0:1], 17, v0
	s_cbranch_execz .LBB464_34
; %bb.23:
	s_and_saveexec_b64 s[2:3], s[0:1]
	s_cbranch_execz .LBB464_25
; %bb.24:
	ds_read_b128 v[13:16], v17 offset:4352
	ds_read_b128 v[18:21], v17
	s_waitcnt lgkmcnt(0)
	v_add_f64 v[13:14], v[13:14], v[18:19]
	v_add_f64 v[15:16], v[15:16], v[20:21]
	ds_write_b128 v17, v[13:16]
.LBB464_25:
	s_or_b64 exec, exec, s[2:3]
	s_movk_i32 s2, 0x88
	v_cmp_gt_u32_e32 vcc, s2, v0
	s_waitcnt lgkmcnt(0)
	s_barrier
	s_and_saveexec_b64 s[2:3], vcc
	s_cbranch_execz .LBB464_27
; %bb.26:
	ds_read_b128 v[13:16], v17 offset:2176
	ds_read_b128 v[18:21], v17
	s_waitcnt lgkmcnt(0)
	v_add_f64 v[13:14], v[13:14], v[18:19]
	v_add_f64 v[15:16], v[15:16], v[20:21]
	ds_write_b128 v17, v[13:16]
.LBB464_27:
	s_or_b64 exec, exec, s[2:3]
	s_movk_i32 s2, 0x44
	v_cmp_gt_u32_e32 vcc, s2, v0
	s_waitcnt lgkmcnt(0)
	s_barrier
	s_and_saveexec_b64 s[2:3], vcc
	s_cbranch_execz .LBB464_29
; %bb.28:
	ds_read_b128 v[13:16], v17 offset:1088
	ds_read_b128 v[18:21], v17
	s_waitcnt lgkmcnt(0)
	v_add_f64 v[13:14], v[13:14], v[18:19]
	v_add_f64 v[15:16], v[15:16], v[20:21]
	ds_write_b128 v17, v[13:16]
.LBB464_29:
	s_or_b64 exec, exec, s[2:3]
	v_cmp_gt_u32_e32 vcc, 34, v0
	s_waitcnt lgkmcnt(0)
	s_barrier
	s_and_saveexec_b64 s[2:3], vcc
	s_cbranch_execz .LBB464_31
; %bb.30:
	ds_read_b128 v[13:16], v17 offset:544
	ds_read_b128 v[18:21], v17
	s_waitcnt lgkmcnt(0)
	v_add_f64 v[13:14], v[13:14], v[18:19]
	v_add_f64 v[15:16], v[15:16], v[20:21]
	ds_write_b128 v17, v[13:16]
.LBB464_31:
	s_or_b64 exec, exec, s[2:3]
	s_waitcnt lgkmcnt(0)
	s_and_saveexec_b64 s[2:3], s[0:1]
	s_cbranch_execz .LBB464_33
; %bb.32:
	ds_read_b128 v[9:12], v17 offset:272
	ds_read_b128 v[13:16], v17
	s_waitcnt lgkmcnt(0)
	v_add_f64 v[9:10], v[9:10], v[13:14]
	v_add_f64 v[11:12], v[11:12], v[15:16]
.LBB464_33:
	s_or_b64 exec, exec, s[2:3]
	v_mov_b32_e32 v16, v12
	v_mov_b32_e32 v14, v10
	;; [unrolled: 1-line block ×4, first 2 shown]
.LBB464_34:
	v_cmp_gt_u32_e32 vcc, 17, v0
	s_and_b64 exec, exec, vcc
	s_cbranch_execz .LBB464_39
; %bb.35:
	v_mul_f64 v[9:10], v[15:16], -v[7:8]
	v_mul_f64 v[11:12], v[5:6], v[15:16]
	v_cmp_eq_f64_e32 vcc, 0, v[1:2]
	v_cmp_eq_f64_e64 s[0:1], 0, v[3:4]
	s_mul_i32 s2, s7, 0x110
	s_mul_hi_u32 s3, s6, 0x110
	s_mul_i32 s4, s6, 0x110
	v_fma_f64 v[5:6], v[5:6], v[13:14], v[9:10]
	v_fma_f64 v[7:8], v[7:8], v[13:14], v[11:12]
	s_and_b64 s[0:1], vcc, s[0:1]
	s_and_saveexec_b64 s[6:7], s[0:1]
	s_xor_b64 s[0:1], exec, s[6:7]
	s_cbranch_execz .LBB464_37
; %bb.36:
	s_add_i32 s5, s3, s2
	s_add_u32 s6, s12, s4
	s_addc_u32 s7, s13, s5
	global_store_dwordx4 v17, v[5:8], s[6:7]
                                        ; implicit-def: $vgpr17
                                        ; implicit-def: $vgpr1_vgpr2
                                        ; implicit-def: $vgpr5_vgpr6
.LBB464_37:
	s_andn2_saveexec_b64 s[0:1], s[0:1]
	s_cbranch_execz .LBB464_39
; %bb.38:
	s_add_i32 s3, s3, s2
	s_add_u32 s0, s12, s4
	s_addc_u32 s1, s13, s3
	global_load_dwordx4 v[9:12], v17, s[0:1]
	s_waitcnt vmcnt(0)
	v_fma_f64 v[5:6], v[1:2], v[9:10], v[5:6]
	v_fma_f64 v[7:8], v[3:4], v[9:10], v[7:8]
	v_fma_f64 v[3:4], -v[3:4], v[11:12], v[5:6]
	v_fma_f64 v[5:6], v[1:2], v[11:12], v[7:8]
	global_store_dwordx4 v17, v[3:6], s[0:1]
.LBB464_39:
	s_endpgm
	.section	.rodata,"a",@progbits
	.p2align	6, 0x0
	.amdhsa_kernel _ZN9rocsparseL20bsrxmvn_17_32_kernelILj17E21rocsparse_complex_numIdElldS2_S2_EEvT2_20rocsparse_direction_NS_24const_host_device_scalarIT0_EES3_PKS3_PKT1_SC_S9_PKT3_PKT4_S7_PT5_21rocsparse_index_base_b
		.amdhsa_group_segment_fixed_size 4624
		.amdhsa_private_segment_fixed_size 0
		.amdhsa_kernarg_size 120
		.amdhsa_user_sgpr_count 6
		.amdhsa_user_sgpr_private_segment_buffer 1
		.amdhsa_user_sgpr_dispatch_ptr 0
		.amdhsa_user_sgpr_queue_ptr 0
		.amdhsa_user_sgpr_kernarg_segment_ptr 1
		.amdhsa_user_sgpr_dispatch_id 0
		.amdhsa_user_sgpr_flat_scratch_init 0
		.amdhsa_user_sgpr_private_segment_size 0
		.amdhsa_uses_dynamic_stack 0
		.amdhsa_system_sgpr_private_segment_wavefront_offset 0
		.amdhsa_system_sgpr_workgroup_id_x 1
		.amdhsa_system_sgpr_workgroup_id_y 0
		.amdhsa_system_sgpr_workgroup_id_z 0
		.amdhsa_system_sgpr_workgroup_info 0
		.amdhsa_system_vgpr_workitem_id 0
		.amdhsa_next_free_vgpr 29
		.amdhsa_next_free_sgpr 22
		.amdhsa_reserve_vcc 1
		.amdhsa_reserve_flat_scratch 0
		.amdhsa_float_round_mode_32 0
		.amdhsa_float_round_mode_16_64 0
		.amdhsa_float_denorm_mode_32 3
		.amdhsa_float_denorm_mode_16_64 3
		.amdhsa_dx10_clamp 1
		.amdhsa_ieee_mode 1
		.amdhsa_fp16_overflow 0
		.amdhsa_exception_fp_ieee_invalid_op 0
		.amdhsa_exception_fp_denorm_src 0
		.amdhsa_exception_fp_ieee_div_zero 0
		.amdhsa_exception_fp_ieee_overflow 0
		.amdhsa_exception_fp_ieee_underflow 0
		.amdhsa_exception_fp_ieee_inexact 0
		.amdhsa_exception_int_div_zero 0
	.end_amdhsa_kernel
	.section	.text._ZN9rocsparseL20bsrxmvn_17_32_kernelILj17E21rocsparse_complex_numIdElldS2_S2_EEvT2_20rocsparse_direction_NS_24const_host_device_scalarIT0_EES3_PKS3_PKT1_SC_S9_PKT3_PKT4_S7_PT5_21rocsparse_index_base_b,"axG",@progbits,_ZN9rocsparseL20bsrxmvn_17_32_kernelILj17E21rocsparse_complex_numIdElldS2_S2_EEvT2_20rocsparse_direction_NS_24const_host_device_scalarIT0_EES3_PKS3_PKT1_SC_S9_PKT3_PKT4_S7_PT5_21rocsparse_index_base_b,comdat
.Lfunc_end464:
	.size	_ZN9rocsparseL20bsrxmvn_17_32_kernelILj17E21rocsparse_complex_numIdElldS2_S2_EEvT2_20rocsparse_direction_NS_24const_host_device_scalarIT0_EES3_PKS3_PKT1_SC_S9_PKT3_PKT4_S7_PT5_21rocsparse_index_base_b, .Lfunc_end464-_ZN9rocsparseL20bsrxmvn_17_32_kernelILj17E21rocsparse_complex_numIdElldS2_S2_EEvT2_20rocsparse_direction_NS_24const_host_device_scalarIT0_EES3_PKS3_PKT1_SC_S9_PKT3_PKT4_S7_PT5_21rocsparse_index_base_b
                                        ; -- End function
	.set _ZN9rocsparseL20bsrxmvn_17_32_kernelILj17E21rocsparse_complex_numIdElldS2_S2_EEvT2_20rocsparse_direction_NS_24const_host_device_scalarIT0_EES3_PKS3_PKT1_SC_S9_PKT3_PKT4_S7_PT5_21rocsparse_index_base_b.num_vgpr, 29
	.set _ZN9rocsparseL20bsrxmvn_17_32_kernelILj17E21rocsparse_complex_numIdElldS2_S2_EEvT2_20rocsparse_direction_NS_24const_host_device_scalarIT0_EES3_PKS3_PKT1_SC_S9_PKT3_PKT4_S7_PT5_21rocsparse_index_base_b.num_agpr, 0
	.set _ZN9rocsparseL20bsrxmvn_17_32_kernelILj17E21rocsparse_complex_numIdElldS2_S2_EEvT2_20rocsparse_direction_NS_24const_host_device_scalarIT0_EES3_PKS3_PKT1_SC_S9_PKT3_PKT4_S7_PT5_21rocsparse_index_base_b.numbered_sgpr, 22
	.set _ZN9rocsparseL20bsrxmvn_17_32_kernelILj17E21rocsparse_complex_numIdElldS2_S2_EEvT2_20rocsparse_direction_NS_24const_host_device_scalarIT0_EES3_PKS3_PKT1_SC_S9_PKT3_PKT4_S7_PT5_21rocsparse_index_base_b.num_named_barrier, 0
	.set _ZN9rocsparseL20bsrxmvn_17_32_kernelILj17E21rocsparse_complex_numIdElldS2_S2_EEvT2_20rocsparse_direction_NS_24const_host_device_scalarIT0_EES3_PKS3_PKT1_SC_S9_PKT3_PKT4_S7_PT5_21rocsparse_index_base_b.private_seg_size, 0
	.set _ZN9rocsparseL20bsrxmvn_17_32_kernelILj17E21rocsparse_complex_numIdElldS2_S2_EEvT2_20rocsparse_direction_NS_24const_host_device_scalarIT0_EES3_PKS3_PKT1_SC_S9_PKT3_PKT4_S7_PT5_21rocsparse_index_base_b.uses_vcc, 1
	.set _ZN9rocsparseL20bsrxmvn_17_32_kernelILj17E21rocsparse_complex_numIdElldS2_S2_EEvT2_20rocsparse_direction_NS_24const_host_device_scalarIT0_EES3_PKS3_PKT1_SC_S9_PKT3_PKT4_S7_PT5_21rocsparse_index_base_b.uses_flat_scratch, 0
	.set _ZN9rocsparseL20bsrxmvn_17_32_kernelILj17E21rocsparse_complex_numIdElldS2_S2_EEvT2_20rocsparse_direction_NS_24const_host_device_scalarIT0_EES3_PKS3_PKT1_SC_S9_PKT3_PKT4_S7_PT5_21rocsparse_index_base_b.has_dyn_sized_stack, 0
	.set _ZN9rocsparseL20bsrxmvn_17_32_kernelILj17E21rocsparse_complex_numIdElldS2_S2_EEvT2_20rocsparse_direction_NS_24const_host_device_scalarIT0_EES3_PKS3_PKT1_SC_S9_PKT3_PKT4_S7_PT5_21rocsparse_index_base_b.has_recursion, 0
	.set _ZN9rocsparseL20bsrxmvn_17_32_kernelILj17E21rocsparse_complex_numIdElldS2_S2_EEvT2_20rocsparse_direction_NS_24const_host_device_scalarIT0_EES3_PKS3_PKT1_SC_S9_PKT3_PKT4_S7_PT5_21rocsparse_index_base_b.has_indirect_call, 0
	.section	.AMDGPU.csdata,"",@progbits
; Kernel info:
; codeLenInByte = 1728
; TotalNumSgprs: 26
; NumVgprs: 29
; ScratchSize: 0
; MemoryBound: 1
; FloatMode: 240
; IeeeMode: 1
; LDSByteSize: 4624 bytes/workgroup (compile time only)
; SGPRBlocks: 3
; VGPRBlocks: 7
; NumSGPRsForWavesPerEU: 26
; NumVGPRsForWavesPerEU: 29
; Occupancy: 8
; WaveLimiterHint : 1
; COMPUTE_PGM_RSRC2:SCRATCH_EN: 0
; COMPUTE_PGM_RSRC2:USER_SGPR: 6
; COMPUTE_PGM_RSRC2:TRAP_HANDLER: 0
; COMPUTE_PGM_RSRC2:TGID_X_EN: 1
; COMPUTE_PGM_RSRC2:TGID_Y_EN: 0
; COMPUTE_PGM_RSRC2:TGID_Z_EN: 0
; COMPUTE_PGM_RSRC2:TIDIG_COMP_CNT: 0
	.section	.text._ZN9rocsparseL20bsrxmvn_17_32_kernelILj18E21rocsparse_complex_numIdElldS2_S2_EEvT2_20rocsparse_direction_NS_24const_host_device_scalarIT0_EES3_PKS3_PKT1_SC_S9_PKT3_PKT4_S7_PT5_21rocsparse_index_base_b,"axG",@progbits,_ZN9rocsparseL20bsrxmvn_17_32_kernelILj18E21rocsparse_complex_numIdElldS2_S2_EEvT2_20rocsparse_direction_NS_24const_host_device_scalarIT0_EES3_PKS3_PKT1_SC_S9_PKT3_PKT4_S7_PT5_21rocsparse_index_base_b,comdat
	.globl	_ZN9rocsparseL20bsrxmvn_17_32_kernelILj18E21rocsparse_complex_numIdElldS2_S2_EEvT2_20rocsparse_direction_NS_24const_host_device_scalarIT0_EES3_PKS3_PKT1_SC_S9_PKT3_PKT4_S7_PT5_21rocsparse_index_base_b ; -- Begin function _ZN9rocsparseL20bsrxmvn_17_32_kernelILj18E21rocsparse_complex_numIdElldS2_S2_EEvT2_20rocsparse_direction_NS_24const_host_device_scalarIT0_EES3_PKS3_PKT1_SC_S9_PKT3_PKT4_S7_PT5_21rocsparse_index_base_b
	.p2align	8
	.type	_ZN9rocsparseL20bsrxmvn_17_32_kernelILj18E21rocsparse_complex_numIdElldS2_S2_EEvT2_20rocsparse_direction_NS_24const_host_device_scalarIT0_EES3_PKS3_PKT1_SC_S9_PKT3_PKT4_S7_PT5_21rocsparse_index_base_b,@function
_ZN9rocsparseL20bsrxmvn_17_32_kernelILj18E21rocsparse_complex_numIdElldS2_S2_EEvT2_20rocsparse_direction_NS_24const_host_device_scalarIT0_EES3_PKS3_PKT1_SC_S9_PKT3_PKT4_S7_PT5_21rocsparse_index_base_b: ; @_ZN9rocsparseL20bsrxmvn_17_32_kernelILj18E21rocsparse_complex_numIdElldS2_S2_EEvT2_20rocsparse_direction_NS_24const_host_device_scalarIT0_EES3_PKS3_PKT1_SC_S9_PKT3_PKT4_S7_PT5_21rocsparse_index_base_b
; %bb.0:
	s_load_dwordx2 s[0:1], s[4:5], 0x10
	s_load_dwordx2 s[14:15], s[4:5], 0x70
	s_add_u32 s7, s4, 16
	s_addc_u32 s8, s5, 0
	s_add_u32 s9, s4, 0x58
	s_addc_u32 s10, s5, 0
	s_waitcnt lgkmcnt(0)
	s_bitcmp1_b32 s15, 0
	s_cselect_b32 s1, s8, s1
	s_cselect_b32 s0, s7, s0
	v_mov_b32_e32 v1, s0
	v_mov_b32_e32 v2, s1
	flat_load_dwordx4 v[5:8], v[1:2]
	s_load_dwordx2 s[2:3], s[4:5], 0x58
	s_waitcnt lgkmcnt(0)
	s_cselect_b32 s0, s10, s3
	s_cselect_b32 s1, s9, s2
	v_mov_b32_e32 v1, s1
	v_mov_b32_e32 v2, s0
	flat_load_dwordx4 v[1:4], v[1:2]
	s_waitcnt vmcnt(0)
	v_cmp_eq_f64_e32 vcc, 0, v[5:6]
	v_cmp_eq_f64_e64 s[0:1], 0, v[7:8]
	s_and_b64 s[8:9], vcc, s[0:1]
	s_mov_b64 s[0:1], -1
	s_and_saveexec_b64 s[2:3], s[8:9]
	s_cbranch_execz .LBB465_2
; %bb.1:
	s_waitcnt lgkmcnt(0)
	v_cmp_neq_f64_e32 vcc, 1.0, v[1:2]
	v_cmp_neq_f64_e64 s[0:1], 0, v[3:4]
	s_or_b64 s[0:1], vcc, s[0:1]
	s_orn2_b64 s[0:1], s[0:1], exec
.LBB465_2:
	s_or_b64 exec, exec, s[2:3]
	s_and_saveexec_b64 s[2:3], s[0:1]
	s_cbranch_execz .LBB465_39
; %bb.3:
	s_load_dwordx4 s[0:3], s[4:5], 0x28
	s_load_dwordx2 s[8:9], s[4:5], 0x38
	s_mov_b32 s7, 0
	s_waitcnt lgkmcnt(0)
	s_cmp_eq_u64 s[0:1], 0
	s_cbranch_scc1 .LBB465_5
; %bb.4:
	s_lshl_b64 s[6:7], s[6:7], 3
	s_add_u32 s0, s0, s6
	s_addc_u32 s1, s1, s7
	s_load_dwordx2 s[0:1], s[0:1], 0x0
	s_waitcnt lgkmcnt(0)
	s_sub_u32 s6, s0, s14
	s_subb_u32 s7, s1, 0
.LBB465_5:
	s_load_dword s10, s[4:5], 0x8
	s_load_dwordx2 s[12:13], s[4:5], 0x68
	v_mul_u32_u24_e32 v13, 0xe39, v0
	v_mov_b32_e32 v14, 18
	v_mul_lo_u16_sdwa v9, v13, v14 dst_sel:DWORD dst_unused:UNUSED_PAD src0_sel:WORD_1 src1_sel:DWORD
	s_waitcnt lgkmcnt(0)
	s_cmp_eq_u32 s10, 1
	s_cselect_b64 s[0:1], -1, 0
	s_cmp_lg_u32 s10, 1
	s_cselect_b64 s[16:17], -1, 0
	s_lshl_b64 s[10:11], s[6:7], 3
	s_add_u32 s20, s2, s10
	s_addc_u32 s21, s3, s11
	s_add_u32 s2, s20, 8
	s_addc_u32 s3, s21, 0
	s_add_u32 s10, s8, s10
	s_addc_u32 s11, s9, s11
	s_cmp_eq_u64 s[8:9], 0
	s_cselect_b32 s9, s3, s11
	s_cselect_b32 s8, s2, s10
	s_load_dwordx2 s[2:3], s[8:9], 0x0
	s_load_dwordx2 s[18:19], s[20:21], 0x0
	v_sub_u16_e32 v21, v0, v9
	v_mov_b32_e32 v11, 0
	v_mov_b32_e32 v12, 0
	s_waitcnt lgkmcnt(0)
	v_mov_b32_e32 v10, s3
	v_mov_b32_e32 v9, s2
	v_cmp_ge_i64_e32 vcc, s[18:19], v[9:10]
	v_mov_b32_e32 v9, 0
	v_mov_b32_e32 v10, 0
	s_cbranch_vccnz .LBB465_10
; %bb.6:
	v_mov_b32_e32 v9, 15
	v_mul_lo_u16_sdwa v9, v13, v9 dst_sel:DWORD dst_unused:UNUSED_PAD src0_sel:WORD_1 src1_sel:DWORD
	v_mul_lo_u16_sdwa v9, v9, v14 dst_sel:DWORD dst_unused:UNUSED_PAD src0_sel:BYTE_1 src1_sel:DWORD
	s_sub_u32 s2, s2, s14
	s_load_dwordx2 s[20:21], s[4:5], 0x50
	s_load_dwordx4 s[8:11], s[4:5], 0x40
	v_sub_u16_sdwa v9, v13, v9 dst_sel:DWORD dst_unused:UNUSED_PAD src0_sel:WORD_1 src1_sel:DWORD
	s_subb_u32 s3, s3, 0
	v_and_b32_e32 v9, 0xff, v9
	s_sub_u32 s4, s18, s14
	v_cndmask_b32_e64 v9, v21, v9, s[0:1]
	s_subb_u32 s5, s19, 0
	v_lshlrev_b32_e32 v9, 4, v9
	s_mul_i32 s0, s5, 0xa20
	s_mul_hi_u32 s1, s4, 0xa20
	s_waitcnt lgkmcnt(0)
	v_mov_b32_e32 v10, s21
	v_add_co_u32_e32 v13, vcc, s20, v9
	s_add_i32 s1, s1, s0
	s_mul_i32 s0, s4, 0xa20
	v_addc_co_u32_e32 v14, vcc, 0, v10, vcc
	s_add_u32 s0, s10, s0
	v_lshlrev_b32_e32 v9, 3, v0
	s_addc_u32 s1, s11, s1
	v_add_co_u32_e32 v15, vcc, s0, v9
	s_movk_i32 s0, 0x195
	v_mov_b32_e32 v10, s1
	v_mul_u32_u24_sdwa v9, v0, s0 dst_sel:DWORD dst_unused:UNUSED_PAD src0_sel:WORD_0 src1_sel:DWORD
	v_addc_co_u32_e32 v16, vcc, 0, v10, vcc
	v_lshrrev_b32_e32 v22, 17, v9
	v_mov_b32_e32 v9, s19
	v_add_co_u32_e32 v10, vcc, s18, v22
	v_addc_co_u32_e32 v11, vcc, 0, v9, vcc
	v_subrev_co_u32_e32 v9, vcc, s14, v10
	v_subbrev_co_u32_e32 v10, vcc, 0, v11, vcc
	v_lshlrev_b64 v[9:10], 3, v[9:10]
	v_mov_b32_e32 v11, s9
	v_add_co_u32_e32 v17, vcc, s8, v9
	v_addc_co_u32_e32 v18, vcc, v11, v10, vcc
	v_mov_b32_e32 v11, 0
	v_mov_b32_e32 v12, 0
	s_mov_b32 s8, 0
	v_mov_b32_e32 v20, s3
	v_mov_b32_e32 v9, v11
	s_movk_i32 s10, 0x120
	s_brev_b32 s9, 1
	v_mov_b32_e32 v19, s2
	v_mov_b32_e32 v10, v12
	s_branch .LBB465_8
.LBB465_7:                              ;   in Loop: Header=BB465_8 Depth=1
	s_or_b64 exec, exec, s[0:1]
	s_add_u32 s4, s4, 1
	s_addc_u32 s5, s5, 0
	v_cmp_lt_i64_e32 vcc, s[4:5], v[19:20]
	v_add_co_u32_e64 v17, s[0:1], 8, v17
	v_addc_co_u32_e64 v18, s[0:1], 0, v18, s[0:1]
	s_cbranch_vccz .LBB465_10
.LBB465_8:                              ; =>This Inner Loop Header: Depth=1
	v_mov_b32_e32 v24, s5
	v_add_co_u32_e32 v23, vcc, s4, v22
	v_addc_co_u32_e32 v24, vcc, 0, v24, vcc
	v_cmp_gt_i64_e32 vcc, s[2:3], v[23:24]
	s_and_saveexec_b64 s[0:1], vcc
	s_cbranch_execz .LBB465_7
; %bb.9:                                ;   in Loop: Header=BB465_8 Depth=1
	global_load_dwordx2 v[23:24], v[17:18], off
	s_waitcnt vmcnt(0)
	v_subrev_co_u32_e32 v23, vcc, s14, v23
	v_subbrev_co_u32_e32 v25, vcc, 0, v24, vcc
	v_mad_u64_u32 v[23:24], s[18:19], v23, s10, v[13:14]
	v_mad_u64_u32 v[24:25], s[18:19], v25, s10, v[24:25]
	global_load_dwordx2 v[27:28], v[15:16], off
	s_nop 0
	global_load_dwordx4 v[23:26], v[23:24], off
	v_add_co_u32_e32 v15, vcc, 0xa20, v15
	v_addc_co_u32_e32 v16, vcc, 0, v16, vcc
	s_waitcnt vmcnt(0)
	v_fma_f64 v[9:10], v[27:28], v[23:24], v[9:10]
	v_fma_f64 v[11:12], v[23:24], 0, v[11:12]
	;; [unrolled: 1-line block ×4, first 2 shown]
	s_branch .LBB465_7
.LBB465_10:
	v_lshlrev_b32_e32 v17, 4, v0
	s_and_b64 vcc, exec, s[16:17]
	ds_write_b128 v17, v[9:12]
	s_waitcnt lgkmcnt(0)
	s_barrier
	s_cbranch_vccz .LBB465_22
; %bb.11:
	v_cmp_gt_u16_e32 vcc, 2, v21
	s_and_saveexec_b64 s[0:1], vcc
	s_cbranch_execz .LBB465_13
; %bb.12:
	ds_read_b128 v[13:16], v17 offset:256
	ds_read_b128 v[22:25], v17
	s_waitcnt lgkmcnt(0)
	v_add_f64 v[13:14], v[13:14], v[22:23]
	v_add_f64 v[15:16], v[15:16], v[24:25]
	ds_write_b128 v17, v[13:16]
.LBB465_13:
	s_or_b64 exec, exec, s[0:1]
	v_cmp_gt_u16_e64 s[0:1], 8, v21
	s_waitcnt lgkmcnt(0)
	s_barrier
	s_and_saveexec_b64 s[2:3], s[0:1]
	s_cbranch_execz .LBB465_15
; %bb.14:
	ds_read_b128 v[13:16], v17 offset:128
	ds_read_b128 v[22:25], v17
	s_waitcnt lgkmcnt(0)
	v_add_f64 v[13:14], v[13:14], v[22:23]
	v_add_f64 v[15:16], v[15:16], v[24:25]
	ds_write_b128 v17, v[13:16]
.LBB465_15:
	s_or_b64 exec, exec, s[2:3]
	v_cmp_gt_u16_e64 s[0:1], 4, v21
	s_waitcnt lgkmcnt(0)
	s_barrier
	s_and_saveexec_b64 s[2:3], s[0:1]
	s_cbranch_execz .LBB465_17
; %bb.16:
	ds_read_b128 v[13:16], v17 offset:64
	ds_read_b128 v[18:21], v17
	s_waitcnt lgkmcnt(0)
	v_add_f64 v[13:14], v[13:14], v[18:19]
	v_add_f64 v[15:16], v[15:16], v[20:21]
	ds_write_b128 v17, v[13:16]
.LBB465_17:
	s_or_b64 exec, exec, s[2:3]
	s_waitcnt lgkmcnt(0)
	s_barrier
	s_and_saveexec_b64 s[0:1], vcc
	s_cbranch_execz .LBB465_19
; %bb.18:
	ds_read_b128 v[13:16], v17
	ds_read_b128 v[18:21], v17 offset:32
	s_waitcnt lgkmcnt(0)
	v_add_f64 v[13:14], v[18:19], v[13:14]
	v_add_f64 v[15:16], v[20:21], v[15:16]
	ds_write_b128 v17, v[13:16]
.LBB465_19:
	s_or_b64 exec, exec, s[0:1]
	v_mov_b32_e32 v16, v12
	v_mov_b32_e32 v14, v10
	v_cmp_gt_u32_e32 vcc, 18, v0
	v_mov_b32_e32 v15, v11
	v_mov_b32_e32 v13, v9
	s_waitcnt lgkmcnt(0)
	s_barrier
	s_and_saveexec_b64 s[0:1], vcc
	s_cbranch_execz .LBB465_21
; %bb.20:
	s_movk_i32 s2, 0x110
	v_mad_u32_u24 v18, v0, s2, v17
	ds_read_b128 v[13:16], v18
	ds_read_b128 v[18:21], v18 offset:16
	s_waitcnt lgkmcnt(0)
	v_add_f64 v[13:14], v[18:19], v[13:14]
	v_add_f64 v[15:16], v[20:21], v[15:16]
.LBB465_21:
	s_or_b64 exec, exec, s[0:1]
	s_branch .LBB465_34
.LBB465_22:
                                        ; implicit-def: $vgpr15_vgpr16
                                        ; implicit-def: $vgpr13_vgpr14
	s_cbranch_execz .LBB465_34
; %bb.23:
	v_cmp_gt_u32_e32 vcc, 36, v0
	s_and_saveexec_b64 s[0:1], vcc
	s_cbranch_execz .LBB465_25
; %bb.24:
	ds_read_b128 v[13:16], v17 offset:4608
	ds_read_b128 v[18:21], v17
	s_waitcnt lgkmcnt(0)
	v_add_f64 v[13:14], v[13:14], v[18:19]
	v_add_f64 v[15:16], v[15:16], v[20:21]
	ds_write_b128 v17, v[13:16]
.LBB465_25:
	s_or_b64 exec, exec, s[0:1]
	s_movk_i32 s0, 0x90
	v_cmp_gt_u32_e64 s[0:1], s0, v0
	s_waitcnt lgkmcnt(0)
	s_barrier
	s_and_saveexec_b64 s[2:3], s[0:1]
	s_cbranch_execz .LBB465_27
; %bb.26:
	ds_read_b128 v[13:16], v17 offset:2304
	ds_read_b128 v[18:21], v17
	s_waitcnt lgkmcnt(0)
	v_add_f64 v[13:14], v[13:14], v[18:19]
	v_add_f64 v[15:16], v[15:16], v[20:21]
	ds_write_b128 v17, v[13:16]
.LBB465_27:
	s_or_b64 exec, exec, s[2:3]
	s_movk_i32 s0, 0x48
	v_cmp_gt_u32_e64 s[0:1], s0, v0
	s_waitcnt lgkmcnt(0)
	s_barrier
	s_and_saveexec_b64 s[2:3], s[0:1]
	s_cbranch_execz .LBB465_29
; %bb.28:
	ds_read_b128 v[13:16], v17 offset:1152
	ds_read_b128 v[18:21], v17
	s_waitcnt lgkmcnt(0)
	v_add_f64 v[13:14], v[13:14], v[18:19]
	v_add_f64 v[15:16], v[15:16], v[20:21]
	ds_write_b128 v17, v[13:16]
.LBB465_29:
	s_or_b64 exec, exec, s[2:3]
	s_waitcnt lgkmcnt(0)
	s_barrier
	s_and_saveexec_b64 s[0:1], vcc
	s_cbranch_execz .LBB465_31
; %bb.30:
	ds_read_b128 v[13:16], v17 offset:576
	ds_read_b128 v[18:21], v17
	s_waitcnt lgkmcnt(0)
	v_add_f64 v[13:14], v[13:14], v[18:19]
	v_add_f64 v[15:16], v[15:16], v[20:21]
	ds_write_b128 v17, v[13:16]
.LBB465_31:
	s_or_b64 exec, exec, s[0:1]
	v_cmp_gt_u32_e32 vcc, 18, v0
	s_waitcnt lgkmcnt(0)
	s_and_saveexec_b64 s[0:1], vcc
	s_cbranch_execz .LBB465_33
; %bb.32:
	ds_read_b128 v[9:12], v17 offset:288
	ds_read_b128 v[13:16], v17
	s_waitcnt lgkmcnt(0)
	v_add_f64 v[9:10], v[9:10], v[13:14]
	v_add_f64 v[11:12], v[11:12], v[15:16]
.LBB465_33:
	s_or_b64 exec, exec, s[0:1]
	v_mov_b32_e32 v16, v12
	v_mov_b32_e32 v14, v10
	;; [unrolled: 1-line block ×4, first 2 shown]
.LBB465_34:
	v_cmp_gt_u32_e32 vcc, 18, v0
	s_and_b64 exec, exec, vcc
	s_cbranch_execz .LBB465_39
; %bb.35:
	v_mul_f64 v[9:10], v[15:16], -v[7:8]
	v_mul_f64 v[11:12], v[5:6], v[15:16]
	v_cmp_eq_f64_e32 vcc, 0, v[1:2]
	v_cmp_eq_f64_e64 s[0:1], 0, v[3:4]
	s_mul_i32 s2, s7, 0x120
	s_mul_hi_u32 s3, s6, 0x120
	s_mul_i32 s4, s6, 0x120
	v_fma_f64 v[5:6], v[5:6], v[13:14], v[9:10]
	v_fma_f64 v[7:8], v[7:8], v[13:14], v[11:12]
	s_and_b64 s[0:1], vcc, s[0:1]
	s_and_saveexec_b64 s[6:7], s[0:1]
	s_xor_b64 s[0:1], exec, s[6:7]
	s_cbranch_execz .LBB465_37
; %bb.36:
	s_add_i32 s5, s3, s2
	s_add_u32 s6, s12, s4
	s_addc_u32 s7, s13, s5
	global_store_dwordx4 v17, v[5:8], s[6:7]
                                        ; implicit-def: $vgpr17
                                        ; implicit-def: $vgpr1_vgpr2
                                        ; implicit-def: $vgpr5_vgpr6
.LBB465_37:
	s_andn2_saveexec_b64 s[0:1], s[0:1]
	s_cbranch_execz .LBB465_39
; %bb.38:
	s_add_i32 s3, s3, s2
	s_add_u32 s0, s12, s4
	s_addc_u32 s1, s13, s3
	global_load_dwordx4 v[9:12], v17, s[0:1]
	s_waitcnt vmcnt(0)
	v_fma_f64 v[5:6], v[1:2], v[9:10], v[5:6]
	v_fma_f64 v[7:8], v[3:4], v[9:10], v[7:8]
	v_fma_f64 v[3:4], -v[3:4], v[11:12], v[5:6]
	v_fma_f64 v[5:6], v[1:2], v[11:12], v[7:8]
	global_store_dwordx4 v17, v[3:6], s[0:1]
.LBB465_39:
	s_endpgm
	.section	.rodata,"a",@progbits
	.p2align	6, 0x0
	.amdhsa_kernel _ZN9rocsparseL20bsrxmvn_17_32_kernelILj18E21rocsparse_complex_numIdElldS2_S2_EEvT2_20rocsparse_direction_NS_24const_host_device_scalarIT0_EES3_PKS3_PKT1_SC_S9_PKT3_PKT4_S7_PT5_21rocsparse_index_base_b
		.amdhsa_group_segment_fixed_size 5184
		.amdhsa_private_segment_fixed_size 0
		.amdhsa_kernarg_size 120
		.amdhsa_user_sgpr_count 6
		.amdhsa_user_sgpr_private_segment_buffer 1
		.amdhsa_user_sgpr_dispatch_ptr 0
		.amdhsa_user_sgpr_queue_ptr 0
		.amdhsa_user_sgpr_kernarg_segment_ptr 1
		.amdhsa_user_sgpr_dispatch_id 0
		.amdhsa_user_sgpr_flat_scratch_init 0
		.amdhsa_user_sgpr_private_segment_size 0
		.amdhsa_uses_dynamic_stack 0
		.amdhsa_system_sgpr_private_segment_wavefront_offset 0
		.amdhsa_system_sgpr_workgroup_id_x 1
		.amdhsa_system_sgpr_workgroup_id_y 0
		.amdhsa_system_sgpr_workgroup_id_z 0
		.amdhsa_system_sgpr_workgroup_info 0
		.amdhsa_system_vgpr_workitem_id 0
		.amdhsa_next_free_vgpr 29
		.amdhsa_next_free_sgpr 61
		.amdhsa_reserve_vcc 1
		.amdhsa_reserve_flat_scratch 0
		.amdhsa_float_round_mode_32 0
		.amdhsa_float_round_mode_16_64 0
		.amdhsa_float_denorm_mode_32 3
		.amdhsa_float_denorm_mode_16_64 3
		.amdhsa_dx10_clamp 1
		.amdhsa_ieee_mode 1
		.amdhsa_fp16_overflow 0
		.amdhsa_exception_fp_ieee_invalid_op 0
		.amdhsa_exception_fp_denorm_src 0
		.amdhsa_exception_fp_ieee_div_zero 0
		.amdhsa_exception_fp_ieee_overflow 0
		.amdhsa_exception_fp_ieee_underflow 0
		.amdhsa_exception_fp_ieee_inexact 0
		.amdhsa_exception_int_div_zero 0
	.end_amdhsa_kernel
	.section	.text._ZN9rocsparseL20bsrxmvn_17_32_kernelILj18E21rocsparse_complex_numIdElldS2_S2_EEvT2_20rocsparse_direction_NS_24const_host_device_scalarIT0_EES3_PKS3_PKT1_SC_S9_PKT3_PKT4_S7_PT5_21rocsparse_index_base_b,"axG",@progbits,_ZN9rocsparseL20bsrxmvn_17_32_kernelILj18E21rocsparse_complex_numIdElldS2_S2_EEvT2_20rocsparse_direction_NS_24const_host_device_scalarIT0_EES3_PKS3_PKT1_SC_S9_PKT3_PKT4_S7_PT5_21rocsparse_index_base_b,comdat
.Lfunc_end465:
	.size	_ZN9rocsparseL20bsrxmvn_17_32_kernelILj18E21rocsparse_complex_numIdElldS2_S2_EEvT2_20rocsparse_direction_NS_24const_host_device_scalarIT0_EES3_PKS3_PKT1_SC_S9_PKT3_PKT4_S7_PT5_21rocsparse_index_base_b, .Lfunc_end465-_ZN9rocsparseL20bsrxmvn_17_32_kernelILj18E21rocsparse_complex_numIdElldS2_S2_EEvT2_20rocsparse_direction_NS_24const_host_device_scalarIT0_EES3_PKS3_PKT1_SC_S9_PKT3_PKT4_S7_PT5_21rocsparse_index_base_b
                                        ; -- End function
	.set _ZN9rocsparseL20bsrxmvn_17_32_kernelILj18E21rocsparse_complex_numIdElldS2_S2_EEvT2_20rocsparse_direction_NS_24const_host_device_scalarIT0_EES3_PKS3_PKT1_SC_S9_PKT3_PKT4_S7_PT5_21rocsparse_index_base_b.num_vgpr, 29
	.set _ZN9rocsparseL20bsrxmvn_17_32_kernelILj18E21rocsparse_complex_numIdElldS2_S2_EEvT2_20rocsparse_direction_NS_24const_host_device_scalarIT0_EES3_PKS3_PKT1_SC_S9_PKT3_PKT4_S7_PT5_21rocsparse_index_base_b.num_agpr, 0
	.set _ZN9rocsparseL20bsrxmvn_17_32_kernelILj18E21rocsparse_complex_numIdElldS2_S2_EEvT2_20rocsparse_direction_NS_24const_host_device_scalarIT0_EES3_PKS3_PKT1_SC_S9_PKT3_PKT4_S7_PT5_21rocsparse_index_base_b.numbered_sgpr, 22
	.set _ZN9rocsparseL20bsrxmvn_17_32_kernelILj18E21rocsparse_complex_numIdElldS2_S2_EEvT2_20rocsparse_direction_NS_24const_host_device_scalarIT0_EES3_PKS3_PKT1_SC_S9_PKT3_PKT4_S7_PT5_21rocsparse_index_base_b.num_named_barrier, 0
	.set _ZN9rocsparseL20bsrxmvn_17_32_kernelILj18E21rocsparse_complex_numIdElldS2_S2_EEvT2_20rocsparse_direction_NS_24const_host_device_scalarIT0_EES3_PKS3_PKT1_SC_S9_PKT3_PKT4_S7_PT5_21rocsparse_index_base_b.private_seg_size, 0
	.set _ZN9rocsparseL20bsrxmvn_17_32_kernelILj18E21rocsparse_complex_numIdElldS2_S2_EEvT2_20rocsparse_direction_NS_24const_host_device_scalarIT0_EES3_PKS3_PKT1_SC_S9_PKT3_PKT4_S7_PT5_21rocsparse_index_base_b.uses_vcc, 1
	.set _ZN9rocsparseL20bsrxmvn_17_32_kernelILj18E21rocsparse_complex_numIdElldS2_S2_EEvT2_20rocsparse_direction_NS_24const_host_device_scalarIT0_EES3_PKS3_PKT1_SC_S9_PKT3_PKT4_S7_PT5_21rocsparse_index_base_b.uses_flat_scratch, 0
	.set _ZN9rocsparseL20bsrxmvn_17_32_kernelILj18E21rocsparse_complex_numIdElldS2_S2_EEvT2_20rocsparse_direction_NS_24const_host_device_scalarIT0_EES3_PKS3_PKT1_SC_S9_PKT3_PKT4_S7_PT5_21rocsparse_index_base_b.has_dyn_sized_stack, 0
	.set _ZN9rocsparseL20bsrxmvn_17_32_kernelILj18E21rocsparse_complex_numIdElldS2_S2_EEvT2_20rocsparse_direction_NS_24const_host_device_scalarIT0_EES3_PKS3_PKT1_SC_S9_PKT3_PKT4_S7_PT5_21rocsparse_index_base_b.has_recursion, 0
	.set _ZN9rocsparseL20bsrxmvn_17_32_kernelILj18E21rocsparse_complex_numIdElldS2_S2_EEvT2_20rocsparse_direction_NS_24const_host_device_scalarIT0_EES3_PKS3_PKT1_SC_S9_PKT3_PKT4_S7_PT5_21rocsparse_index_base_b.has_indirect_call, 0
	.section	.AMDGPU.csdata,"",@progbits
; Kernel info:
; codeLenInByte = 1732
; TotalNumSgprs: 26
; NumVgprs: 29
; ScratchSize: 0
; MemoryBound: 1
; FloatMode: 240
; IeeeMode: 1
; LDSByteSize: 5184 bytes/workgroup (compile time only)
; SGPRBlocks: 8
; VGPRBlocks: 7
; NumSGPRsForWavesPerEU: 65
; NumVGPRsForWavesPerEU: 29
; Occupancy: 8
; WaveLimiterHint : 1
; COMPUTE_PGM_RSRC2:SCRATCH_EN: 0
; COMPUTE_PGM_RSRC2:USER_SGPR: 6
; COMPUTE_PGM_RSRC2:TRAP_HANDLER: 0
; COMPUTE_PGM_RSRC2:TGID_X_EN: 1
; COMPUTE_PGM_RSRC2:TGID_Y_EN: 0
; COMPUTE_PGM_RSRC2:TGID_Z_EN: 0
; COMPUTE_PGM_RSRC2:TIDIG_COMP_CNT: 0
	.section	.text._ZN9rocsparseL20bsrxmvn_17_32_kernelILj19E21rocsparse_complex_numIdElldS2_S2_EEvT2_20rocsparse_direction_NS_24const_host_device_scalarIT0_EES3_PKS3_PKT1_SC_S9_PKT3_PKT4_S7_PT5_21rocsparse_index_base_b,"axG",@progbits,_ZN9rocsparseL20bsrxmvn_17_32_kernelILj19E21rocsparse_complex_numIdElldS2_S2_EEvT2_20rocsparse_direction_NS_24const_host_device_scalarIT0_EES3_PKS3_PKT1_SC_S9_PKT3_PKT4_S7_PT5_21rocsparse_index_base_b,comdat
	.globl	_ZN9rocsparseL20bsrxmvn_17_32_kernelILj19E21rocsparse_complex_numIdElldS2_S2_EEvT2_20rocsparse_direction_NS_24const_host_device_scalarIT0_EES3_PKS3_PKT1_SC_S9_PKT3_PKT4_S7_PT5_21rocsparse_index_base_b ; -- Begin function _ZN9rocsparseL20bsrxmvn_17_32_kernelILj19E21rocsparse_complex_numIdElldS2_S2_EEvT2_20rocsparse_direction_NS_24const_host_device_scalarIT0_EES3_PKS3_PKT1_SC_S9_PKT3_PKT4_S7_PT5_21rocsparse_index_base_b
	.p2align	8
	.type	_ZN9rocsparseL20bsrxmvn_17_32_kernelILj19E21rocsparse_complex_numIdElldS2_S2_EEvT2_20rocsparse_direction_NS_24const_host_device_scalarIT0_EES3_PKS3_PKT1_SC_S9_PKT3_PKT4_S7_PT5_21rocsparse_index_base_b,@function
_ZN9rocsparseL20bsrxmvn_17_32_kernelILj19E21rocsparse_complex_numIdElldS2_S2_EEvT2_20rocsparse_direction_NS_24const_host_device_scalarIT0_EES3_PKS3_PKT1_SC_S9_PKT3_PKT4_S7_PT5_21rocsparse_index_base_b: ; @_ZN9rocsparseL20bsrxmvn_17_32_kernelILj19E21rocsparse_complex_numIdElldS2_S2_EEvT2_20rocsparse_direction_NS_24const_host_device_scalarIT0_EES3_PKS3_PKT1_SC_S9_PKT3_PKT4_S7_PT5_21rocsparse_index_base_b
; %bb.0:
	s_load_dwordx2 s[0:1], s[4:5], 0x10
	s_load_dwordx2 s[14:15], s[4:5], 0x70
	s_add_u32 s7, s4, 16
	s_addc_u32 s8, s5, 0
	s_add_u32 s9, s4, 0x58
	s_addc_u32 s10, s5, 0
	s_waitcnt lgkmcnt(0)
	s_bitcmp1_b32 s15, 0
	s_cselect_b32 s1, s8, s1
	s_cselect_b32 s0, s7, s0
	v_mov_b32_e32 v1, s0
	v_mov_b32_e32 v2, s1
	flat_load_dwordx4 v[5:8], v[1:2]
	s_load_dwordx2 s[2:3], s[4:5], 0x58
	s_waitcnt lgkmcnt(0)
	s_cselect_b32 s0, s10, s3
	s_cselect_b32 s1, s9, s2
	v_mov_b32_e32 v1, s1
	v_mov_b32_e32 v2, s0
	flat_load_dwordx4 v[1:4], v[1:2]
	s_waitcnt vmcnt(0)
	v_cmp_eq_f64_e32 vcc, 0, v[5:6]
	v_cmp_eq_f64_e64 s[0:1], 0, v[7:8]
	s_and_b64 s[8:9], vcc, s[0:1]
	s_mov_b64 s[0:1], -1
	s_and_saveexec_b64 s[2:3], s[8:9]
	s_cbranch_execz .LBB466_2
; %bb.1:
	s_waitcnt lgkmcnt(0)
	v_cmp_neq_f64_e32 vcc, 1.0, v[1:2]
	v_cmp_neq_f64_e64 s[0:1], 0, v[3:4]
	s_or_b64 s[0:1], vcc, s[0:1]
	s_orn2_b64 s[0:1], s[0:1], exec
.LBB466_2:
	s_or_b64 exec, exec, s[2:3]
	s_and_saveexec_b64 s[2:3], s[0:1]
	s_cbranch_execz .LBB466_39
; %bb.3:
	s_load_dwordx4 s[0:3], s[4:5], 0x28
	s_load_dwordx2 s[8:9], s[4:5], 0x38
	s_mov_b32 s7, 0
	s_waitcnt lgkmcnt(0)
	s_cmp_eq_u64 s[0:1], 0
	s_cbranch_scc1 .LBB466_5
; %bb.4:
	s_lshl_b64 s[6:7], s[6:7], 3
	s_add_u32 s0, s0, s6
	s_addc_u32 s1, s1, s7
	s_load_dwordx2 s[0:1], s[0:1], 0x0
	s_waitcnt lgkmcnt(0)
	s_sub_u32 s6, s0, s14
	s_subb_u32 s7, s1, 0
.LBB466_5:
	s_load_dword s10, s[4:5], 0x8
	s_load_dwordx2 s[12:13], s[4:5], 0x68
	v_mul_u32_u24_e32 v13, 0xd7a, v0
	v_mov_b32_e32 v14, 19
	v_mul_lo_u16_sdwa v9, v13, v14 dst_sel:DWORD dst_unused:UNUSED_PAD src0_sel:WORD_1 src1_sel:DWORD
	s_waitcnt lgkmcnt(0)
	s_cmp_eq_u32 s10, 1
	s_cselect_b64 s[0:1], -1, 0
	s_cmp_lg_u32 s10, 1
	s_cselect_b64 s[16:17], -1, 0
	s_lshl_b64 s[10:11], s[6:7], 3
	s_add_u32 s20, s2, s10
	s_addc_u32 s21, s3, s11
	s_add_u32 s2, s20, 8
	s_addc_u32 s3, s21, 0
	;; [unrolled: 2-line block ×3, first 2 shown]
	s_cmp_eq_u64 s[8:9], 0
	s_cselect_b32 s9, s3, s11
	s_cselect_b32 s8, s2, s10
	s_load_dwordx2 s[2:3], s[8:9], 0x0
	s_load_dwordx2 s[18:19], s[20:21], 0x0
	v_sub_u16_e32 v21, v0, v9
	v_mov_b32_e32 v11, 0
	v_mov_b32_e32 v12, 0
	s_waitcnt lgkmcnt(0)
	v_mov_b32_e32 v10, s3
	v_mov_b32_e32 v9, s2
	v_cmp_ge_i64_e32 vcc, s[18:19], v[9:10]
	v_mov_b32_e32 v9, 0
	v_mov_b32_e32 v10, 0
	s_cbranch_vccnz .LBB466_10
; %bb.6:
	v_mov_b32_e32 v9, 14
	v_mul_lo_u16_sdwa v9, v13, v9 dst_sel:DWORD dst_unused:UNUSED_PAD src0_sel:WORD_1 src1_sel:DWORD
	v_mul_lo_u16_sdwa v9, v9, v14 dst_sel:DWORD dst_unused:UNUSED_PAD src0_sel:BYTE_1 src1_sel:DWORD
	s_sub_u32 s2, s2, s14
	s_load_dwordx2 s[20:21], s[4:5], 0x50
	s_load_dwordx4 s[8:11], s[4:5], 0x40
	v_sub_u16_sdwa v9, v13, v9 dst_sel:DWORD dst_unused:UNUSED_PAD src0_sel:WORD_1 src1_sel:DWORD
	s_subb_u32 s3, s3, 0
	v_and_b32_e32 v9, 0xff, v9
	s_sub_u32 s4, s18, s14
	v_cndmask_b32_e64 v9, v21, v9, s[0:1]
	s_subb_u32 s5, s19, 0
	v_lshlrev_b32_e32 v9, 4, v9
	s_mul_i32 s0, s5, 0xb48
	s_mul_hi_u32 s1, s4, 0xb48
	s_waitcnt lgkmcnt(0)
	v_mov_b32_e32 v10, s21
	v_add_co_u32_e32 v13, vcc, s20, v9
	s_add_i32 s1, s1, s0
	s_mul_i32 s0, s4, 0xb48
	v_addc_co_u32_e32 v14, vcc, 0, v10, vcc
	s_add_u32 s0, s10, s0
	v_lshlrev_b32_e32 v9, 3, v0
	s_addc_u32 s1, s11, s1
	v_add_co_u32_e32 v15, vcc, s0, v9
	s_movk_i32 s0, 0xb6
	v_mov_b32_e32 v10, s1
	v_mul_u32_u24_sdwa v9, v0, s0 dst_sel:DWORD dst_unused:UNUSED_PAD src0_sel:WORD_0 src1_sel:DWORD
	v_addc_co_u32_e32 v16, vcc, 0, v10, vcc
	v_lshrrev_b32_e32 v22, 16, v9
	v_mov_b32_e32 v9, s19
	v_add_co_u32_e32 v10, vcc, s18, v22
	v_addc_co_u32_e32 v11, vcc, 0, v9, vcc
	v_subrev_co_u32_e32 v9, vcc, s14, v10
	v_subbrev_co_u32_e32 v10, vcc, 0, v11, vcc
	v_lshlrev_b64 v[9:10], 3, v[9:10]
	v_mov_b32_e32 v11, s9
	v_add_co_u32_e32 v17, vcc, s8, v9
	v_addc_co_u32_e32 v18, vcc, v11, v10, vcc
	v_mov_b32_e32 v11, 0
	v_mov_b32_e32 v12, 0
	s_mov_b32 s8, 0
	v_mov_b32_e32 v20, s3
	v_mov_b32_e32 v9, v11
	s_movk_i32 s10, 0x130
	s_brev_b32 s9, 1
	v_mov_b32_e32 v19, s2
	v_mov_b32_e32 v10, v12
	s_branch .LBB466_8
.LBB466_7:                              ;   in Loop: Header=BB466_8 Depth=1
	s_or_b64 exec, exec, s[0:1]
	s_add_u32 s4, s4, 1
	s_addc_u32 s5, s5, 0
	v_cmp_lt_i64_e32 vcc, s[4:5], v[19:20]
	v_add_co_u32_e64 v17, s[0:1], 8, v17
	v_addc_co_u32_e64 v18, s[0:1], 0, v18, s[0:1]
	s_cbranch_vccz .LBB466_10
.LBB466_8:                              ; =>This Inner Loop Header: Depth=1
	v_mov_b32_e32 v24, s5
	v_add_co_u32_e32 v23, vcc, s4, v22
	v_addc_co_u32_e32 v24, vcc, 0, v24, vcc
	v_cmp_gt_i64_e32 vcc, s[2:3], v[23:24]
	s_and_saveexec_b64 s[0:1], vcc
	s_cbranch_execz .LBB466_7
; %bb.9:                                ;   in Loop: Header=BB466_8 Depth=1
	global_load_dwordx2 v[23:24], v[17:18], off
	s_waitcnt vmcnt(0)
	v_subrev_co_u32_e32 v23, vcc, s14, v23
	v_subbrev_co_u32_e32 v25, vcc, 0, v24, vcc
	v_mad_u64_u32 v[23:24], s[18:19], v23, s10, v[13:14]
	v_mad_u64_u32 v[24:25], s[18:19], v25, s10, v[24:25]
	global_load_dwordx2 v[27:28], v[15:16], off
	s_nop 0
	global_load_dwordx4 v[23:26], v[23:24], off
	v_add_co_u32_e32 v15, vcc, 0xb48, v15
	v_addc_co_u32_e32 v16, vcc, 0, v16, vcc
	s_waitcnt vmcnt(0)
	v_fma_f64 v[9:10], v[27:28], v[23:24], v[9:10]
	v_fma_f64 v[11:12], v[23:24], 0, v[11:12]
	;; [unrolled: 1-line block ×4, first 2 shown]
	s_branch .LBB466_7
.LBB466_10:
	v_lshlrev_b32_e32 v17, 4, v0
	s_and_b64 vcc, exec, s[16:17]
	ds_write_b128 v17, v[9:12]
	s_waitcnt lgkmcnt(0)
	s_barrier
	s_cbranch_vccz .LBB466_22
; %bb.11:
	v_cmp_gt_u16_e32 vcc, 3, v21
	s_and_saveexec_b64 s[0:1], vcc
	s_cbranch_execz .LBB466_13
; %bb.12:
	ds_read_b128 v[13:16], v17 offset:256
	ds_read_b128 v[22:25], v17
	s_waitcnt lgkmcnt(0)
	v_add_f64 v[13:14], v[13:14], v[22:23]
	v_add_f64 v[15:16], v[15:16], v[24:25]
	ds_write_b128 v17, v[13:16]
.LBB466_13:
	s_or_b64 exec, exec, s[0:1]
	v_cmp_gt_u16_e32 vcc, 8, v21
	s_waitcnt lgkmcnt(0)
	s_barrier
	s_and_saveexec_b64 s[0:1], vcc
	s_cbranch_execz .LBB466_15
; %bb.14:
	ds_read_b128 v[13:16], v17 offset:128
	ds_read_b128 v[22:25], v17
	s_waitcnt lgkmcnt(0)
	v_add_f64 v[13:14], v[13:14], v[22:23]
	v_add_f64 v[15:16], v[15:16], v[24:25]
	ds_write_b128 v17, v[13:16]
.LBB466_15:
	s_or_b64 exec, exec, s[0:1]
	v_cmp_gt_u16_e32 vcc, 4, v21
	s_waitcnt lgkmcnt(0)
	s_barrier
	;; [unrolled: 14-line block ×3, first 2 shown]
	s_and_saveexec_b64 s[0:1], vcc
	s_cbranch_execz .LBB466_19
; %bb.18:
	ds_read_b128 v[13:16], v17
	ds_read_b128 v[18:21], v17 offset:32
	s_waitcnt lgkmcnt(0)
	v_add_f64 v[13:14], v[18:19], v[13:14]
	v_add_f64 v[15:16], v[20:21], v[15:16]
	ds_write_b128 v17, v[13:16]
.LBB466_19:
	s_or_b64 exec, exec, s[0:1]
	v_mov_b32_e32 v16, v12
	v_mov_b32_e32 v14, v10
	v_cmp_gt_u32_e32 vcc, 19, v0
	v_mov_b32_e32 v15, v11
	v_mov_b32_e32 v13, v9
	s_waitcnt lgkmcnt(0)
	s_barrier
	s_and_saveexec_b64 s[0:1], vcc
	s_cbranch_execz .LBB466_21
; %bb.20:
	s_movk_i32 s2, 0x120
	v_mad_u32_u24 v18, v0, s2, v17
	ds_read_b128 v[13:16], v18
	ds_read_b128 v[18:21], v18 offset:16
	s_waitcnt lgkmcnt(0)
	v_add_f64 v[13:14], v[18:19], v[13:14]
	v_add_f64 v[15:16], v[20:21], v[15:16]
.LBB466_21:
	s_or_b64 exec, exec, s[0:1]
	s_branch .LBB466_34
.LBB466_22:
                                        ; implicit-def: $vgpr15_vgpr16
                                        ; implicit-def: $vgpr13_vgpr14
	s_cbranch_execz .LBB466_34
; %bb.23:
	v_cmp_gt_u32_e32 vcc, 57, v0
	s_and_saveexec_b64 s[0:1], vcc
	s_cbranch_execz .LBB466_25
; %bb.24:
	ds_read_b128 v[13:16], v17 offset:4864
	ds_read_b128 v[18:21], v17
	s_waitcnt lgkmcnt(0)
	v_add_f64 v[13:14], v[13:14], v[18:19]
	v_add_f64 v[15:16], v[15:16], v[20:21]
	ds_write_b128 v17, v[13:16]
.LBB466_25:
	s_or_b64 exec, exec, s[0:1]
	s_movk_i32 s0, 0x98
	v_cmp_gt_u32_e32 vcc, s0, v0
	s_waitcnt lgkmcnt(0)
	s_barrier
	s_and_saveexec_b64 s[0:1], vcc
	s_cbranch_execz .LBB466_27
; %bb.26:
	ds_read_b128 v[13:16], v17 offset:2432
	ds_read_b128 v[18:21], v17
	s_waitcnt lgkmcnt(0)
	v_add_f64 v[13:14], v[13:14], v[18:19]
	v_add_f64 v[15:16], v[15:16], v[20:21]
	ds_write_b128 v17, v[13:16]
.LBB466_27:
	s_or_b64 exec, exec, s[0:1]
	s_movk_i32 s0, 0x4c
	v_cmp_gt_u32_e32 vcc, s0, v0
	s_waitcnt lgkmcnt(0)
	s_barrier
	s_and_saveexec_b64 s[0:1], vcc
	s_cbranch_execz .LBB466_29
; %bb.28:
	ds_read_b128 v[13:16], v17 offset:1216
	ds_read_b128 v[18:21], v17
	s_waitcnt lgkmcnt(0)
	v_add_f64 v[13:14], v[13:14], v[18:19]
	v_add_f64 v[15:16], v[15:16], v[20:21]
	ds_write_b128 v17, v[13:16]
.LBB466_29:
	s_or_b64 exec, exec, s[0:1]
	v_cmp_gt_u32_e32 vcc, 38, v0
	s_waitcnt lgkmcnt(0)
	s_barrier
	s_and_saveexec_b64 s[0:1], vcc
	s_cbranch_execz .LBB466_31
; %bb.30:
	ds_read_b128 v[13:16], v17 offset:608
	ds_read_b128 v[18:21], v17
	s_waitcnt lgkmcnt(0)
	v_add_f64 v[13:14], v[13:14], v[18:19]
	v_add_f64 v[15:16], v[15:16], v[20:21]
	ds_write_b128 v17, v[13:16]
.LBB466_31:
	s_or_b64 exec, exec, s[0:1]
	v_cmp_gt_u32_e32 vcc, 19, v0
	s_waitcnt lgkmcnt(0)
	s_and_saveexec_b64 s[0:1], vcc
	s_cbranch_execz .LBB466_33
; %bb.32:
	ds_read_b128 v[9:12], v17 offset:304
	ds_read_b128 v[13:16], v17
	s_waitcnt lgkmcnt(0)
	v_add_f64 v[9:10], v[9:10], v[13:14]
	v_add_f64 v[11:12], v[11:12], v[15:16]
.LBB466_33:
	s_or_b64 exec, exec, s[0:1]
	v_mov_b32_e32 v16, v12
	v_mov_b32_e32 v14, v10
	v_mov_b32_e32 v15, v11
	v_mov_b32_e32 v13, v9
.LBB466_34:
	v_cmp_gt_u32_e32 vcc, 19, v0
	s_and_b64 exec, exec, vcc
	s_cbranch_execz .LBB466_39
; %bb.35:
	v_mul_f64 v[9:10], v[15:16], -v[7:8]
	v_mul_f64 v[11:12], v[5:6], v[15:16]
	v_cmp_eq_f64_e32 vcc, 0, v[1:2]
	v_cmp_eq_f64_e64 s[0:1], 0, v[3:4]
	s_mul_i32 s2, s7, 0x130
	s_mul_hi_u32 s3, s6, 0x130
	s_mul_i32 s4, s6, 0x130
	v_fma_f64 v[5:6], v[5:6], v[13:14], v[9:10]
	v_fma_f64 v[7:8], v[7:8], v[13:14], v[11:12]
	s_and_b64 s[0:1], vcc, s[0:1]
	s_and_saveexec_b64 s[6:7], s[0:1]
	s_xor_b64 s[0:1], exec, s[6:7]
	s_cbranch_execz .LBB466_37
; %bb.36:
	s_add_i32 s5, s3, s2
	s_add_u32 s6, s12, s4
	s_addc_u32 s7, s13, s5
	global_store_dwordx4 v17, v[5:8], s[6:7]
                                        ; implicit-def: $vgpr17
                                        ; implicit-def: $vgpr1_vgpr2
                                        ; implicit-def: $vgpr5_vgpr6
.LBB466_37:
	s_andn2_saveexec_b64 s[0:1], s[0:1]
	s_cbranch_execz .LBB466_39
; %bb.38:
	s_add_i32 s3, s3, s2
	s_add_u32 s0, s12, s4
	s_addc_u32 s1, s13, s3
	global_load_dwordx4 v[9:12], v17, s[0:1]
	s_waitcnt vmcnt(0)
	v_fma_f64 v[5:6], v[1:2], v[9:10], v[5:6]
	v_fma_f64 v[7:8], v[3:4], v[9:10], v[7:8]
	v_fma_f64 v[3:4], -v[3:4], v[11:12], v[5:6]
	v_fma_f64 v[5:6], v[1:2], v[11:12], v[7:8]
	global_store_dwordx4 v17, v[3:6], s[0:1]
.LBB466_39:
	s_endpgm
	.section	.rodata,"a",@progbits
	.p2align	6, 0x0
	.amdhsa_kernel _ZN9rocsparseL20bsrxmvn_17_32_kernelILj19E21rocsparse_complex_numIdElldS2_S2_EEvT2_20rocsparse_direction_NS_24const_host_device_scalarIT0_EES3_PKS3_PKT1_SC_S9_PKT3_PKT4_S7_PT5_21rocsparse_index_base_b
		.amdhsa_group_segment_fixed_size 5776
		.amdhsa_private_segment_fixed_size 0
		.amdhsa_kernarg_size 120
		.amdhsa_user_sgpr_count 6
		.amdhsa_user_sgpr_private_segment_buffer 1
		.amdhsa_user_sgpr_dispatch_ptr 0
		.amdhsa_user_sgpr_queue_ptr 0
		.amdhsa_user_sgpr_kernarg_segment_ptr 1
		.amdhsa_user_sgpr_dispatch_id 0
		.amdhsa_user_sgpr_flat_scratch_init 0
		.amdhsa_user_sgpr_private_segment_size 0
		.amdhsa_uses_dynamic_stack 0
		.amdhsa_system_sgpr_private_segment_wavefront_offset 0
		.amdhsa_system_sgpr_workgroup_id_x 1
		.amdhsa_system_sgpr_workgroup_id_y 0
		.amdhsa_system_sgpr_workgroup_id_z 0
		.amdhsa_system_sgpr_workgroup_info 0
		.amdhsa_system_vgpr_workitem_id 0
		.amdhsa_next_free_vgpr 29
		.amdhsa_next_free_sgpr 61
		.amdhsa_reserve_vcc 1
		.amdhsa_reserve_flat_scratch 0
		.amdhsa_float_round_mode_32 0
		.amdhsa_float_round_mode_16_64 0
		.amdhsa_float_denorm_mode_32 3
		.amdhsa_float_denorm_mode_16_64 3
		.amdhsa_dx10_clamp 1
		.amdhsa_ieee_mode 1
		.amdhsa_fp16_overflow 0
		.amdhsa_exception_fp_ieee_invalid_op 0
		.amdhsa_exception_fp_denorm_src 0
		.amdhsa_exception_fp_ieee_div_zero 0
		.amdhsa_exception_fp_ieee_overflow 0
		.amdhsa_exception_fp_ieee_underflow 0
		.amdhsa_exception_fp_ieee_inexact 0
		.amdhsa_exception_int_div_zero 0
	.end_amdhsa_kernel
	.section	.text._ZN9rocsparseL20bsrxmvn_17_32_kernelILj19E21rocsparse_complex_numIdElldS2_S2_EEvT2_20rocsparse_direction_NS_24const_host_device_scalarIT0_EES3_PKS3_PKT1_SC_S9_PKT3_PKT4_S7_PT5_21rocsparse_index_base_b,"axG",@progbits,_ZN9rocsparseL20bsrxmvn_17_32_kernelILj19E21rocsparse_complex_numIdElldS2_S2_EEvT2_20rocsparse_direction_NS_24const_host_device_scalarIT0_EES3_PKS3_PKT1_SC_S9_PKT3_PKT4_S7_PT5_21rocsparse_index_base_b,comdat
.Lfunc_end466:
	.size	_ZN9rocsparseL20bsrxmvn_17_32_kernelILj19E21rocsparse_complex_numIdElldS2_S2_EEvT2_20rocsparse_direction_NS_24const_host_device_scalarIT0_EES3_PKS3_PKT1_SC_S9_PKT3_PKT4_S7_PT5_21rocsparse_index_base_b, .Lfunc_end466-_ZN9rocsparseL20bsrxmvn_17_32_kernelILj19E21rocsparse_complex_numIdElldS2_S2_EEvT2_20rocsparse_direction_NS_24const_host_device_scalarIT0_EES3_PKS3_PKT1_SC_S9_PKT3_PKT4_S7_PT5_21rocsparse_index_base_b
                                        ; -- End function
	.set _ZN9rocsparseL20bsrxmvn_17_32_kernelILj19E21rocsparse_complex_numIdElldS2_S2_EEvT2_20rocsparse_direction_NS_24const_host_device_scalarIT0_EES3_PKS3_PKT1_SC_S9_PKT3_PKT4_S7_PT5_21rocsparse_index_base_b.num_vgpr, 29
	.set _ZN9rocsparseL20bsrxmvn_17_32_kernelILj19E21rocsparse_complex_numIdElldS2_S2_EEvT2_20rocsparse_direction_NS_24const_host_device_scalarIT0_EES3_PKS3_PKT1_SC_S9_PKT3_PKT4_S7_PT5_21rocsparse_index_base_b.num_agpr, 0
	.set _ZN9rocsparseL20bsrxmvn_17_32_kernelILj19E21rocsparse_complex_numIdElldS2_S2_EEvT2_20rocsparse_direction_NS_24const_host_device_scalarIT0_EES3_PKS3_PKT1_SC_S9_PKT3_PKT4_S7_PT5_21rocsparse_index_base_b.numbered_sgpr, 22
	.set _ZN9rocsparseL20bsrxmvn_17_32_kernelILj19E21rocsparse_complex_numIdElldS2_S2_EEvT2_20rocsparse_direction_NS_24const_host_device_scalarIT0_EES3_PKS3_PKT1_SC_S9_PKT3_PKT4_S7_PT5_21rocsparse_index_base_b.num_named_barrier, 0
	.set _ZN9rocsparseL20bsrxmvn_17_32_kernelILj19E21rocsparse_complex_numIdElldS2_S2_EEvT2_20rocsparse_direction_NS_24const_host_device_scalarIT0_EES3_PKS3_PKT1_SC_S9_PKT3_PKT4_S7_PT5_21rocsparse_index_base_b.private_seg_size, 0
	.set _ZN9rocsparseL20bsrxmvn_17_32_kernelILj19E21rocsparse_complex_numIdElldS2_S2_EEvT2_20rocsparse_direction_NS_24const_host_device_scalarIT0_EES3_PKS3_PKT1_SC_S9_PKT3_PKT4_S7_PT5_21rocsparse_index_base_b.uses_vcc, 1
	.set _ZN9rocsparseL20bsrxmvn_17_32_kernelILj19E21rocsparse_complex_numIdElldS2_S2_EEvT2_20rocsparse_direction_NS_24const_host_device_scalarIT0_EES3_PKS3_PKT1_SC_S9_PKT3_PKT4_S7_PT5_21rocsparse_index_base_b.uses_flat_scratch, 0
	.set _ZN9rocsparseL20bsrxmvn_17_32_kernelILj19E21rocsparse_complex_numIdElldS2_S2_EEvT2_20rocsparse_direction_NS_24const_host_device_scalarIT0_EES3_PKS3_PKT1_SC_S9_PKT3_PKT4_S7_PT5_21rocsparse_index_base_b.has_dyn_sized_stack, 0
	.set _ZN9rocsparseL20bsrxmvn_17_32_kernelILj19E21rocsparse_complex_numIdElldS2_S2_EEvT2_20rocsparse_direction_NS_24const_host_device_scalarIT0_EES3_PKS3_PKT1_SC_S9_PKT3_PKT4_S7_PT5_21rocsparse_index_base_b.has_recursion, 0
	.set _ZN9rocsparseL20bsrxmvn_17_32_kernelILj19E21rocsparse_complex_numIdElldS2_S2_EEvT2_20rocsparse_direction_NS_24const_host_device_scalarIT0_EES3_PKS3_PKT1_SC_S9_PKT3_PKT4_S7_PT5_21rocsparse_index_base_b.has_indirect_call, 0
	.section	.AMDGPU.csdata,"",@progbits
; Kernel info:
; codeLenInByte = 1724
; TotalNumSgprs: 26
; NumVgprs: 29
; ScratchSize: 0
; MemoryBound: 1
; FloatMode: 240
; IeeeMode: 1
; LDSByteSize: 5776 bytes/workgroup (compile time only)
; SGPRBlocks: 8
; VGPRBlocks: 7
; NumSGPRsForWavesPerEU: 65
; NumVGPRsForWavesPerEU: 29
; Occupancy: 8
; WaveLimiterHint : 1
; COMPUTE_PGM_RSRC2:SCRATCH_EN: 0
; COMPUTE_PGM_RSRC2:USER_SGPR: 6
; COMPUTE_PGM_RSRC2:TRAP_HANDLER: 0
; COMPUTE_PGM_RSRC2:TGID_X_EN: 1
; COMPUTE_PGM_RSRC2:TGID_Y_EN: 0
; COMPUTE_PGM_RSRC2:TGID_Z_EN: 0
; COMPUTE_PGM_RSRC2:TIDIG_COMP_CNT: 0
	.section	.text._ZN9rocsparseL20bsrxmvn_17_32_kernelILj20E21rocsparse_complex_numIdElldS2_S2_EEvT2_20rocsparse_direction_NS_24const_host_device_scalarIT0_EES3_PKS3_PKT1_SC_S9_PKT3_PKT4_S7_PT5_21rocsparse_index_base_b,"axG",@progbits,_ZN9rocsparseL20bsrxmvn_17_32_kernelILj20E21rocsparse_complex_numIdElldS2_S2_EEvT2_20rocsparse_direction_NS_24const_host_device_scalarIT0_EES3_PKS3_PKT1_SC_S9_PKT3_PKT4_S7_PT5_21rocsparse_index_base_b,comdat
	.globl	_ZN9rocsparseL20bsrxmvn_17_32_kernelILj20E21rocsparse_complex_numIdElldS2_S2_EEvT2_20rocsparse_direction_NS_24const_host_device_scalarIT0_EES3_PKS3_PKT1_SC_S9_PKT3_PKT4_S7_PT5_21rocsparse_index_base_b ; -- Begin function _ZN9rocsparseL20bsrxmvn_17_32_kernelILj20E21rocsparse_complex_numIdElldS2_S2_EEvT2_20rocsparse_direction_NS_24const_host_device_scalarIT0_EES3_PKS3_PKT1_SC_S9_PKT3_PKT4_S7_PT5_21rocsparse_index_base_b
	.p2align	8
	.type	_ZN9rocsparseL20bsrxmvn_17_32_kernelILj20E21rocsparse_complex_numIdElldS2_S2_EEvT2_20rocsparse_direction_NS_24const_host_device_scalarIT0_EES3_PKS3_PKT1_SC_S9_PKT3_PKT4_S7_PT5_21rocsparse_index_base_b,@function
_ZN9rocsparseL20bsrxmvn_17_32_kernelILj20E21rocsparse_complex_numIdElldS2_S2_EEvT2_20rocsparse_direction_NS_24const_host_device_scalarIT0_EES3_PKS3_PKT1_SC_S9_PKT3_PKT4_S7_PT5_21rocsparse_index_base_b: ; @_ZN9rocsparseL20bsrxmvn_17_32_kernelILj20E21rocsparse_complex_numIdElldS2_S2_EEvT2_20rocsparse_direction_NS_24const_host_device_scalarIT0_EES3_PKS3_PKT1_SC_S9_PKT3_PKT4_S7_PT5_21rocsparse_index_base_b
; %bb.0:
	s_load_dwordx2 s[0:1], s[4:5], 0x10
	s_load_dwordx2 s[14:15], s[4:5], 0x70
	s_add_u32 s7, s4, 16
	s_addc_u32 s8, s5, 0
	s_add_u32 s9, s4, 0x58
	s_addc_u32 s10, s5, 0
	s_waitcnt lgkmcnt(0)
	s_bitcmp1_b32 s15, 0
	s_cselect_b32 s1, s8, s1
	s_cselect_b32 s0, s7, s0
	v_mov_b32_e32 v1, s0
	v_mov_b32_e32 v2, s1
	flat_load_dwordx4 v[5:8], v[1:2]
	s_load_dwordx2 s[2:3], s[4:5], 0x58
	s_waitcnt lgkmcnt(0)
	s_cselect_b32 s0, s10, s3
	s_cselect_b32 s1, s9, s2
	v_mov_b32_e32 v1, s1
	v_mov_b32_e32 v2, s0
	flat_load_dwordx4 v[1:4], v[1:2]
	s_waitcnt vmcnt(0)
	v_cmp_eq_f64_e32 vcc, 0, v[5:6]
	v_cmp_eq_f64_e64 s[0:1], 0, v[7:8]
	s_and_b64 s[8:9], vcc, s[0:1]
	s_mov_b64 s[0:1], -1
	s_and_saveexec_b64 s[2:3], s[8:9]
	s_cbranch_execz .LBB467_2
; %bb.1:
	s_waitcnt lgkmcnt(0)
	v_cmp_neq_f64_e32 vcc, 1.0, v[1:2]
	v_cmp_neq_f64_e64 s[0:1], 0, v[3:4]
	s_or_b64 s[0:1], vcc, s[0:1]
	s_orn2_b64 s[0:1], s[0:1], exec
.LBB467_2:
	s_or_b64 exec, exec, s[2:3]
	s_and_saveexec_b64 s[2:3], s[0:1]
	s_cbranch_execz .LBB467_39
; %bb.3:
	s_load_dwordx4 s[0:3], s[4:5], 0x28
	s_load_dwordx2 s[8:9], s[4:5], 0x38
	s_mov_b32 s7, 0
	s_waitcnt lgkmcnt(0)
	s_cmp_eq_u64 s[0:1], 0
	s_cbranch_scc1 .LBB467_5
; %bb.4:
	s_lshl_b64 s[6:7], s[6:7], 3
	s_add_u32 s0, s0, s6
	s_addc_u32 s1, s1, s7
	s_load_dwordx2 s[0:1], s[0:1], 0x0
	s_waitcnt lgkmcnt(0)
	s_sub_u32 s6, s0, s14
	s_subb_u32 s7, s1, 0
.LBB467_5:
	s_load_dword s10, s[4:5], 0x8
	s_load_dwordx2 s[12:13], s[4:5], 0x68
	v_mul_u32_u24_e32 v13, 0xccd, v0
	v_mov_b32_e32 v14, 20
	v_mul_lo_u16_sdwa v9, v13, v14 dst_sel:DWORD dst_unused:UNUSED_PAD src0_sel:WORD_1 src1_sel:DWORD
	s_waitcnt lgkmcnt(0)
	s_cmp_eq_u32 s10, 1
	s_cselect_b64 s[0:1], -1, 0
	s_cmp_lg_u32 s10, 1
	s_cselect_b64 s[16:17], -1, 0
	s_lshl_b64 s[10:11], s[6:7], 3
	s_add_u32 s20, s2, s10
	s_addc_u32 s21, s3, s11
	s_add_u32 s2, s20, 8
	s_addc_u32 s3, s21, 0
	;; [unrolled: 2-line block ×3, first 2 shown]
	s_cmp_eq_u64 s[8:9], 0
	s_cselect_b32 s9, s3, s11
	s_cselect_b32 s8, s2, s10
	s_load_dwordx2 s[2:3], s[8:9], 0x0
	s_load_dwordx2 s[18:19], s[20:21], 0x0
	v_sub_u16_e32 v21, v0, v9
	v_mov_b32_e32 v11, 0
	v_mov_b32_e32 v12, 0
	s_waitcnt lgkmcnt(0)
	v_mov_b32_e32 v10, s3
	v_mov_b32_e32 v9, s2
	v_cmp_ge_i64_e32 vcc, s[18:19], v[9:10]
	v_mov_b32_e32 v9, 0
	v_mov_b32_e32 v10, 0
	s_cbranch_vccnz .LBB467_10
; %bb.6:
	v_mov_b32_e32 v9, 13
	v_mul_lo_u16_sdwa v9, v13, v9 dst_sel:DWORD dst_unused:UNUSED_PAD src0_sel:WORD_1 src1_sel:DWORD
	v_mul_lo_u16_sdwa v9, v9, v14 dst_sel:DWORD dst_unused:UNUSED_PAD src0_sel:BYTE_1 src1_sel:DWORD
	s_sub_u32 s2, s2, s14
	s_load_dwordx2 s[20:21], s[4:5], 0x50
	s_load_dwordx4 s[8:11], s[4:5], 0x40
	v_sub_u16_sdwa v9, v13, v9 dst_sel:DWORD dst_unused:UNUSED_PAD src0_sel:WORD_1 src1_sel:DWORD
	s_subb_u32 s3, s3, 0
	v_and_b32_e32 v9, 0xff, v9
	s_sub_u32 s4, s18, s14
	v_cndmask_b32_e64 v9, v21, v9, s[0:1]
	s_subb_u32 s5, s19, 0
	v_lshlrev_b32_e32 v9, 4, v9
	s_mul_i32 s0, s5, 0xc80
	s_mul_hi_u32 s1, s4, 0xc80
	s_waitcnt lgkmcnt(0)
	v_mov_b32_e32 v10, s21
	v_add_co_u32_e32 v13, vcc, s20, v9
	s_add_i32 s1, s1, s0
	s_mul_i32 s0, s4, 0xc80
	v_addc_co_u32_e32 v14, vcc, 0, v10, vcc
	s_add_u32 s0, s10, s0
	v_lshlrev_b32_e32 v9, 3, v0
	s_addc_u32 s1, s11, s1
	v_add_co_u32_e32 v15, vcc, s0, v9
	s_movk_i32 s0, 0xa4
	v_mov_b32_e32 v10, s1
	v_mul_u32_u24_sdwa v9, v0, s0 dst_sel:DWORD dst_unused:UNUSED_PAD src0_sel:WORD_0 src1_sel:DWORD
	v_addc_co_u32_e32 v16, vcc, 0, v10, vcc
	v_lshrrev_b32_e32 v22, 16, v9
	v_mov_b32_e32 v9, s19
	v_add_co_u32_e32 v10, vcc, s18, v22
	v_addc_co_u32_e32 v11, vcc, 0, v9, vcc
	v_subrev_co_u32_e32 v9, vcc, s14, v10
	v_subbrev_co_u32_e32 v10, vcc, 0, v11, vcc
	v_lshlrev_b64 v[9:10], 3, v[9:10]
	v_mov_b32_e32 v11, s9
	v_add_co_u32_e32 v17, vcc, s8, v9
	v_addc_co_u32_e32 v18, vcc, v11, v10, vcc
	v_mov_b32_e32 v11, 0
	v_mov_b32_e32 v12, 0
	s_mov_b32 s8, 0
	v_mov_b32_e32 v20, s3
	v_mov_b32_e32 v9, v11
	s_movk_i32 s10, 0x140
	s_brev_b32 s9, 1
	v_mov_b32_e32 v19, s2
	v_mov_b32_e32 v10, v12
	s_branch .LBB467_8
.LBB467_7:                              ;   in Loop: Header=BB467_8 Depth=1
	s_or_b64 exec, exec, s[0:1]
	s_add_u32 s4, s4, 1
	s_addc_u32 s5, s5, 0
	v_cmp_lt_i64_e32 vcc, s[4:5], v[19:20]
	v_add_co_u32_e64 v17, s[0:1], 8, v17
	v_addc_co_u32_e64 v18, s[0:1], 0, v18, s[0:1]
	s_cbranch_vccz .LBB467_10
.LBB467_8:                              ; =>This Inner Loop Header: Depth=1
	v_mov_b32_e32 v24, s5
	v_add_co_u32_e32 v23, vcc, s4, v22
	v_addc_co_u32_e32 v24, vcc, 0, v24, vcc
	v_cmp_gt_i64_e32 vcc, s[2:3], v[23:24]
	s_and_saveexec_b64 s[0:1], vcc
	s_cbranch_execz .LBB467_7
; %bb.9:                                ;   in Loop: Header=BB467_8 Depth=1
	global_load_dwordx2 v[23:24], v[17:18], off
	s_waitcnt vmcnt(0)
	v_subrev_co_u32_e32 v23, vcc, s14, v23
	v_subbrev_co_u32_e32 v25, vcc, 0, v24, vcc
	v_mad_u64_u32 v[23:24], s[18:19], v23, s10, v[13:14]
	v_mad_u64_u32 v[24:25], s[18:19], v25, s10, v[24:25]
	global_load_dwordx2 v[27:28], v[15:16], off
	s_nop 0
	global_load_dwordx4 v[23:26], v[23:24], off
	v_add_co_u32_e32 v15, vcc, 0xc80, v15
	v_addc_co_u32_e32 v16, vcc, 0, v16, vcc
	s_waitcnt vmcnt(0)
	v_fma_f64 v[9:10], v[27:28], v[23:24], v[9:10]
	v_fma_f64 v[11:12], v[23:24], 0, v[11:12]
	;; [unrolled: 1-line block ×4, first 2 shown]
	s_branch .LBB467_7
.LBB467_10:
	v_lshlrev_b32_e32 v17, 4, v0
	s_and_b64 vcc, exec, s[16:17]
	ds_write_b128 v17, v[9:12]
	s_waitcnt lgkmcnt(0)
	s_barrier
	s_cbranch_vccz .LBB467_22
; %bb.11:
	v_cmp_gt_u16_e32 vcc, 4, v21
	s_and_saveexec_b64 s[0:1], vcc
	s_cbranch_execz .LBB467_13
; %bb.12:
	ds_read_b128 v[13:16], v17 offset:256
	ds_read_b128 v[22:25], v17
	s_waitcnt lgkmcnt(0)
	v_add_f64 v[13:14], v[13:14], v[22:23]
	v_add_f64 v[15:16], v[15:16], v[24:25]
	ds_write_b128 v17, v[13:16]
.LBB467_13:
	s_or_b64 exec, exec, s[0:1]
	v_cmp_gt_u16_e64 s[0:1], 8, v21
	s_waitcnt lgkmcnt(0)
	s_barrier
	s_and_saveexec_b64 s[2:3], s[0:1]
	s_cbranch_execz .LBB467_15
; %bb.14:
	ds_read_b128 v[13:16], v17 offset:128
	ds_read_b128 v[22:25], v17
	s_waitcnt lgkmcnt(0)
	v_add_f64 v[13:14], v[13:14], v[22:23]
	v_add_f64 v[15:16], v[15:16], v[24:25]
	ds_write_b128 v17, v[13:16]
.LBB467_15:
	s_or_b64 exec, exec, s[2:3]
	s_waitcnt lgkmcnt(0)
	s_barrier
	s_and_saveexec_b64 s[0:1], vcc
	s_cbranch_execz .LBB467_17
; %bb.16:
	ds_read_b128 v[13:16], v17 offset:64
	ds_read_b128 v[22:25], v17
	s_waitcnt lgkmcnt(0)
	v_add_f64 v[13:14], v[13:14], v[22:23]
	v_add_f64 v[15:16], v[15:16], v[24:25]
	ds_write_b128 v17, v[13:16]
.LBB467_17:
	s_or_b64 exec, exec, s[0:1]
	v_cmp_gt_u16_e32 vcc, 2, v21
	s_waitcnt lgkmcnt(0)
	s_barrier
	s_and_saveexec_b64 s[0:1], vcc
	s_cbranch_execz .LBB467_19
; %bb.18:
	ds_read_b128 v[13:16], v17
	ds_read_b128 v[18:21], v17 offset:32
	s_waitcnt lgkmcnt(0)
	v_add_f64 v[13:14], v[18:19], v[13:14]
	v_add_f64 v[15:16], v[20:21], v[15:16]
	ds_write_b128 v17, v[13:16]
.LBB467_19:
	s_or_b64 exec, exec, s[0:1]
	v_mov_b32_e32 v16, v12
	v_mov_b32_e32 v14, v10
	v_cmp_gt_u32_e32 vcc, 20, v0
	v_mov_b32_e32 v15, v11
	v_mov_b32_e32 v13, v9
	s_waitcnt lgkmcnt(0)
	s_barrier
	s_and_saveexec_b64 s[0:1], vcc
	s_cbranch_execz .LBB467_21
; %bb.20:
	s_movk_i32 s2, 0x130
	v_mad_u32_u24 v18, v0, s2, v17
	ds_read_b128 v[13:16], v18
	ds_read_b128 v[18:21], v18 offset:16
	s_waitcnt lgkmcnt(0)
	v_add_f64 v[13:14], v[18:19], v[13:14]
	v_add_f64 v[15:16], v[20:21], v[15:16]
.LBB467_21:
	s_or_b64 exec, exec, s[0:1]
	s_branch .LBB467_34
.LBB467_22:
                                        ; implicit-def: $vgpr15_vgpr16
                                        ; implicit-def: $vgpr13_vgpr14
	s_cbranch_execz .LBB467_34
; %bb.23:
	s_movk_i32 s0, 0x50
	v_cmp_gt_u32_e32 vcc, s0, v0
	s_and_saveexec_b64 s[0:1], vcc
	s_cbranch_execz .LBB467_25
; %bb.24:
	ds_read_b128 v[13:16], v17 offset:5120
	ds_read_b128 v[18:21], v17
	s_waitcnt lgkmcnt(0)
	v_add_f64 v[13:14], v[13:14], v[18:19]
	v_add_f64 v[15:16], v[15:16], v[20:21]
	ds_write_b128 v17, v[13:16]
.LBB467_25:
	s_or_b64 exec, exec, s[0:1]
	s_movk_i32 s0, 0xa0
	v_cmp_gt_u32_e64 s[0:1], s0, v0
	s_waitcnt lgkmcnt(0)
	s_barrier
	s_and_saveexec_b64 s[2:3], s[0:1]
	s_cbranch_execz .LBB467_27
; %bb.26:
	ds_read_b128 v[13:16], v17 offset:2560
	ds_read_b128 v[18:21], v17
	s_waitcnt lgkmcnt(0)
	v_add_f64 v[13:14], v[13:14], v[18:19]
	v_add_f64 v[15:16], v[15:16], v[20:21]
	ds_write_b128 v17, v[13:16]
.LBB467_27:
	s_or_b64 exec, exec, s[2:3]
	s_waitcnt lgkmcnt(0)
	s_barrier
	s_and_saveexec_b64 s[0:1], vcc
	s_cbranch_execz .LBB467_29
; %bb.28:
	ds_read_b128 v[13:16], v17 offset:1280
	ds_read_b128 v[18:21], v17
	s_waitcnt lgkmcnt(0)
	v_add_f64 v[13:14], v[13:14], v[18:19]
	v_add_f64 v[15:16], v[15:16], v[20:21]
	ds_write_b128 v17, v[13:16]
.LBB467_29:
	s_or_b64 exec, exec, s[0:1]
	v_cmp_gt_u32_e32 vcc, 40, v0
	s_waitcnt lgkmcnt(0)
	s_barrier
	s_and_saveexec_b64 s[0:1], vcc
	s_cbranch_execz .LBB467_31
; %bb.30:
	ds_read_b128 v[13:16], v17 offset:640
	ds_read_b128 v[18:21], v17
	s_waitcnt lgkmcnt(0)
	v_add_f64 v[13:14], v[13:14], v[18:19]
	v_add_f64 v[15:16], v[15:16], v[20:21]
	ds_write_b128 v17, v[13:16]
.LBB467_31:
	s_or_b64 exec, exec, s[0:1]
	v_cmp_gt_u32_e32 vcc, 20, v0
	s_waitcnt lgkmcnt(0)
	s_and_saveexec_b64 s[0:1], vcc
	s_cbranch_execz .LBB467_33
; %bb.32:
	ds_read_b128 v[9:12], v17 offset:320
	ds_read_b128 v[13:16], v17
	s_waitcnt lgkmcnt(0)
	v_add_f64 v[9:10], v[9:10], v[13:14]
	v_add_f64 v[11:12], v[11:12], v[15:16]
.LBB467_33:
	s_or_b64 exec, exec, s[0:1]
	v_mov_b32_e32 v16, v12
	v_mov_b32_e32 v14, v10
	;; [unrolled: 1-line block ×4, first 2 shown]
.LBB467_34:
	v_cmp_gt_u32_e32 vcc, 20, v0
	s_and_b64 exec, exec, vcc
	s_cbranch_execz .LBB467_39
; %bb.35:
	v_mul_f64 v[9:10], v[15:16], -v[7:8]
	v_mul_f64 v[11:12], v[5:6], v[15:16]
	v_cmp_eq_f64_e32 vcc, 0, v[1:2]
	v_cmp_eq_f64_e64 s[0:1], 0, v[3:4]
	s_mul_i32 s2, s7, 0x140
	s_mul_hi_u32 s3, s6, 0x140
	s_mul_i32 s4, s6, 0x140
	v_fma_f64 v[5:6], v[5:6], v[13:14], v[9:10]
	v_fma_f64 v[7:8], v[7:8], v[13:14], v[11:12]
	s_and_b64 s[0:1], vcc, s[0:1]
	s_and_saveexec_b64 s[6:7], s[0:1]
	s_xor_b64 s[0:1], exec, s[6:7]
	s_cbranch_execz .LBB467_37
; %bb.36:
	s_add_i32 s5, s3, s2
	s_add_u32 s6, s12, s4
	s_addc_u32 s7, s13, s5
	global_store_dwordx4 v17, v[5:8], s[6:7]
                                        ; implicit-def: $vgpr17
                                        ; implicit-def: $vgpr1_vgpr2
                                        ; implicit-def: $vgpr5_vgpr6
.LBB467_37:
	s_andn2_saveexec_b64 s[0:1], s[0:1]
	s_cbranch_execz .LBB467_39
; %bb.38:
	s_add_i32 s3, s3, s2
	s_add_u32 s0, s12, s4
	s_addc_u32 s1, s13, s3
	global_load_dwordx4 v[9:12], v17, s[0:1]
	s_waitcnt vmcnt(0)
	v_fma_f64 v[5:6], v[1:2], v[9:10], v[5:6]
	v_fma_f64 v[7:8], v[3:4], v[9:10], v[7:8]
	v_fma_f64 v[3:4], -v[3:4], v[11:12], v[5:6]
	v_fma_f64 v[5:6], v[1:2], v[11:12], v[7:8]
	global_store_dwordx4 v17, v[3:6], s[0:1]
.LBB467_39:
	s_endpgm
	.section	.rodata,"a",@progbits
	.p2align	6, 0x0
	.amdhsa_kernel _ZN9rocsparseL20bsrxmvn_17_32_kernelILj20E21rocsparse_complex_numIdElldS2_S2_EEvT2_20rocsparse_direction_NS_24const_host_device_scalarIT0_EES3_PKS3_PKT1_SC_S9_PKT3_PKT4_S7_PT5_21rocsparse_index_base_b
		.amdhsa_group_segment_fixed_size 6400
		.amdhsa_private_segment_fixed_size 0
		.amdhsa_kernarg_size 120
		.amdhsa_user_sgpr_count 6
		.amdhsa_user_sgpr_private_segment_buffer 1
		.amdhsa_user_sgpr_dispatch_ptr 0
		.amdhsa_user_sgpr_queue_ptr 0
		.amdhsa_user_sgpr_kernarg_segment_ptr 1
		.amdhsa_user_sgpr_dispatch_id 0
		.amdhsa_user_sgpr_flat_scratch_init 0
		.amdhsa_user_sgpr_private_segment_size 0
		.amdhsa_uses_dynamic_stack 0
		.amdhsa_system_sgpr_private_segment_wavefront_offset 0
		.amdhsa_system_sgpr_workgroup_id_x 1
		.amdhsa_system_sgpr_workgroup_id_y 0
		.amdhsa_system_sgpr_workgroup_id_z 0
		.amdhsa_system_sgpr_workgroup_info 0
		.amdhsa_system_vgpr_workitem_id 0
		.amdhsa_next_free_vgpr 29
		.amdhsa_next_free_sgpr 61
		.amdhsa_reserve_vcc 1
		.amdhsa_reserve_flat_scratch 0
		.amdhsa_float_round_mode_32 0
		.amdhsa_float_round_mode_16_64 0
		.amdhsa_float_denorm_mode_32 3
		.amdhsa_float_denorm_mode_16_64 3
		.amdhsa_dx10_clamp 1
		.amdhsa_ieee_mode 1
		.amdhsa_fp16_overflow 0
		.amdhsa_exception_fp_ieee_invalid_op 0
		.amdhsa_exception_fp_denorm_src 0
		.amdhsa_exception_fp_ieee_div_zero 0
		.amdhsa_exception_fp_ieee_overflow 0
		.amdhsa_exception_fp_ieee_underflow 0
		.amdhsa_exception_fp_ieee_inexact 0
		.amdhsa_exception_int_div_zero 0
	.end_amdhsa_kernel
	.section	.text._ZN9rocsparseL20bsrxmvn_17_32_kernelILj20E21rocsparse_complex_numIdElldS2_S2_EEvT2_20rocsparse_direction_NS_24const_host_device_scalarIT0_EES3_PKS3_PKT1_SC_S9_PKT3_PKT4_S7_PT5_21rocsparse_index_base_b,"axG",@progbits,_ZN9rocsparseL20bsrxmvn_17_32_kernelILj20E21rocsparse_complex_numIdElldS2_S2_EEvT2_20rocsparse_direction_NS_24const_host_device_scalarIT0_EES3_PKS3_PKT1_SC_S9_PKT3_PKT4_S7_PT5_21rocsparse_index_base_b,comdat
.Lfunc_end467:
	.size	_ZN9rocsparseL20bsrxmvn_17_32_kernelILj20E21rocsparse_complex_numIdElldS2_S2_EEvT2_20rocsparse_direction_NS_24const_host_device_scalarIT0_EES3_PKS3_PKT1_SC_S9_PKT3_PKT4_S7_PT5_21rocsparse_index_base_b, .Lfunc_end467-_ZN9rocsparseL20bsrxmvn_17_32_kernelILj20E21rocsparse_complex_numIdElldS2_S2_EEvT2_20rocsparse_direction_NS_24const_host_device_scalarIT0_EES3_PKS3_PKT1_SC_S9_PKT3_PKT4_S7_PT5_21rocsparse_index_base_b
                                        ; -- End function
	.set _ZN9rocsparseL20bsrxmvn_17_32_kernelILj20E21rocsparse_complex_numIdElldS2_S2_EEvT2_20rocsparse_direction_NS_24const_host_device_scalarIT0_EES3_PKS3_PKT1_SC_S9_PKT3_PKT4_S7_PT5_21rocsparse_index_base_b.num_vgpr, 29
	.set _ZN9rocsparseL20bsrxmvn_17_32_kernelILj20E21rocsparse_complex_numIdElldS2_S2_EEvT2_20rocsparse_direction_NS_24const_host_device_scalarIT0_EES3_PKS3_PKT1_SC_S9_PKT3_PKT4_S7_PT5_21rocsparse_index_base_b.num_agpr, 0
	.set _ZN9rocsparseL20bsrxmvn_17_32_kernelILj20E21rocsparse_complex_numIdElldS2_S2_EEvT2_20rocsparse_direction_NS_24const_host_device_scalarIT0_EES3_PKS3_PKT1_SC_S9_PKT3_PKT4_S7_PT5_21rocsparse_index_base_b.numbered_sgpr, 22
	.set _ZN9rocsparseL20bsrxmvn_17_32_kernelILj20E21rocsparse_complex_numIdElldS2_S2_EEvT2_20rocsparse_direction_NS_24const_host_device_scalarIT0_EES3_PKS3_PKT1_SC_S9_PKT3_PKT4_S7_PT5_21rocsparse_index_base_b.num_named_barrier, 0
	.set _ZN9rocsparseL20bsrxmvn_17_32_kernelILj20E21rocsparse_complex_numIdElldS2_S2_EEvT2_20rocsparse_direction_NS_24const_host_device_scalarIT0_EES3_PKS3_PKT1_SC_S9_PKT3_PKT4_S7_PT5_21rocsparse_index_base_b.private_seg_size, 0
	.set _ZN9rocsparseL20bsrxmvn_17_32_kernelILj20E21rocsparse_complex_numIdElldS2_S2_EEvT2_20rocsparse_direction_NS_24const_host_device_scalarIT0_EES3_PKS3_PKT1_SC_S9_PKT3_PKT4_S7_PT5_21rocsparse_index_base_b.uses_vcc, 1
	.set _ZN9rocsparseL20bsrxmvn_17_32_kernelILj20E21rocsparse_complex_numIdElldS2_S2_EEvT2_20rocsparse_direction_NS_24const_host_device_scalarIT0_EES3_PKS3_PKT1_SC_S9_PKT3_PKT4_S7_PT5_21rocsparse_index_base_b.uses_flat_scratch, 0
	.set _ZN9rocsparseL20bsrxmvn_17_32_kernelILj20E21rocsparse_complex_numIdElldS2_S2_EEvT2_20rocsparse_direction_NS_24const_host_device_scalarIT0_EES3_PKS3_PKT1_SC_S9_PKT3_PKT4_S7_PT5_21rocsparse_index_base_b.has_dyn_sized_stack, 0
	.set _ZN9rocsparseL20bsrxmvn_17_32_kernelILj20E21rocsparse_complex_numIdElldS2_S2_EEvT2_20rocsparse_direction_NS_24const_host_device_scalarIT0_EES3_PKS3_PKT1_SC_S9_PKT3_PKT4_S7_PT5_21rocsparse_index_base_b.has_recursion, 0
	.set _ZN9rocsparseL20bsrxmvn_17_32_kernelILj20E21rocsparse_complex_numIdElldS2_S2_EEvT2_20rocsparse_direction_NS_24const_host_device_scalarIT0_EES3_PKS3_PKT1_SC_S9_PKT3_PKT4_S7_PT5_21rocsparse_index_base_b.has_indirect_call, 0
	.section	.AMDGPU.csdata,"",@progbits
; Kernel info:
; codeLenInByte = 1724
; TotalNumSgprs: 26
; NumVgprs: 29
; ScratchSize: 0
; MemoryBound: 1
; FloatMode: 240
; IeeeMode: 1
; LDSByteSize: 6400 bytes/workgroup (compile time only)
; SGPRBlocks: 8
; VGPRBlocks: 7
; NumSGPRsForWavesPerEU: 65
; NumVGPRsForWavesPerEU: 29
; Occupancy: 8
; WaveLimiterHint : 1
; COMPUTE_PGM_RSRC2:SCRATCH_EN: 0
; COMPUTE_PGM_RSRC2:USER_SGPR: 6
; COMPUTE_PGM_RSRC2:TRAP_HANDLER: 0
; COMPUTE_PGM_RSRC2:TGID_X_EN: 1
; COMPUTE_PGM_RSRC2:TGID_Y_EN: 0
; COMPUTE_PGM_RSRC2:TGID_Z_EN: 0
; COMPUTE_PGM_RSRC2:TIDIG_COMP_CNT: 0
	.section	.text._ZN9rocsparseL20bsrxmvn_17_32_kernelILj21E21rocsparse_complex_numIdElldS2_S2_EEvT2_20rocsparse_direction_NS_24const_host_device_scalarIT0_EES3_PKS3_PKT1_SC_S9_PKT3_PKT4_S7_PT5_21rocsparse_index_base_b,"axG",@progbits,_ZN9rocsparseL20bsrxmvn_17_32_kernelILj21E21rocsparse_complex_numIdElldS2_S2_EEvT2_20rocsparse_direction_NS_24const_host_device_scalarIT0_EES3_PKS3_PKT1_SC_S9_PKT3_PKT4_S7_PT5_21rocsparse_index_base_b,comdat
	.globl	_ZN9rocsparseL20bsrxmvn_17_32_kernelILj21E21rocsparse_complex_numIdElldS2_S2_EEvT2_20rocsparse_direction_NS_24const_host_device_scalarIT0_EES3_PKS3_PKT1_SC_S9_PKT3_PKT4_S7_PT5_21rocsparse_index_base_b ; -- Begin function _ZN9rocsparseL20bsrxmvn_17_32_kernelILj21E21rocsparse_complex_numIdElldS2_S2_EEvT2_20rocsparse_direction_NS_24const_host_device_scalarIT0_EES3_PKS3_PKT1_SC_S9_PKT3_PKT4_S7_PT5_21rocsparse_index_base_b
	.p2align	8
	.type	_ZN9rocsparseL20bsrxmvn_17_32_kernelILj21E21rocsparse_complex_numIdElldS2_S2_EEvT2_20rocsparse_direction_NS_24const_host_device_scalarIT0_EES3_PKS3_PKT1_SC_S9_PKT3_PKT4_S7_PT5_21rocsparse_index_base_b,@function
_ZN9rocsparseL20bsrxmvn_17_32_kernelILj21E21rocsparse_complex_numIdElldS2_S2_EEvT2_20rocsparse_direction_NS_24const_host_device_scalarIT0_EES3_PKS3_PKT1_SC_S9_PKT3_PKT4_S7_PT5_21rocsparse_index_base_b: ; @_ZN9rocsparseL20bsrxmvn_17_32_kernelILj21E21rocsparse_complex_numIdElldS2_S2_EEvT2_20rocsparse_direction_NS_24const_host_device_scalarIT0_EES3_PKS3_PKT1_SC_S9_PKT3_PKT4_S7_PT5_21rocsparse_index_base_b
; %bb.0:
	s_load_dwordx2 s[0:1], s[4:5], 0x10
	s_load_dwordx2 s[14:15], s[4:5], 0x70
	s_add_u32 s7, s4, 16
	s_addc_u32 s8, s5, 0
	s_add_u32 s9, s4, 0x58
	s_addc_u32 s10, s5, 0
	s_waitcnt lgkmcnt(0)
	s_bitcmp1_b32 s15, 0
	s_cselect_b32 s1, s8, s1
	s_cselect_b32 s0, s7, s0
	v_mov_b32_e32 v1, s0
	v_mov_b32_e32 v2, s1
	flat_load_dwordx4 v[5:8], v[1:2]
	s_load_dwordx2 s[2:3], s[4:5], 0x58
	s_waitcnt lgkmcnt(0)
	s_cselect_b32 s0, s10, s3
	s_cselect_b32 s1, s9, s2
	v_mov_b32_e32 v1, s1
	v_mov_b32_e32 v2, s0
	flat_load_dwordx4 v[1:4], v[1:2]
	s_waitcnt vmcnt(0)
	v_cmp_eq_f64_e32 vcc, 0, v[5:6]
	v_cmp_eq_f64_e64 s[0:1], 0, v[7:8]
	s_and_b64 s[8:9], vcc, s[0:1]
	s_mov_b64 s[0:1], -1
	s_and_saveexec_b64 s[2:3], s[8:9]
	s_cbranch_execz .LBB468_2
; %bb.1:
	s_waitcnt lgkmcnt(0)
	v_cmp_neq_f64_e32 vcc, 1.0, v[1:2]
	v_cmp_neq_f64_e64 s[0:1], 0, v[3:4]
	s_or_b64 s[0:1], vcc, s[0:1]
	s_orn2_b64 s[0:1], s[0:1], exec
.LBB468_2:
	s_or_b64 exec, exec, s[2:3]
	s_and_saveexec_b64 s[2:3], s[0:1]
	s_cbranch_execz .LBB468_39
; %bb.3:
	s_load_dwordx4 s[0:3], s[4:5], 0x28
	s_load_dwordx2 s[8:9], s[4:5], 0x38
	s_mov_b32 s7, 0
	s_waitcnt lgkmcnt(0)
	s_cmp_eq_u64 s[0:1], 0
	s_cbranch_scc1 .LBB468_5
; %bb.4:
	s_lshl_b64 s[6:7], s[6:7], 3
	s_add_u32 s0, s0, s6
	s_addc_u32 s1, s1, s7
	s_load_dwordx2 s[0:1], s[0:1], 0x0
	s_waitcnt lgkmcnt(0)
	s_sub_u32 s6, s0, s14
	s_subb_u32 s7, s1, 0
.LBB468_5:
	s_load_dword s10, s[4:5], 0x8
	s_load_dwordx2 s[12:13], s[4:5], 0x68
	v_mul_u32_u24_e32 v13, 0xc31, v0
	v_mov_b32_e32 v9, 21
	v_mul_lo_u16_sdwa v9, v13, v9 dst_sel:DWORD dst_unused:UNUSED_PAD src0_sel:WORD_1 src1_sel:DWORD
	s_waitcnt lgkmcnt(0)
	s_cmp_eq_u32 s10, 1
	s_cselect_b64 s[0:1], -1, 0
	s_cmp_lg_u32 s10, 1
	s_cselect_b64 s[16:17], -1, 0
	s_lshl_b64 s[10:11], s[6:7], 3
	s_add_u32 s20, s2, s10
	s_addc_u32 s21, s3, s11
	s_add_u32 s2, s20, 8
	s_addc_u32 s3, s21, 0
	;; [unrolled: 2-line block ×3, first 2 shown]
	s_cmp_eq_u64 s[8:9], 0
	s_cselect_b32 s9, s3, s11
	s_cselect_b32 s8, s2, s10
	s_load_dwordx2 s[2:3], s[8:9], 0x0
	s_load_dwordx2 s[18:19], s[20:21], 0x0
	v_sub_u16_e32 v21, v0, v9
	v_mov_b32_e32 v11, 0
	v_mov_b32_e32 v12, 0
	s_waitcnt lgkmcnt(0)
	v_mov_b32_e32 v10, s3
	v_mov_b32_e32 v9, s2
	v_cmp_ge_i64_e32 vcc, s[18:19], v[9:10]
	v_mov_b32_e32 v9, 0
	v_mov_b32_e32 v10, 0
	s_cbranch_vccnz .LBB468_10
; %bb.6:
	v_mov_b32_e32 v9, 25
	v_mul_lo_u16_sdwa v9, v13, v9 dst_sel:DWORD dst_unused:UNUSED_PAD src0_sel:WORD_1 src1_sel:DWORD
	v_lshrrev_b16_e32 v9, 9, v9
	v_mul_lo_u16_e32 v9, 21, v9
	s_sub_u32 s2, s2, s14
	s_load_dwordx2 s[20:21], s[4:5], 0x50
	s_load_dwordx4 s[8:11], s[4:5], 0x40
	v_sub_u16_sdwa v9, v13, v9 dst_sel:DWORD dst_unused:UNUSED_PAD src0_sel:WORD_1 src1_sel:DWORD
	s_subb_u32 s3, s3, 0
	v_and_b32_e32 v9, 0xff, v9
	s_sub_u32 s4, s18, s14
	v_cndmask_b32_e64 v9, v21, v9, s[0:1]
	s_subb_u32 s5, s19, 0
	v_lshlrev_b32_e32 v9, 4, v9
	s_mul_i32 s0, s5, 0xdc8
	s_mul_hi_u32 s1, s4, 0xdc8
	s_waitcnt lgkmcnt(0)
	v_mov_b32_e32 v10, s21
	v_add_co_u32_e32 v13, vcc, s20, v9
	s_add_i32 s1, s1, s0
	s_mul_i32 s0, s4, 0xdc8
	v_addc_co_u32_e32 v14, vcc, 0, v10, vcc
	s_add_u32 s0, s10, s0
	v_lshlrev_b32_e32 v9, 3, v0
	s_addc_u32 s1, s11, s1
	v_add_co_u32_e32 v15, vcc, s0, v9
	s_movk_i32 s0, 0x253
	v_mov_b32_e32 v10, s1
	v_mul_u32_u24_sdwa v9, v0, s0 dst_sel:DWORD dst_unused:UNUSED_PAD src0_sel:WORD_0 src1_sel:DWORD
	v_addc_co_u32_e32 v16, vcc, 0, v10, vcc
	v_lshrrev_b32_e32 v22, 18, v9
	v_mov_b32_e32 v9, s19
	v_add_co_u32_e32 v10, vcc, s18, v22
	v_addc_co_u32_e32 v11, vcc, 0, v9, vcc
	v_subrev_co_u32_e32 v9, vcc, s14, v10
	v_subbrev_co_u32_e32 v10, vcc, 0, v11, vcc
	v_lshlrev_b64 v[9:10], 3, v[9:10]
	v_mov_b32_e32 v11, s9
	v_add_co_u32_e32 v17, vcc, s8, v9
	v_addc_co_u32_e32 v18, vcc, v11, v10, vcc
	v_mov_b32_e32 v11, 0
	v_mov_b32_e32 v12, 0
	s_mov_b32 s8, 0
	v_mov_b32_e32 v20, s3
	v_mov_b32_e32 v9, v11
	s_movk_i32 s10, 0x150
	s_brev_b32 s9, 1
	v_mov_b32_e32 v19, s2
	v_mov_b32_e32 v10, v12
	s_branch .LBB468_8
.LBB468_7:                              ;   in Loop: Header=BB468_8 Depth=1
	s_or_b64 exec, exec, s[0:1]
	s_add_u32 s4, s4, 1
	s_addc_u32 s5, s5, 0
	v_cmp_lt_i64_e32 vcc, s[4:5], v[19:20]
	v_add_co_u32_e64 v17, s[0:1], 8, v17
	v_addc_co_u32_e64 v18, s[0:1], 0, v18, s[0:1]
	s_cbranch_vccz .LBB468_10
.LBB468_8:                              ; =>This Inner Loop Header: Depth=1
	v_mov_b32_e32 v24, s5
	v_add_co_u32_e32 v23, vcc, s4, v22
	v_addc_co_u32_e32 v24, vcc, 0, v24, vcc
	v_cmp_gt_i64_e32 vcc, s[2:3], v[23:24]
	s_and_saveexec_b64 s[0:1], vcc
	s_cbranch_execz .LBB468_7
; %bb.9:                                ;   in Loop: Header=BB468_8 Depth=1
	global_load_dwordx2 v[23:24], v[17:18], off
	s_waitcnt vmcnt(0)
	v_subrev_co_u32_e32 v23, vcc, s14, v23
	v_subbrev_co_u32_e32 v25, vcc, 0, v24, vcc
	v_mad_u64_u32 v[23:24], s[18:19], v23, s10, v[13:14]
	v_mad_u64_u32 v[24:25], s[18:19], v25, s10, v[24:25]
	global_load_dwordx2 v[27:28], v[15:16], off
	s_nop 0
	global_load_dwordx4 v[23:26], v[23:24], off
	v_add_co_u32_e32 v15, vcc, 0xdc8, v15
	v_addc_co_u32_e32 v16, vcc, 0, v16, vcc
	s_waitcnt vmcnt(0)
	v_fma_f64 v[9:10], v[27:28], v[23:24], v[9:10]
	v_fma_f64 v[11:12], v[23:24], 0, v[11:12]
	;; [unrolled: 1-line block ×4, first 2 shown]
	s_branch .LBB468_7
.LBB468_10:
	v_lshlrev_b32_e32 v17, 4, v0
	s_and_b64 vcc, exec, s[16:17]
	ds_write_b128 v17, v[9:12]
	s_waitcnt lgkmcnt(0)
	s_barrier
	s_cbranch_vccz .LBB468_22
; %bb.11:
	v_cmp_gt_u16_e32 vcc, 5, v21
	s_and_saveexec_b64 s[0:1], vcc
	s_cbranch_execz .LBB468_13
; %bb.12:
	ds_read_b128 v[13:16], v17 offset:256
	ds_read_b128 v[22:25], v17
	s_waitcnt lgkmcnt(0)
	v_add_f64 v[13:14], v[13:14], v[22:23]
	v_add_f64 v[15:16], v[15:16], v[24:25]
	ds_write_b128 v17, v[13:16]
.LBB468_13:
	s_or_b64 exec, exec, s[0:1]
	v_cmp_gt_u16_e32 vcc, 8, v21
	s_waitcnt lgkmcnt(0)
	s_barrier
	s_and_saveexec_b64 s[0:1], vcc
	s_cbranch_execz .LBB468_15
; %bb.14:
	ds_read_b128 v[13:16], v17 offset:128
	ds_read_b128 v[22:25], v17
	s_waitcnt lgkmcnt(0)
	v_add_f64 v[13:14], v[13:14], v[22:23]
	v_add_f64 v[15:16], v[15:16], v[24:25]
	ds_write_b128 v17, v[13:16]
.LBB468_15:
	s_or_b64 exec, exec, s[0:1]
	v_cmp_gt_u16_e32 vcc, 4, v21
	s_waitcnt lgkmcnt(0)
	s_barrier
	;; [unrolled: 14-line block ×3, first 2 shown]
	s_and_saveexec_b64 s[0:1], vcc
	s_cbranch_execz .LBB468_19
; %bb.18:
	ds_read_b128 v[13:16], v17
	ds_read_b128 v[18:21], v17 offset:32
	s_waitcnt lgkmcnt(0)
	v_add_f64 v[13:14], v[18:19], v[13:14]
	v_add_f64 v[15:16], v[20:21], v[15:16]
	ds_write_b128 v17, v[13:16]
.LBB468_19:
	s_or_b64 exec, exec, s[0:1]
	v_mov_b32_e32 v16, v12
	v_mov_b32_e32 v14, v10
	v_cmp_gt_u32_e32 vcc, 21, v0
	v_mov_b32_e32 v15, v11
	v_mov_b32_e32 v13, v9
	s_waitcnt lgkmcnt(0)
	s_barrier
	s_and_saveexec_b64 s[0:1], vcc
	s_cbranch_execz .LBB468_21
; %bb.20:
	s_movk_i32 s2, 0x140
	v_mad_u32_u24 v18, v0, s2, v17
	ds_read_b128 v[13:16], v18
	ds_read_b128 v[18:21], v18 offset:16
	s_waitcnt lgkmcnt(0)
	v_add_f64 v[13:14], v[18:19], v[13:14]
	v_add_f64 v[15:16], v[20:21], v[15:16]
.LBB468_21:
	s_or_b64 exec, exec, s[0:1]
	s_branch .LBB468_34
.LBB468_22:
                                        ; implicit-def: $vgpr15_vgpr16
                                        ; implicit-def: $vgpr13_vgpr14
	s_cbranch_execz .LBB468_34
; %bb.23:
	s_movk_i32 s0, 0x69
	v_cmp_gt_u32_e32 vcc, s0, v0
	s_and_saveexec_b64 s[0:1], vcc
	s_cbranch_execz .LBB468_25
; %bb.24:
	ds_read_b128 v[13:16], v17 offset:5376
	ds_read_b128 v[18:21], v17
	s_waitcnt lgkmcnt(0)
	v_add_f64 v[13:14], v[13:14], v[18:19]
	v_add_f64 v[15:16], v[15:16], v[20:21]
	ds_write_b128 v17, v[13:16]
.LBB468_25:
	s_or_b64 exec, exec, s[0:1]
	s_movk_i32 s0, 0xa8
	v_cmp_gt_u32_e32 vcc, s0, v0
	s_waitcnt lgkmcnt(0)
	s_barrier
	s_and_saveexec_b64 s[0:1], vcc
	s_cbranch_execz .LBB468_27
; %bb.26:
	ds_read_b128 v[13:16], v17 offset:2688
	ds_read_b128 v[18:21], v17
	s_waitcnt lgkmcnt(0)
	v_add_f64 v[13:14], v[13:14], v[18:19]
	v_add_f64 v[15:16], v[15:16], v[20:21]
	ds_write_b128 v17, v[13:16]
.LBB468_27:
	s_or_b64 exec, exec, s[0:1]
	s_movk_i32 s0, 0x54
	v_cmp_gt_u32_e32 vcc, s0, v0
	s_waitcnt lgkmcnt(0)
	s_barrier
	s_and_saveexec_b64 s[0:1], vcc
	s_cbranch_execz .LBB468_29
; %bb.28:
	ds_read_b128 v[13:16], v17 offset:1344
	ds_read_b128 v[18:21], v17
	s_waitcnt lgkmcnt(0)
	v_add_f64 v[13:14], v[13:14], v[18:19]
	v_add_f64 v[15:16], v[15:16], v[20:21]
	ds_write_b128 v17, v[13:16]
.LBB468_29:
	s_or_b64 exec, exec, s[0:1]
	v_cmp_gt_u32_e32 vcc, 42, v0
	s_waitcnt lgkmcnt(0)
	s_barrier
	s_and_saveexec_b64 s[0:1], vcc
	s_cbranch_execz .LBB468_31
; %bb.30:
	ds_read_b128 v[13:16], v17 offset:672
	ds_read_b128 v[18:21], v17
	s_waitcnt lgkmcnt(0)
	v_add_f64 v[13:14], v[13:14], v[18:19]
	v_add_f64 v[15:16], v[15:16], v[20:21]
	ds_write_b128 v17, v[13:16]
.LBB468_31:
	s_or_b64 exec, exec, s[0:1]
	v_cmp_gt_u32_e32 vcc, 21, v0
	s_waitcnt lgkmcnt(0)
	s_and_saveexec_b64 s[0:1], vcc
	s_cbranch_execz .LBB468_33
; %bb.32:
	ds_read_b128 v[9:12], v17 offset:336
	ds_read_b128 v[13:16], v17
	s_waitcnt lgkmcnt(0)
	v_add_f64 v[9:10], v[9:10], v[13:14]
	v_add_f64 v[11:12], v[11:12], v[15:16]
.LBB468_33:
	s_or_b64 exec, exec, s[0:1]
	v_mov_b32_e32 v16, v12
	v_mov_b32_e32 v14, v10
	;; [unrolled: 1-line block ×4, first 2 shown]
.LBB468_34:
	v_cmp_gt_u32_e32 vcc, 21, v0
	s_and_b64 exec, exec, vcc
	s_cbranch_execz .LBB468_39
; %bb.35:
	v_mul_f64 v[9:10], v[15:16], -v[7:8]
	v_mul_f64 v[11:12], v[5:6], v[15:16]
	v_cmp_eq_f64_e32 vcc, 0, v[1:2]
	v_cmp_eq_f64_e64 s[0:1], 0, v[3:4]
	s_mul_i32 s2, s7, 0x150
	s_mul_hi_u32 s3, s6, 0x150
	s_mul_i32 s4, s6, 0x150
	v_fma_f64 v[5:6], v[5:6], v[13:14], v[9:10]
	v_fma_f64 v[7:8], v[7:8], v[13:14], v[11:12]
	s_and_b64 s[0:1], vcc, s[0:1]
	s_and_saveexec_b64 s[6:7], s[0:1]
	s_xor_b64 s[0:1], exec, s[6:7]
	s_cbranch_execz .LBB468_37
; %bb.36:
	s_add_i32 s5, s3, s2
	s_add_u32 s6, s12, s4
	s_addc_u32 s7, s13, s5
	global_store_dwordx4 v17, v[5:8], s[6:7]
                                        ; implicit-def: $vgpr17
                                        ; implicit-def: $vgpr1_vgpr2
                                        ; implicit-def: $vgpr5_vgpr6
.LBB468_37:
	s_andn2_saveexec_b64 s[0:1], s[0:1]
	s_cbranch_execz .LBB468_39
; %bb.38:
	s_add_i32 s3, s3, s2
	s_add_u32 s0, s12, s4
	s_addc_u32 s1, s13, s3
	global_load_dwordx4 v[9:12], v17, s[0:1]
	s_waitcnt vmcnt(0)
	v_fma_f64 v[5:6], v[1:2], v[9:10], v[5:6]
	v_fma_f64 v[7:8], v[3:4], v[9:10], v[7:8]
	v_fma_f64 v[3:4], -v[3:4], v[11:12], v[5:6]
	v_fma_f64 v[5:6], v[1:2], v[11:12], v[7:8]
	global_store_dwordx4 v17, v[3:6], s[0:1]
.LBB468_39:
	s_endpgm
	.section	.rodata,"a",@progbits
	.p2align	6, 0x0
	.amdhsa_kernel _ZN9rocsparseL20bsrxmvn_17_32_kernelILj21E21rocsparse_complex_numIdElldS2_S2_EEvT2_20rocsparse_direction_NS_24const_host_device_scalarIT0_EES3_PKS3_PKT1_SC_S9_PKT3_PKT4_S7_PT5_21rocsparse_index_base_b
		.amdhsa_group_segment_fixed_size 7056
		.amdhsa_private_segment_fixed_size 0
		.amdhsa_kernarg_size 120
		.amdhsa_user_sgpr_count 6
		.amdhsa_user_sgpr_private_segment_buffer 1
		.amdhsa_user_sgpr_dispatch_ptr 0
		.amdhsa_user_sgpr_queue_ptr 0
		.amdhsa_user_sgpr_kernarg_segment_ptr 1
		.amdhsa_user_sgpr_dispatch_id 0
		.amdhsa_user_sgpr_flat_scratch_init 0
		.amdhsa_user_sgpr_private_segment_size 0
		.amdhsa_uses_dynamic_stack 0
		.amdhsa_system_sgpr_private_segment_wavefront_offset 0
		.amdhsa_system_sgpr_workgroup_id_x 1
		.amdhsa_system_sgpr_workgroup_id_y 0
		.amdhsa_system_sgpr_workgroup_id_z 0
		.amdhsa_system_sgpr_workgroup_info 0
		.amdhsa_system_vgpr_workitem_id 0
		.amdhsa_next_free_vgpr 29
		.amdhsa_next_free_sgpr 61
		.amdhsa_reserve_vcc 1
		.amdhsa_reserve_flat_scratch 0
		.amdhsa_float_round_mode_32 0
		.amdhsa_float_round_mode_16_64 0
		.amdhsa_float_denorm_mode_32 3
		.amdhsa_float_denorm_mode_16_64 3
		.amdhsa_dx10_clamp 1
		.amdhsa_ieee_mode 1
		.amdhsa_fp16_overflow 0
		.amdhsa_exception_fp_ieee_invalid_op 0
		.amdhsa_exception_fp_denorm_src 0
		.amdhsa_exception_fp_ieee_div_zero 0
		.amdhsa_exception_fp_ieee_overflow 0
		.amdhsa_exception_fp_ieee_underflow 0
		.amdhsa_exception_fp_ieee_inexact 0
		.amdhsa_exception_int_div_zero 0
	.end_amdhsa_kernel
	.section	.text._ZN9rocsparseL20bsrxmvn_17_32_kernelILj21E21rocsparse_complex_numIdElldS2_S2_EEvT2_20rocsparse_direction_NS_24const_host_device_scalarIT0_EES3_PKS3_PKT1_SC_S9_PKT3_PKT4_S7_PT5_21rocsparse_index_base_b,"axG",@progbits,_ZN9rocsparseL20bsrxmvn_17_32_kernelILj21E21rocsparse_complex_numIdElldS2_S2_EEvT2_20rocsparse_direction_NS_24const_host_device_scalarIT0_EES3_PKS3_PKT1_SC_S9_PKT3_PKT4_S7_PT5_21rocsparse_index_base_b,comdat
.Lfunc_end468:
	.size	_ZN9rocsparseL20bsrxmvn_17_32_kernelILj21E21rocsparse_complex_numIdElldS2_S2_EEvT2_20rocsparse_direction_NS_24const_host_device_scalarIT0_EES3_PKS3_PKT1_SC_S9_PKT3_PKT4_S7_PT5_21rocsparse_index_base_b, .Lfunc_end468-_ZN9rocsparseL20bsrxmvn_17_32_kernelILj21E21rocsparse_complex_numIdElldS2_S2_EEvT2_20rocsparse_direction_NS_24const_host_device_scalarIT0_EES3_PKS3_PKT1_SC_S9_PKT3_PKT4_S7_PT5_21rocsparse_index_base_b
                                        ; -- End function
	.set _ZN9rocsparseL20bsrxmvn_17_32_kernelILj21E21rocsparse_complex_numIdElldS2_S2_EEvT2_20rocsparse_direction_NS_24const_host_device_scalarIT0_EES3_PKS3_PKT1_SC_S9_PKT3_PKT4_S7_PT5_21rocsparse_index_base_b.num_vgpr, 29
	.set _ZN9rocsparseL20bsrxmvn_17_32_kernelILj21E21rocsparse_complex_numIdElldS2_S2_EEvT2_20rocsparse_direction_NS_24const_host_device_scalarIT0_EES3_PKS3_PKT1_SC_S9_PKT3_PKT4_S7_PT5_21rocsparse_index_base_b.num_agpr, 0
	.set _ZN9rocsparseL20bsrxmvn_17_32_kernelILj21E21rocsparse_complex_numIdElldS2_S2_EEvT2_20rocsparse_direction_NS_24const_host_device_scalarIT0_EES3_PKS3_PKT1_SC_S9_PKT3_PKT4_S7_PT5_21rocsparse_index_base_b.numbered_sgpr, 22
	.set _ZN9rocsparseL20bsrxmvn_17_32_kernelILj21E21rocsparse_complex_numIdElldS2_S2_EEvT2_20rocsparse_direction_NS_24const_host_device_scalarIT0_EES3_PKS3_PKT1_SC_S9_PKT3_PKT4_S7_PT5_21rocsparse_index_base_b.num_named_barrier, 0
	.set _ZN9rocsparseL20bsrxmvn_17_32_kernelILj21E21rocsparse_complex_numIdElldS2_S2_EEvT2_20rocsparse_direction_NS_24const_host_device_scalarIT0_EES3_PKS3_PKT1_SC_S9_PKT3_PKT4_S7_PT5_21rocsparse_index_base_b.private_seg_size, 0
	.set _ZN9rocsparseL20bsrxmvn_17_32_kernelILj21E21rocsparse_complex_numIdElldS2_S2_EEvT2_20rocsparse_direction_NS_24const_host_device_scalarIT0_EES3_PKS3_PKT1_SC_S9_PKT3_PKT4_S7_PT5_21rocsparse_index_base_b.uses_vcc, 1
	.set _ZN9rocsparseL20bsrxmvn_17_32_kernelILj21E21rocsparse_complex_numIdElldS2_S2_EEvT2_20rocsparse_direction_NS_24const_host_device_scalarIT0_EES3_PKS3_PKT1_SC_S9_PKT3_PKT4_S7_PT5_21rocsparse_index_base_b.uses_flat_scratch, 0
	.set _ZN9rocsparseL20bsrxmvn_17_32_kernelILj21E21rocsparse_complex_numIdElldS2_S2_EEvT2_20rocsparse_direction_NS_24const_host_device_scalarIT0_EES3_PKS3_PKT1_SC_S9_PKT3_PKT4_S7_PT5_21rocsparse_index_base_b.has_dyn_sized_stack, 0
	.set _ZN9rocsparseL20bsrxmvn_17_32_kernelILj21E21rocsparse_complex_numIdElldS2_S2_EEvT2_20rocsparse_direction_NS_24const_host_device_scalarIT0_EES3_PKS3_PKT1_SC_S9_PKT3_PKT4_S7_PT5_21rocsparse_index_base_b.has_recursion, 0
	.set _ZN9rocsparseL20bsrxmvn_17_32_kernelILj21E21rocsparse_complex_numIdElldS2_S2_EEvT2_20rocsparse_direction_NS_24const_host_device_scalarIT0_EES3_PKS3_PKT1_SC_S9_PKT3_PKT4_S7_PT5_21rocsparse_index_base_b.has_indirect_call, 0
	.section	.AMDGPU.csdata,"",@progbits
; Kernel info:
; codeLenInByte = 1728
; TotalNumSgprs: 26
; NumVgprs: 29
; ScratchSize: 0
; MemoryBound: 1
; FloatMode: 240
; IeeeMode: 1
; LDSByteSize: 7056 bytes/workgroup (compile time only)
; SGPRBlocks: 8
; VGPRBlocks: 7
; NumSGPRsForWavesPerEU: 65
; NumVGPRsForWavesPerEU: 29
; Occupancy: 8
; WaveLimiterHint : 1
; COMPUTE_PGM_RSRC2:SCRATCH_EN: 0
; COMPUTE_PGM_RSRC2:USER_SGPR: 6
; COMPUTE_PGM_RSRC2:TRAP_HANDLER: 0
; COMPUTE_PGM_RSRC2:TGID_X_EN: 1
; COMPUTE_PGM_RSRC2:TGID_Y_EN: 0
; COMPUTE_PGM_RSRC2:TGID_Z_EN: 0
; COMPUTE_PGM_RSRC2:TIDIG_COMP_CNT: 0
	.section	.text._ZN9rocsparseL20bsrxmvn_17_32_kernelILj22E21rocsparse_complex_numIdElldS2_S2_EEvT2_20rocsparse_direction_NS_24const_host_device_scalarIT0_EES3_PKS3_PKT1_SC_S9_PKT3_PKT4_S7_PT5_21rocsparse_index_base_b,"axG",@progbits,_ZN9rocsparseL20bsrxmvn_17_32_kernelILj22E21rocsparse_complex_numIdElldS2_S2_EEvT2_20rocsparse_direction_NS_24const_host_device_scalarIT0_EES3_PKS3_PKT1_SC_S9_PKT3_PKT4_S7_PT5_21rocsparse_index_base_b,comdat
	.globl	_ZN9rocsparseL20bsrxmvn_17_32_kernelILj22E21rocsparse_complex_numIdElldS2_S2_EEvT2_20rocsparse_direction_NS_24const_host_device_scalarIT0_EES3_PKS3_PKT1_SC_S9_PKT3_PKT4_S7_PT5_21rocsparse_index_base_b ; -- Begin function _ZN9rocsparseL20bsrxmvn_17_32_kernelILj22E21rocsparse_complex_numIdElldS2_S2_EEvT2_20rocsparse_direction_NS_24const_host_device_scalarIT0_EES3_PKS3_PKT1_SC_S9_PKT3_PKT4_S7_PT5_21rocsparse_index_base_b
	.p2align	8
	.type	_ZN9rocsparseL20bsrxmvn_17_32_kernelILj22E21rocsparse_complex_numIdElldS2_S2_EEvT2_20rocsparse_direction_NS_24const_host_device_scalarIT0_EES3_PKS3_PKT1_SC_S9_PKT3_PKT4_S7_PT5_21rocsparse_index_base_b,@function
_ZN9rocsparseL20bsrxmvn_17_32_kernelILj22E21rocsparse_complex_numIdElldS2_S2_EEvT2_20rocsparse_direction_NS_24const_host_device_scalarIT0_EES3_PKS3_PKT1_SC_S9_PKT3_PKT4_S7_PT5_21rocsparse_index_base_b: ; @_ZN9rocsparseL20bsrxmvn_17_32_kernelILj22E21rocsparse_complex_numIdElldS2_S2_EEvT2_20rocsparse_direction_NS_24const_host_device_scalarIT0_EES3_PKS3_PKT1_SC_S9_PKT3_PKT4_S7_PT5_21rocsparse_index_base_b
; %bb.0:
	s_load_dwordx2 s[0:1], s[4:5], 0x10
	s_load_dwordx2 s[14:15], s[4:5], 0x70
	s_add_u32 s7, s4, 16
	s_addc_u32 s8, s5, 0
	s_add_u32 s9, s4, 0x58
	s_addc_u32 s10, s5, 0
	s_waitcnt lgkmcnt(0)
	s_bitcmp1_b32 s15, 0
	s_cselect_b32 s1, s8, s1
	s_cselect_b32 s0, s7, s0
	v_mov_b32_e32 v1, s0
	v_mov_b32_e32 v2, s1
	flat_load_dwordx4 v[5:8], v[1:2]
	s_load_dwordx2 s[2:3], s[4:5], 0x58
	s_waitcnt lgkmcnt(0)
	s_cselect_b32 s0, s10, s3
	s_cselect_b32 s1, s9, s2
	v_mov_b32_e32 v1, s1
	v_mov_b32_e32 v2, s0
	flat_load_dwordx4 v[1:4], v[1:2]
	s_waitcnt vmcnt(0)
	v_cmp_eq_f64_e32 vcc, 0, v[5:6]
	v_cmp_eq_f64_e64 s[0:1], 0, v[7:8]
	s_and_b64 s[8:9], vcc, s[0:1]
	s_mov_b64 s[0:1], -1
	s_and_saveexec_b64 s[2:3], s[8:9]
	s_cbranch_execz .LBB469_2
; %bb.1:
	s_waitcnt lgkmcnt(0)
	v_cmp_neq_f64_e32 vcc, 1.0, v[1:2]
	v_cmp_neq_f64_e64 s[0:1], 0, v[3:4]
	s_or_b64 s[0:1], vcc, s[0:1]
	s_orn2_b64 s[0:1], s[0:1], exec
.LBB469_2:
	s_or_b64 exec, exec, s[2:3]
	s_and_saveexec_b64 s[2:3], s[0:1]
	s_cbranch_execz .LBB469_39
; %bb.3:
	s_load_dwordx4 s[0:3], s[4:5], 0x28
	s_load_dwordx2 s[8:9], s[4:5], 0x38
	s_mov_b32 s7, 0
	s_waitcnt lgkmcnt(0)
	s_cmp_eq_u64 s[0:1], 0
	s_cbranch_scc1 .LBB469_5
; %bb.4:
	s_lshl_b64 s[6:7], s[6:7], 3
	s_add_u32 s0, s0, s6
	s_addc_u32 s1, s1, s7
	s_load_dwordx2 s[0:1], s[0:1], 0x0
	s_waitcnt lgkmcnt(0)
	s_sub_u32 s6, s0, s14
	s_subb_u32 s7, s1, 0
.LBB469_5:
	s_load_dword s10, s[4:5], 0x8
	s_load_dwordx2 s[12:13], s[4:5], 0x68
	v_mul_u32_u24_e32 v13, 0xba3, v0
	v_mov_b32_e32 v14, 22
	v_mul_lo_u16_sdwa v9, v13, v14 dst_sel:DWORD dst_unused:UNUSED_PAD src0_sel:WORD_1 src1_sel:DWORD
	s_waitcnt lgkmcnt(0)
	s_cmp_eq_u32 s10, 1
	s_cselect_b64 s[0:1], -1, 0
	s_cmp_lg_u32 s10, 1
	s_cselect_b64 s[16:17], -1, 0
	s_lshl_b64 s[10:11], s[6:7], 3
	s_add_u32 s20, s2, s10
	s_addc_u32 s21, s3, s11
	s_add_u32 s2, s20, 8
	s_addc_u32 s3, s21, 0
	;; [unrolled: 2-line block ×3, first 2 shown]
	s_cmp_eq_u64 s[8:9], 0
	s_cselect_b32 s9, s3, s11
	s_cselect_b32 s8, s2, s10
	s_load_dwordx2 s[2:3], s[8:9], 0x0
	s_load_dwordx2 s[18:19], s[20:21], 0x0
	v_sub_u16_e32 v21, v0, v9
	v_mov_b32_e32 v11, 0
	v_mov_b32_e32 v12, 0
	s_waitcnt lgkmcnt(0)
	v_mov_b32_e32 v10, s3
	v_mov_b32_e32 v9, s2
	v_cmp_ge_i64_e32 vcc, s[18:19], v[9:10]
	v_mov_b32_e32 v9, 0
	v_mov_b32_e32 v10, 0
	s_cbranch_vccnz .LBB469_10
; %bb.6:
	v_mov_b32_e32 v9, 12
	v_mul_lo_u16_sdwa v9, v13, v9 dst_sel:DWORD dst_unused:UNUSED_PAD src0_sel:WORD_1 src1_sel:DWORD
	v_mul_lo_u16_sdwa v9, v9, v14 dst_sel:DWORD dst_unused:UNUSED_PAD src0_sel:BYTE_1 src1_sel:DWORD
	s_sub_u32 s2, s2, s14
	s_load_dwordx2 s[20:21], s[4:5], 0x50
	s_load_dwordx4 s[8:11], s[4:5], 0x40
	v_sub_u16_sdwa v9, v13, v9 dst_sel:DWORD dst_unused:UNUSED_PAD src0_sel:WORD_1 src1_sel:DWORD
	s_subb_u32 s3, s3, 0
	v_and_b32_e32 v9, 0xff, v9
	s_sub_u32 s4, s18, s14
	v_cndmask_b32_e64 v9, v21, v9, s[0:1]
	s_subb_u32 s5, s19, 0
	v_lshlrev_b32_e32 v9, 4, v9
	s_mul_i32 s0, s5, 0xf20
	s_mul_hi_u32 s1, s4, 0xf20
	s_waitcnt lgkmcnt(0)
	v_mov_b32_e32 v10, s21
	v_add_co_u32_e32 v13, vcc, s20, v9
	s_add_i32 s1, s1, s0
	s_mul_i32 s0, s4, 0xf20
	v_addc_co_u32_e32 v14, vcc, 0, v10, vcc
	s_add_u32 s0, s10, s0
	v_lshlrev_b32_e32 v9, 3, v0
	s_addc_u32 s1, s11, s1
	v_add_co_u32_e32 v15, vcc, s0, v9
	s_movk_i32 s0, 0x10f
	v_mov_b32_e32 v10, s1
	v_mul_u32_u24_sdwa v9, v0, s0 dst_sel:DWORD dst_unused:UNUSED_PAD src0_sel:WORD_0 src1_sel:DWORD
	v_addc_co_u32_e32 v16, vcc, 0, v10, vcc
	v_lshrrev_b32_e32 v22, 17, v9
	v_mov_b32_e32 v9, s19
	v_add_co_u32_e32 v10, vcc, s18, v22
	v_addc_co_u32_e32 v11, vcc, 0, v9, vcc
	v_subrev_co_u32_e32 v9, vcc, s14, v10
	v_subbrev_co_u32_e32 v10, vcc, 0, v11, vcc
	v_lshlrev_b64 v[9:10], 3, v[9:10]
	v_mov_b32_e32 v11, s9
	v_add_co_u32_e32 v17, vcc, s8, v9
	v_addc_co_u32_e32 v18, vcc, v11, v10, vcc
	v_mov_b32_e32 v11, 0
	v_mov_b32_e32 v12, 0
	s_mov_b32 s8, 0
	v_mov_b32_e32 v20, s3
	v_mov_b32_e32 v9, v11
	s_movk_i32 s10, 0x160
	s_brev_b32 s9, 1
	v_mov_b32_e32 v19, s2
	v_mov_b32_e32 v10, v12
	s_branch .LBB469_8
.LBB469_7:                              ;   in Loop: Header=BB469_8 Depth=1
	s_or_b64 exec, exec, s[0:1]
	s_add_u32 s4, s4, 1
	s_addc_u32 s5, s5, 0
	v_cmp_lt_i64_e32 vcc, s[4:5], v[19:20]
	v_add_co_u32_e64 v17, s[0:1], 8, v17
	v_addc_co_u32_e64 v18, s[0:1], 0, v18, s[0:1]
	s_cbranch_vccz .LBB469_10
.LBB469_8:                              ; =>This Inner Loop Header: Depth=1
	v_mov_b32_e32 v24, s5
	v_add_co_u32_e32 v23, vcc, s4, v22
	v_addc_co_u32_e32 v24, vcc, 0, v24, vcc
	v_cmp_gt_i64_e32 vcc, s[2:3], v[23:24]
	s_and_saveexec_b64 s[0:1], vcc
	s_cbranch_execz .LBB469_7
; %bb.9:                                ;   in Loop: Header=BB469_8 Depth=1
	global_load_dwordx2 v[23:24], v[17:18], off
	s_waitcnt vmcnt(0)
	v_subrev_co_u32_e32 v23, vcc, s14, v23
	v_subbrev_co_u32_e32 v25, vcc, 0, v24, vcc
	v_mad_u64_u32 v[23:24], s[18:19], v23, s10, v[13:14]
	v_mad_u64_u32 v[24:25], s[18:19], v25, s10, v[24:25]
	global_load_dwordx2 v[27:28], v[15:16], off
	s_nop 0
	global_load_dwordx4 v[23:26], v[23:24], off
	v_add_co_u32_e32 v15, vcc, 0xf20, v15
	v_addc_co_u32_e32 v16, vcc, 0, v16, vcc
	s_waitcnt vmcnt(0)
	v_fma_f64 v[9:10], v[27:28], v[23:24], v[9:10]
	v_fma_f64 v[11:12], v[23:24], 0, v[11:12]
	;; [unrolled: 1-line block ×4, first 2 shown]
	s_branch .LBB469_7
.LBB469_10:
	v_lshlrev_b32_e32 v17, 4, v0
	s_and_b64 vcc, exec, s[16:17]
	ds_write_b128 v17, v[9:12]
	s_waitcnt lgkmcnt(0)
	s_barrier
	s_cbranch_vccz .LBB469_22
; %bb.11:
	v_cmp_gt_u16_e32 vcc, 6, v21
	s_and_saveexec_b64 s[0:1], vcc
	s_cbranch_execz .LBB469_13
; %bb.12:
	ds_read_b128 v[13:16], v17 offset:256
	ds_read_b128 v[22:25], v17
	s_waitcnt lgkmcnt(0)
	v_add_f64 v[13:14], v[13:14], v[22:23]
	v_add_f64 v[15:16], v[15:16], v[24:25]
	ds_write_b128 v17, v[13:16]
.LBB469_13:
	s_or_b64 exec, exec, s[0:1]
	v_cmp_gt_u16_e32 vcc, 8, v21
	s_waitcnt lgkmcnt(0)
	s_barrier
	s_and_saveexec_b64 s[0:1], vcc
	s_cbranch_execz .LBB469_15
; %bb.14:
	ds_read_b128 v[13:16], v17 offset:128
	ds_read_b128 v[22:25], v17
	s_waitcnt lgkmcnt(0)
	v_add_f64 v[13:14], v[13:14], v[22:23]
	v_add_f64 v[15:16], v[15:16], v[24:25]
	ds_write_b128 v17, v[13:16]
.LBB469_15:
	s_or_b64 exec, exec, s[0:1]
	v_cmp_gt_u16_e32 vcc, 4, v21
	s_waitcnt lgkmcnt(0)
	s_barrier
	;; [unrolled: 14-line block ×3, first 2 shown]
	s_and_saveexec_b64 s[0:1], vcc
	s_cbranch_execz .LBB469_19
; %bb.18:
	ds_read_b128 v[13:16], v17
	ds_read_b128 v[18:21], v17 offset:32
	s_waitcnt lgkmcnt(0)
	v_add_f64 v[13:14], v[18:19], v[13:14]
	v_add_f64 v[15:16], v[20:21], v[15:16]
	ds_write_b128 v17, v[13:16]
.LBB469_19:
	s_or_b64 exec, exec, s[0:1]
	v_mov_b32_e32 v16, v12
	v_mov_b32_e32 v14, v10
	v_cmp_gt_u32_e32 vcc, 22, v0
	v_mov_b32_e32 v15, v11
	v_mov_b32_e32 v13, v9
	s_waitcnt lgkmcnt(0)
	s_barrier
	s_and_saveexec_b64 s[0:1], vcc
	s_cbranch_execz .LBB469_21
; %bb.20:
	s_movk_i32 s2, 0x150
	v_mad_u32_u24 v18, v0, s2, v17
	ds_read_b128 v[13:16], v18
	ds_read_b128 v[18:21], v18 offset:16
	s_waitcnt lgkmcnt(0)
	v_add_f64 v[13:14], v[18:19], v[13:14]
	v_add_f64 v[15:16], v[20:21], v[15:16]
.LBB469_21:
	s_or_b64 exec, exec, s[0:1]
	s_branch .LBB469_34
.LBB469_22:
                                        ; implicit-def: $vgpr15_vgpr16
                                        ; implicit-def: $vgpr13_vgpr14
	s_cbranch_execz .LBB469_34
; %bb.23:
	s_movk_i32 s0, 0x84
	v_cmp_gt_u32_e32 vcc, s0, v0
	s_and_saveexec_b64 s[0:1], vcc
	s_cbranch_execz .LBB469_25
; %bb.24:
	ds_read_b128 v[13:16], v17 offset:5632
	ds_read_b128 v[18:21], v17
	s_waitcnt lgkmcnt(0)
	v_add_f64 v[13:14], v[13:14], v[18:19]
	v_add_f64 v[15:16], v[15:16], v[20:21]
	ds_write_b128 v17, v[13:16]
.LBB469_25:
	s_or_b64 exec, exec, s[0:1]
	s_movk_i32 s0, 0xb0
	v_cmp_gt_u32_e32 vcc, s0, v0
	s_waitcnt lgkmcnt(0)
	s_barrier
	s_and_saveexec_b64 s[0:1], vcc
	s_cbranch_execz .LBB469_27
; %bb.26:
	ds_read_b128 v[13:16], v17 offset:2816
	ds_read_b128 v[18:21], v17
	s_waitcnt lgkmcnt(0)
	v_add_f64 v[13:14], v[13:14], v[18:19]
	v_add_f64 v[15:16], v[15:16], v[20:21]
	ds_write_b128 v17, v[13:16]
.LBB469_27:
	s_or_b64 exec, exec, s[0:1]
	s_movk_i32 s0, 0x58
	v_cmp_gt_u32_e32 vcc, s0, v0
	s_waitcnt lgkmcnt(0)
	s_barrier
	s_and_saveexec_b64 s[0:1], vcc
	s_cbranch_execz .LBB469_29
; %bb.28:
	ds_read_b128 v[13:16], v17 offset:1408
	ds_read_b128 v[18:21], v17
	s_waitcnt lgkmcnt(0)
	v_add_f64 v[13:14], v[13:14], v[18:19]
	v_add_f64 v[15:16], v[15:16], v[20:21]
	ds_write_b128 v17, v[13:16]
.LBB469_29:
	s_or_b64 exec, exec, s[0:1]
	v_cmp_gt_u32_e32 vcc, 44, v0
	s_waitcnt lgkmcnt(0)
	s_barrier
	s_and_saveexec_b64 s[0:1], vcc
	s_cbranch_execz .LBB469_31
; %bb.30:
	ds_read_b128 v[13:16], v17 offset:704
	ds_read_b128 v[18:21], v17
	s_waitcnt lgkmcnt(0)
	v_add_f64 v[13:14], v[13:14], v[18:19]
	v_add_f64 v[15:16], v[15:16], v[20:21]
	ds_write_b128 v17, v[13:16]
.LBB469_31:
	s_or_b64 exec, exec, s[0:1]
	v_cmp_gt_u32_e32 vcc, 22, v0
	s_waitcnt lgkmcnt(0)
	s_and_saveexec_b64 s[0:1], vcc
	s_cbranch_execz .LBB469_33
; %bb.32:
	ds_read_b128 v[9:12], v17 offset:352
	ds_read_b128 v[13:16], v17
	s_waitcnt lgkmcnt(0)
	v_add_f64 v[9:10], v[9:10], v[13:14]
	v_add_f64 v[11:12], v[11:12], v[15:16]
.LBB469_33:
	s_or_b64 exec, exec, s[0:1]
	v_mov_b32_e32 v16, v12
	v_mov_b32_e32 v14, v10
	;; [unrolled: 1-line block ×4, first 2 shown]
.LBB469_34:
	v_cmp_gt_u32_e32 vcc, 22, v0
	s_and_b64 exec, exec, vcc
	s_cbranch_execz .LBB469_39
; %bb.35:
	v_mul_f64 v[9:10], v[15:16], -v[7:8]
	v_mul_f64 v[11:12], v[5:6], v[15:16]
	v_cmp_eq_f64_e32 vcc, 0, v[1:2]
	v_cmp_eq_f64_e64 s[0:1], 0, v[3:4]
	s_mul_i32 s2, s7, 0x160
	s_mul_hi_u32 s3, s6, 0x160
	s_mul_i32 s4, s6, 0x160
	v_fma_f64 v[5:6], v[5:6], v[13:14], v[9:10]
	v_fma_f64 v[7:8], v[7:8], v[13:14], v[11:12]
	s_and_b64 s[0:1], vcc, s[0:1]
	s_and_saveexec_b64 s[6:7], s[0:1]
	s_xor_b64 s[0:1], exec, s[6:7]
	s_cbranch_execz .LBB469_37
; %bb.36:
	s_add_i32 s5, s3, s2
	s_add_u32 s6, s12, s4
	s_addc_u32 s7, s13, s5
	global_store_dwordx4 v17, v[5:8], s[6:7]
                                        ; implicit-def: $vgpr17
                                        ; implicit-def: $vgpr1_vgpr2
                                        ; implicit-def: $vgpr5_vgpr6
.LBB469_37:
	s_andn2_saveexec_b64 s[0:1], s[0:1]
	s_cbranch_execz .LBB469_39
; %bb.38:
	s_add_i32 s3, s3, s2
	s_add_u32 s0, s12, s4
	s_addc_u32 s1, s13, s3
	global_load_dwordx4 v[9:12], v17, s[0:1]
	s_waitcnt vmcnt(0)
	v_fma_f64 v[5:6], v[1:2], v[9:10], v[5:6]
	v_fma_f64 v[7:8], v[3:4], v[9:10], v[7:8]
	v_fma_f64 v[3:4], -v[3:4], v[11:12], v[5:6]
	v_fma_f64 v[5:6], v[1:2], v[11:12], v[7:8]
	global_store_dwordx4 v17, v[3:6], s[0:1]
.LBB469_39:
	s_endpgm
	.section	.rodata,"a",@progbits
	.p2align	6, 0x0
	.amdhsa_kernel _ZN9rocsparseL20bsrxmvn_17_32_kernelILj22E21rocsparse_complex_numIdElldS2_S2_EEvT2_20rocsparse_direction_NS_24const_host_device_scalarIT0_EES3_PKS3_PKT1_SC_S9_PKT3_PKT4_S7_PT5_21rocsparse_index_base_b
		.amdhsa_group_segment_fixed_size 7744
		.amdhsa_private_segment_fixed_size 0
		.amdhsa_kernarg_size 120
		.amdhsa_user_sgpr_count 6
		.amdhsa_user_sgpr_private_segment_buffer 1
		.amdhsa_user_sgpr_dispatch_ptr 0
		.amdhsa_user_sgpr_queue_ptr 0
		.amdhsa_user_sgpr_kernarg_segment_ptr 1
		.amdhsa_user_sgpr_dispatch_id 0
		.amdhsa_user_sgpr_flat_scratch_init 0
		.amdhsa_user_sgpr_private_segment_size 0
		.amdhsa_uses_dynamic_stack 0
		.amdhsa_system_sgpr_private_segment_wavefront_offset 0
		.amdhsa_system_sgpr_workgroup_id_x 1
		.amdhsa_system_sgpr_workgroup_id_y 0
		.amdhsa_system_sgpr_workgroup_id_z 0
		.amdhsa_system_sgpr_workgroup_info 0
		.amdhsa_system_vgpr_workitem_id 0
		.amdhsa_next_free_vgpr 29
		.amdhsa_next_free_sgpr 22
		.amdhsa_reserve_vcc 1
		.amdhsa_reserve_flat_scratch 0
		.amdhsa_float_round_mode_32 0
		.amdhsa_float_round_mode_16_64 0
		.amdhsa_float_denorm_mode_32 3
		.amdhsa_float_denorm_mode_16_64 3
		.amdhsa_dx10_clamp 1
		.amdhsa_ieee_mode 1
		.amdhsa_fp16_overflow 0
		.amdhsa_exception_fp_ieee_invalid_op 0
		.amdhsa_exception_fp_denorm_src 0
		.amdhsa_exception_fp_ieee_div_zero 0
		.amdhsa_exception_fp_ieee_overflow 0
		.amdhsa_exception_fp_ieee_underflow 0
		.amdhsa_exception_fp_ieee_inexact 0
		.amdhsa_exception_int_div_zero 0
	.end_amdhsa_kernel
	.section	.text._ZN9rocsparseL20bsrxmvn_17_32_kernelILj22E21rocsparse_complex_numIdElldS2_S2_EEvT2_20rocsparse_direction_NS_24const_host_device_scalarIT0_EES3_PKS3_PKT1_SC_S9_PKT3_PKT4_S7_PT5_21rocsparse_index_base_b,"axG",@progbits,_ZN9rocsparseL20bsrxmvn_17_32_kernelILj22E21rocsparse_complex_numIdElldS2_S2_EEvT2_20rocsparse_direction_NS_24const_host_device_scalarIT0_EES3_PKS3_PKT1_SC_S9_PKT3_PKT4_S7_PT5_21rocsparse_index_base_b,comdat
.Lfunc_end469:
	.size	_ZN9rocsparseL20bsrxmvn_17_32_kernelILj22E21rocsparse_complex_numIdElldS2_S2_EEvT2_20rocsparse_direction_NS_24const_host_device_scalarIT0_EES3_PKS3_PKT1_SC_S9_PKT3_PKT4_S7_PT5_21rocsparse_index_base_b, .Lfunc_end469-_ZN9rocsparseL20bsrxmvn_17_32_kernelILj22E21rocsparse_complex_numIdElldS2_S2_EEvT2_20rocsparse_direction_NS_24const_host_device_scalarIT0_EES3_PKS3_PKT1_SC_S9_PKT3_PKT4_S7_PT5_21rocsparse_index_base_b
                                        ; -- End function
	.set _ZN9rocsparseL20bsrxmvn_17_32_kernelILj22E21rocsparse_complex_numIdElldS2_S2_EEvT2_20rocsparse_direction_NS_24const_host_device_scalarIT0_EES3_PKS3_PKT1_SC_S9_PKT3_PKT4_S7_PT5_21rocsparse_index_base_b.num_vgpr, 29
	.set _ZN9rocsparseL20bsrxmvn_17_32_kernelILj22E21rocsparse_complex_numIdElldS2_S2_EEvT2_20rocsparse_direction_NS_24const_host_device_scalarIT0_EES3_PKS3_PKT1_SC_S9_PKT3_PKT4_S7_PT5_21rocsparse_index_base_b.num_agpr, 0
	.set _ZN9rocsparseL20bsrxmvn_17_32_kernelILj22E21rocsparse_complex_numIdElldS2_S2_EEvT2_20rocsparse_direction_NS_24const_host_device_scalarIT0_EES3_PKS3_PKT1_SC_S9_PKT3_PKT4_S7_PT5_21rocsparse_index_base_b.numbered_sgpr, 22
	.set _ZN9rocsparseL20bsrxmvn_17_32_kernelILj22E21rocsparse_complex_numIdElldS2_S2_EEvT2_20rocsparse_direction_NS_24const_host_device_scalarIT0_EES3_PKS3_PKT1_SC_S9_PKT3_PKT4_S7_PT5_21rocsparse_index_base_b.num_named_barrier, 0
	.set _ZN9rocsparseL20bsrxmvn_17_32_kernelILj22E21rocsparse_complex_numIdElldS2_S2_EEvT2_20rocsparse_direction_NS_24const_host_device_scalarIT0_EES3_PKS3_PKT1_SC_S9_PKT3_PKT4_S7_PT5_21rocsparse_index_base_b.private_seg_size, 0
	.set _ZN9rocsparseL20bsrxmvn_17_32_kernelILj22E21rocsparse_complex_numIdElldS2_S2_EEvT2_20rocsparse_direction_NS_24const_host_device_scalarIT0_EES3_PKS3_PKT1_SC_S9_PKT3_PKT4_S7_PT5_21rocsparse_index_base_b.uses_vcc, 1
	.set _ZN9rocsparseL20bsrxmvn_17_32_kernelILj22E21rocsparse_complex_numIdElldS2_S2_EEvT2_20rocsparse_direction_NS_24const_host_device_scalarIT0_EES3_PKS3_PKT1_SC_S9_PKT3_PKT4_S7_PT5_21rocsparse_index_base_b.uses_flat_scratch, 0
	.set _ZN9rocsparseL20bsrxmvn_17_32_kernelILj22E21rocsparse_complex_numIdElldS2_S2_EEvT2_20rocsparse_direction_NS_24const_host_device_scalarIT0_EES3_PKS3_PKT1_SC_S9_PKT3_PKT4_S7_PT5_21rocsparse_index_base_b.has_dyn_sized_stack, 0
	.set _ZN9rocsparseL20bsrxmvn_17_32_kernelILj22E21rocsparse_complex_numIdElldS2_S2_EEvT2_20rocsparse_direction_NS_24const_host_device_scalarIT0_EES3_PKS3_PKT1_SC_S9_PKT3_PKT4_S7_PT5_21rocsparse_index_base_b.has_recursion, 0
	.set _ZN9rocsparseL20bsrxmvn_17_32_kernelILj22E21rocsparse_complex_numIdElldS2_S2_EEvT2_20rocsparse_direction_NS_24const_host_device_scalarIT0_EES3_PKS3_PKT1_SC_S9_PKT3_PKT4_S7_PT5_21rocsparse_index_base_b.has_indirect_call, 0
	.section	.AMDGPU.csdata,"",@progbits
; Kernel info:
; codeLenInByte = 1728
; TotalNumSgprs: 26
; NumVgprs: 29
; ScratchSize: 0
; MemoryBound: 1
; FloatMode: 240
; IeeeMode: 1
; LDSByteSize: 7744 bytes/workgroup (compile time only)
; SGPRBlocks: 3
; VGPRBlocks: 7
; NumSGPRsForWavesPerEU: 26
; NumVGPRsForWavesPerEU: 29
; Occupancy: 8
; WaveLimiterHint : 1
; COMPUTE_PGM_RSRC2:SCRATCH_EN: 0
; COMPUTE_PGM_RSRC2:USER_SGPR: 6
; COMPUTE_PGM_RSRC2:TRAP_HANDLER: 0
; COMPUTE_PGM_RSRC2:TGID_X_EN: 1
; COMPUTE_PGM_RSRC2:TGID_Y_EN: 0
; COMPUTE_PGM_RSRC2:TGID_Z_EN: 0
; COMPUTE_PGM_RSRC2:TIDIG_COMP_CNT: 0
	.section	.text._ZN9rocsparseL20bsrxmvn_17_32_kernelILj23E21rocsparse_complex_numIdElldS2_S2_EEvT2_20rocsparse_direction_NS_24const_host_device_scalarIT0_EES3_PKS3_PKT1_SC_S9_PKT3_PKT4_S7_PT5_21rocsparse_index_base_b,"axG",@progbits,_ZN9rocsparseL20bsrxmvn_17_32_kernelILj23E21rocsparse_complex_numIdElldS2_S2_EEvT2_20rocsparse_direction_NS_24const_host_device_scalarIT0_EES3_PKS3_PKT1_SC_S9_PKT3_PKT4_S7_PT5_21rocsparse_index_base_b,comdat
	.globl	_ZN9rocsparseL20bsrxmvn_17_32_kernelILj23E21rocsparse_complex_numIdElldS2_S2_EEvT2_20rocsparse_direction_NS_24const_host_device_scalarIT0_EES3_PKS3_PKT1_SC_S9_PKT3_PKT4_S7_PT5_21rocsparse_index_base_b ; -- Begin function _ZN9rocsparseL20bsrxmvn_17_32_kernelILj23E21rocsparse_complex_numIdElldS2_S2_EEvT2_20rocsparse_direction_NS_24const_host_device_scalarIT0_EES3_PKS3_PKT1_SC_S9_PKT3_PKT4_S7_PT5_21rocsparse_index_base_b
	.p2align	8
	.type	_ZN9rocsparseL20bsrxmvn_17_32_kernelILj23E21rocsparse_complex_numIdElldS2_S2_EEvT2_20rocsparse_direction_NS_24const_host_device_scalarIT0_EES3_PKS3_PKT1_SC_S9_PKT3_PKT4_S7_PT5_21rocsparse_index_base_b,@function
_ZN9rocsparseL20bsrxmvn_17_32_kernelILj23E21rocsparse_complex_numIdElldS2_S2_EEvT2_20rocsparse_direction_NS_24const_host_device_scalarIT0_EES3_PKS3_PKT1_SC_S9_PKT3_PKT4_S7_PT5_21rocsparse_index_base_b: ; @_ZN9rocsparseL20bsrxmvn_17_32_kernelILj23E21rocsparse_complex_numIdElldS2_S2_EEvT2_20rocsparse_direction_NS_24const_host_device_scalarIT0_EES3_PKS3_PKT1_SC_S9_PKT3_PKT4_S7_PT5_21rocsparse_index_base_b
; %bb.0:
	s_load_dwordx2 s[0:1], s[4:5], 0x10
	s_load_dwordx2 s[14:15], s[4:5], 0x70
	s_add_u32 s7, s4, 16
	s_addc_u32 s8, s5, 0
	s_add_u32 s9, s4, 0x58
	s_addc_u32 s10, s5, 0
	s_waitcnt lgkmcnt(0)
	s_bitcmp1_b32 s15, 0
	s_cselect_b32 s1, s8, s1
	s_cselect_b32 s0, s7, s0
	v_mov_b32_e32 v1, s0
	v_mov_b32_e32 v2, s1
	flat_load_dwordx4 v[5:8], v[1:2]
	s_load_dwordx2 s[2:3], s[4:5], 0x58
	s_waitcnt lgkmcnt(0)
	s_cselect_b32 s0, s10, s3
	s_cselect_b32 s1, s9, s2
	v_mov_b32_e32 v1, s1
	v_mov_b32_e32 v2, s0
	flat_load_dwordx4 v[1:4], v[1:2]
	s_waitcnt vmcnt(0)
	v_cmp_eq_f64_e32 vcc, 0, v[5:6]
	v_cmp_eq_f64_e64 s[0:1], 0, v[7:8]
	s_and_b64 s[8:9], vcc, s[0:1]
	s_mov_b64 s[0:1], -1
	s_and_saveexec_b64 s[2:3], s[8:9]
	s_cbranch_execz .LBB470_2
; %bb.1:
	s_waitcnt lgkmcnt(0)
	v_cmp_neq_f64_e32 vcc, 1.0, v[1:2]
	v_cmp_neq_f64_e64 s[0:1], 0, v[3:4]
	s_or_b64 s[0:1], vcc, s[0:1]
	s_orn2_b64 s[0:1], s[0:1], exec
.LBB470_2:
	s_or_b64 exec, exec, s[2:3]
	s_and_saveexec_b64 s[2:3], s[0:1]
	s_cbranch_execz .LBB470_39
; %bb.3:
	s_load_dwordx4 s[0:3], s[4:5], 0x28
	s_load_dwordx2 s[8:9], s[4:5], 0x38
	s_mov_b32 s7, 0
	s_waitcnt lgkmcnt(0)
	s_cmp_eq_u64 s[0:1], 0
	s_cbranch_scc1 .LBB470_5
; %bb.4:
	s_lshl_b64 s[6:7], s[6:7], 3
	s_add_u32 s0, s0, s6
	s_addc_u32 s1, s1, s7
	s_load_dwordx2 s[0:1], s[0:1], 0x0
	s_waitcnt lgkmcnt(0)
	s_sub_u32 s6, s0, s14
	s_subb_u32 s7, s1, 0
.LBB470_5:
	s_load_dword s10, s[4:5], 0x8
	s_load_dwordx2 s[12:13], s[4:5], 0x68
	v_mul_u32_u24_e32 v14, 0xb22, v0
	v_mov_b32_e32 v9, 23
	v_mul_lo_u16_sdwa v9, v14, v9 dst_sel:DWORD dst_unused:UNUSED_PAD src0_sel:WORD_1 src1_sel:DWORD
	s_waitcnt lgkmcnt(0)
	s_cmp_eq_u32 s10, 1
	s_cselect_b64 s[0:1], -1, 0
	s_cmp_lg_u32 s10, 1
	s_cselect_b64 s[16:17], -1, 0
	s_lshl_b64 s[10:11], s[6:7], 3
	s_add_u32 s20, s2, s10
	s_addc_u32 s21, s3, s11
	s_add_u32 s2, s20, 8
	s_addc_u32 s3, s21, 0
	;; [unrolled: 2-line block ×3, first 2 shown]
	s_cmp_eq_u64 s[8:9], 0
	s_cselect_b32 s9, s3, s11
	s_cselect_b32 s8, s2, s10
	s_load_dwordx2 s[2:3], s[8:9], 0x0
	s_load_dwordx2 s[18:19], s[20:21], 0x0
	v_sub_u16_e32 v21, v0, v9
	v_mov_b32_e32 v11, 0
	v_mov_b32_e32 v13, 0
	s_waitcnt lgkmcnt(0)
	v_mov_b32_e32 v10, s3
	v_mov_b32_e32 v9, s2
	v_cmp_ge_i64_e32 vcc, s[18:19], v[9:10]
	v_mov_b32_e32 v9, 0
	v_mov_b32_e32 v12, 0
	;; [unrolled: 1-line block ×3, first 2 shown]
	s_cbranch_vccnz .LBB470_10
; %bb.6:
	s_load_dwordx2 s[20:21], s[4:5], 0x50
	s_load_dwordx4 s[8:11], s[4:5], 0x40
	s_mov_b32 s4, 0xffff
	s_movk_i32 s5, 0x211
	v_and_b32_sdwa v9, s4, v14 dst_sel:DWORD dst_unused:UNUSED_PAD src0_sel:DWORD src1_sel:WORD_1
	s_sub_u32 s2, s2, s14
	v_subrev_u32_e32 v10, 23, v9
	v_cmp_gt_u32_e32 vcc, s5, v0
	s_subb_u32 s3, s3, 0
	v_cndmask_b32_e32 v9, v10, v9, vcc
	s_sub_u32 s4, s18, s14
	v_cndmask_b32_e64 v12, v21, v9, s[0:1]
	s_subb_u32 s5, s19, 0
	v_lshlrev_b64 v[9:10], 4, v[12:13]
	s_mul_i32 s0, s5, 0x1088
	s_mul_hi_u32 s1, s4, 0x1088
	s_add_i32 s1, s1, s0
	s_mul_i32 s0, s4, 0x1088
	s_waitcnt lgkmcnt(0)
	v_mov_b32_e32 v11, s21
	v_add_co_u32_e32 v13, vcc, s20, v9
	s_add_u32 s0, s10, s0
	v_addc_co_u32_e32 v14, vcc, v11, v10, vcc
	s_addc_u32 s1, s11, s1
	v_lshlrev_b32_e32 v9, 3, v0
	v_mov_b32_e32 v10, s1
	v_add_co_u32_e32 v15, vcc, s0, v9
	v_addc_co_u32_e32 v16, vcc, 0, v10, vcc
	s_movk_i32 s0, 0x210
	v_cmp_lt_u32_e32 vcc, s0, v0
	v_cndmask_b32_e64 v22, 0, 1, vcc
	v_mov_b32_e32 v9, s19
	v_add_co_u32_e32 v10, vcc, s18, v22
	v_addc_co_u32_e32 v11, vcc, 0, v9, vcc
	v_subrev_co_u32_e32 v9, vcc, s14, v10
	v_subbrev_co_u32_e32 v10, vcc, 0, v11, vcc
	v_lshlrev_b64 v[9:10], 3, v[9:10]
	v_mov_b32_e32 v11, s9
	v_add_co_u32_e32 v17, vcc, s8, v9
	v_addc_co_u32_e32 v18, vcc, v11, v10, vcc
	v_mov_b32_e32 v11, 0
	v_mov_b32_e32 v12, 0
	s_mov_b32 s8, 0
	v_mov_b32_e32 v20, s3
	v_mov_b32_e32 v9, v11
	s_movk_i32 s10, 0x170
	s_brev_b32 s9, 1
	v_mov_b32_e32 v19, s2
	v_mov_b32_e32 v10, v12
	s_branch .LBB470_8
.LBB470_7:                              ;   in Loop: Header=BB470_8 Depth=1
	s_or_b64 exec, exec, s[0:1]
	s_add_u32 s4, s4, 1
	s_addc_u32 s5, s5, 0
	v_cmp_lt_i64_e32 vcc, s[4:5], v[19:20]
	v_add_co_u32_e64 v17, s[0:1], 8, v17
	v_addc_co_u32_e64 v18, s[0:1], 0, v18, s[0:1]
	s_cbranch_vccz .LBB470_10
.LBB470_8:                              ; =>This Inner Loop Header: Depth=1
	v_mov_b32_e32 v24, s5
	v_add_co_u32_e32 v23, vcc, s4, v22
	v_addc_co_u32_e32 v24, vcc, 0, v24, vcc
	v_cmp_gt_i64_e32 vcc, s[2:3], v[23:24]
	s_and_saveexec_b64 s[0:1], vcc
	s_cbranch_execz .LBB470_7
; %bb.9:                                ;   in Loop: Header=BB470_8 Depth=1
	global_load_dwordx2 v[23:24], v[17:18], off
	s_waitcnt vmcnt(0)
	v_subrev_co_u32_e32 v23, vcc, s14, v23
	v_subbrev_co_u32_e32 v25, vcc, 0, v24, vcc
	v_mad_u64_u32 v[23:24], s[18:19], v23, s10, v[13:14]
	v_mad_u64_u32 v[24:25], s[18:19], v25, s10, v[24:25]
	global_load_dwordx2 v[27:28], v[15:16], off
	s_nop 0
	global_load_dwordx4 v[23:26], v[23:24], off
	v_add_co_u32_e32 v15, vcc, 0x1088, v15
	v_addc_co_u32_e32 v16, vcc, 0, v16, vcc
	s_waitcnt vmcnt(0)
	v_fma_f64 v[9:10], v[27:28], v[23:24], v[9:10]
	v_fma_f64 v[11:12], v[23:24], 0, v[11:12]
	;; [unrolled: 1-line block ×4, first 2 shown]
	s_branch .LBB470_7
.LBB470_10:
	v_lshlrev_b32_e32 v17, 4, v0
	s_and_b64 vcc, exec, s[16:17]
	ds_write_b128 v17, v[9:12]
	s_waitcnt lgkmcnt(0)
	s_barrier
	s_cbranch_vccz .LBB470_22
; %bb.11:
	v_cmp_gt_u16_e32 vcc, 7, v21
	s_and_saveexec_b64 s[0:1], vcc
	s_cbranch_execz .LBB470_13
; %bb.12:
	ds_read_b128 v[13:16], v17 offset:256
	ds_read_b128 v[22:25], v17
	s_waitcnt lgkmcnt(0)
	v_add_f64 v[13:14], v[13:14], v[22:23]
	v_add_f64 v[15:16], v[15:16], v[24:25]
	ds_write_b128 v17, v[13:16]
.LBB470_13:
	s_or_b64 exec, exec, s[0:1]
	v_cmp_gt_u16_e32 vcc, 8, v21
	s_waitcnt lgkmcnt(0)
	s_barrier
	s_and_saveexec_b64 s[0:1], vcc
	s_cbranch_execz .LBB470_15
; %bb.14:
	ds_read_b128 v[13:16], v17 offset:128
	ds_read_b128 v[22:25], v17
	s_waitcnt lgkmcnt(0)
	v_add_f64 v[13:14], v[13:14], v[22:23]
	v_add_f64 v[15:16], v[15:16], v[24:25]
	ds_write_b128 v17, v[13:16]
.LBB470_15:
	s_or_b64 exec, exec, s[0:1]
	v_cmp_gt_u16_e32 vcc, 4, v21
	s_waitcnt lgkmcnt(0)
	s_barrier
	;; [unrolled: 14-line block ×3, first 2 shown]
	s_and_saveexec_b64 s[0:1], vcc
	s_cbranch_execz .LBB470_19
; %bb.18:
	ds_read_b128 v[13:16], v17
	ds_read_b128 v[18:21], v17 offset:32
	s_waitcnt lgkmcnt(0)
	v_add_f64 v[13:14], v[18:19], v[13:14]
	v_add_f64 v[15:16], v[20:21], v[15:16]
	ds_write_b128 v17, v[13:16]
.LBB470_19:
	s_or_b64 exec, exec, s[0:1]
	v_mov_b32_e32 v16, v12
	v_mov_b32_e32 v14, v10
	v_cmp_gt_u32_e32 vcc, 23, v0
	v_mov_b32_e32 v15, v11
	v_mov_b32_e32 v13, v9
	s_waitcnt lgkmcnt(0)
	s_barrier
	s_and_saveexec_b64 s[0:1], vcc
	s_cbranch_execz .LBB470_21
; %bb.20:
	s_movk_i32 s2, 0x160
	v_mad_u32_u24 v18, v0, s2, v17
	ds_read_b128 v[13:16], v18
	ds_read_b128 v[18:21], v18 offset:16
	s_waitcnt lgkmcnt(0)
	v_add_f64 v[13:14], v[18:19], v[13:14]
	v_add_f64 v[15:16], v[20:21], v[15:16]
.LBB470_21:
	s_or_b64 exec, exec, s[0:1]
	s_branch .LBB470_34
.LBB470_22:
                                        ; implicit-def: $vgpr15_vgpr16
                                        ; implicit-def: $vgpr13_vgpr14
	s_cbranch_execz .LBB470_34
; %bb.23:
	s_movk_i32 s0, 0xa1
	v_cmp_gt_u32_e32 vcc, s0, v0
	s_and_saveexec_b64 s[0:1], vcc
	s_cbranch_execz .LBB470_25
; %bb.24:
	ds_read_b128 v[13:16], v17 offset:5888
	ds_read_b128 v[18:21], v17
	s_waitcnt lgkmcnt(0)
	v_add_f64 v[13:14], v[13:14], v[18:19]
	v_add_f64 v[15:16], v[15:16], v[20:21]
	ds_write_b128 v17, v[13:16]
.LBB470_25:
	s_or_b64 exec, exec, s[0:1]
	s_movk_i32 s0, 0xb8
	v_cmp_gt_u32_e32 vcc, s0, v0
	s_waitcnt lgkmcnt(0)
	s_barrier
	s_and_saveexec_b64 s[0:1], vcc
	s_cbranch_execz .LBB470_27
; %bb.26:
	ds_read_b128 v[13:16], v17 offset:2944
	ds_read_b128 v[18:21], v17
	s_waitcnt lgkmcnt(0)
	v_add_f64 v[13:14], v[13:14], v[18:19]
	v_add_f64 v[15:16], v[15:16], v[20:21]
	ds_write_b128 v17, v[13:16]
.LBB470_27:
	s_or_b64 exec, exec, s[0:1]
	s_movk_i32 s0, 0x5c
	v_cmp_gt_u32_e32 vcc, s0, v0
	s_waitcnt lgkmcnt(0)
	s_barrier
	s_and_saveexec_b64 s[0:1], vcc
	s_cbranch_execz .LBB470_29
; %bb.28:
	ds_read_b128 v[13:16], v17 offset:1472
	ds_read_b128 v[18:21], v17
	s_waitcnt lgkmcnt(0)
	v_add_f64 v[13:14], v[13:14], v[18:19]
	v_add_f64 v[15:16], v[15:16], v[20:21]
	ds_write_b128 v17, v[13:16]
.LBB470_29:
	s_or_b64 exec, exec, s[0:1]
	v_cmp_gt_u32_e32 vcc, 46, v0
	s_waitcnt lgkmcnt(0)
	s_barrier
	s_and_saveexec_b64 s[0:1], vcc
	s_cbranch_execz .LBB470_31
; %bb.30:
	ds_read_b128 v[13:16], v17 offset:736
	ds_read_b128 v[18:21], v17
	s_waitcnt lgkmcnt(0)
	v_add_f64 v[13:14], v[13:14], v[18:19]
	v_add_f64 v[15:16], v[15:16], v[20:21]
	ds_write_b128 v17, v[13:16]
.LBB470_31:
	s_or_b64 exec, exec, s[0:1]
	v_cmp_gt_u32_e32 vcc, 23, v0
	s_waitcnt lgkmcnt(0)
	s_and_saveexec_b64 s[0:1], vcc
	s_cbranch_execz .LBB470_33
; %bb.32:
	ds_read_b128 v[9:12], v17 offset:368
	ds_read_b128 v[13:16], v17
	s_waitcnt lgkmcnt(0)
	v_add_f64 v[9:10], v[9:10], v[13:14]
	v_add_f64 v[11:12], v[11:12], v[15:16]
.LBB470_33:
	s_or_b64 exec, exec, s[0:1]
	v_mov_b32_e32 v16, v12
	v_mov_b32_e32 v14, v10
	;; [unrolled: 1-line block ×4, first 2 shown]
.LBB470_34:
	v_cmp_gt_u32_e32 vcc, 23, v0
	s_and_b64 exec, exec, vcc
	s_cbranch_execz .LBB470_39
; %bb.35:
	v_mul_f64 v[9:10], v[15:16], -v[7:8]
	v_mul_f64 v[11:12], v[5:6], v[15:16]
	v_cmp_eq_f64_e32 vcc, 0, v[1:2]
	v_cmp_eq_f64_e64 s[0:1], 0, v[3:4]
	s_mul_i32 s2, s7, 0x170
	s_mul_hi_u32 s3, s6, 0x170
	s_mul_i32 s4, s6, 0x170
	v_fma_f64 v[5:6], v[5:6], v[13:14], v[9:10]
	v_fma_f64 v[7:8], v[7:8], v[13:14], v[11:12]
	s_and_b64 s[0:1], vcc, s[0:1]
	s_and_saveexec_b64 s[6:7], s[0:1]
	s_xor_b64 s[0:1], exec, s[6:7]
	s_cbranch_execz .LBB470_37
; %bb.36:
	s_add_i32 s5, s3, s2
	s_add_u32 s6, s12, s4
	s_addc_u32 s7, s13, s5
	global_store_dwordx4 v17, v[5:8], s[6:7]
                                        ; implicit-def: $vgpr17
                                        ; implicit-def: $vgpr1_vgpr2
                                        ; implicit-def: $vgpr5_vgpr6
.LBB470_37:
	s_andn2_saveexec_b64 s[0:1], s[0:1]
	s_cbranch_execz .LBB470_39
; %bb.38:
	s_add_i32 s3, s3, s2
	s_add_u32 s0, s12, s4
	s_addc_u32 s1, s13, s3
	global_load_dwordx4 v[9:12], v17, s[0:1]
	s_waitcnt vmcnt(0)
	v_fma_f64 v[5:6], v[1:2], v[9:10], v[5:6]
	v_fma_f64 v[7:8], v[3:4], v[9:10], v[7:8]
	v_fma_f64 v[3:4], -v[3:4], v[11:12], v[5:6]
	v_fma_f64 v[5:6], v[1:2], v[11:12], v[7:8]
	global_store_dwordx4 v17, v[3:6], s[0:1]
.LBB470_39:
	s_endpgm
	.section	.rodata,"a",@progbits
	.p2align	6, 0x0
	.amdhsa_kernel _ZN9rocsparseL20bsrxmvn_17_32_kernelILj23E21rocsparse_complex_numIdElldS2_S2_EEvT2_20rocsparse_direction_NS_24const_host_device_scalarIT0_EES3_PKS3_PKT1_SC_S9_PKT3_PKT4_S7_PT5_21rocsparse_index_base_b
		.amdhsa_group_segment_fixed_size 8464
		.amdhsa_private_segment_fixed_size 0
		.amdhsa_kernarg_size 120
		.amdhsa_user_sgpr_count 6
		.amdhsa_user_sgpr_private_segment_buffer 1
		.amdhsa_user_sgpr_dispatch_ptr 0
		.amdhsa_user_sgpr_queue_ptr 0
		.amdhsa_user_sgpr_kernarg_segment_ptr 1
		.amdhsa_user_sgpr_dispatch_id 0
		.amdhsa_user_sgpr_flat_scratch_init 0
		.amdhsa_user_sgpr_private_segment_size 0
		.amdhsa_uses_dynamic_stack 0
		.amdhsa_system_sgpr_private_segment_wavefront_offset 0
		.amdhsa_system_sgpr_workgroup_id_x 1
		.amdhsa_system_sgpr_workgroup_id_y 0
		.amdhsa_system_sgpr_workgroup_id_z 0
		.amdhsa_system_sgpr_workgroup_info 0
		.amdhsa_system_vgpr_workitem_id 0
		.amdhsa_next_free_vgpr 29
		.amdhsa_next_free_sgpr 61
		.amdhsa_reserve_vcc 1
		.amdhsa_reserve_flat_scratch 0
		.amdhsa_float_round_mode_32 0
		.amdhsa_float_round_mode_16_64 0
		.amdhsa_float_denorm_mode_32 3
		.amdhsa_float_denorm_mode_16_64 3
		.amdhsa_dx10_clamp 1
		.amdhsa_ieee_mode 1
		.amdhsa_fp16_overflow 0
		.amdhsa_exception_fp_ieee_invalid_op 0
		.amdhsa_exception_fp_denorm_src 0
		.amdhsa_exception_fp_ieee_div_zero 0
		.amdhsa_exception_fp_ieee_overflow 0
		.amdhsa_exception_fp_ieee_underflow 0
		.amdhsa_exception_fp_ieee_inexact 0
		.amdhsa_exception_int_div_zero 0
	.end_amdhsa_kernel
	.section	.text._ZN9rocsparseL20bsrxmvn_17_32_kernelILj23E21rocsparse_complex_numIdElldS2_S2_EEvT2_20rocsparse_direction_NS_24const_host_device_scalarIT0_EES3_PKS3_PKT1_SC_S9_PKT3_PKT4_S7_PT5_21rocsparse_index_base_b,"axG",@progbits,_ZN9rocsparseL20bsrxmvn_17_32_kernelILj23E21rocsparse_complex_numIdElldS2_S2_EEvT2_20rocsparse_direction_NS_24const_host_device_scalarIT0_EES3_PKS3_PKT1_SC_S9_PKT3_PKT4_S7_PT5_21rocsparse_index_base_b,comdat
.Lfunc_end470:
	.size	_ZN9rocsparseL20bsrxmvn_17_32_kernelILj23E21rocsparse_complex_numIdElldS2_S2_EEvT2_20rocsparse_direction_NS_24const_host_device_scalarIT0_EES3_PKS3_PKT1_SC_S9_PKT3_PKT4_S7_PT5_21rocsparse_index_base_b, .Lfunc_end470-_ZN9rocsparseL20bsrxmvn_17_32_kernelILj23E21rocsparse_complex_numIdElldS2_S2_EEvT2_20rocsparse_direction_NS_24const_host_device_scalarIT0_EES3_PKS3_PKT1_SC_S9_PKT3_PKT4_S7_PT5_21rocsparse_index_base_b
                                        ; -- End function
	.set _ZN9rocsparseL20bsrxmvn_17_32_kernelILj23E21rocsparse_complex_numIdElldS2_S2_EEvT2_20rocsparse_direction_NS_24const_host_device_scalarIT0_EES3_PKS3_PKT1_SC_S9_PKT3_PKT4_S7_PT5_21rocsparse_index_base_b.num_vgpr, 29
	.set _ZN9rocsparseL20bsrxmvn_17_32_kernelILj23E21rocsparse_complex_numIdElldS2_S2_EEvT2_20rocsparse_direction_NS_24const_host_device_scalarIT0_EES3_PKS3_PKT1_SC_S9_PKT3_PKT4_S7_PT5_21rocsparse_index_base_b.num_agpr, 0
	.set _ZN9rocsparseL20bsrxmvn_17_32_kernelILj23E21rocsparse_complex_numIdElldS2_S2_EEvT2_20rocsparse_direction_NS_24const_host_device_scalarIT0_EES3_PKS3_PKT1_SC_S9_PKT3_PKT4_S7_PT5_21rocsparse_index_base_b.numbered_sgpr, 22
	.set _ZN9rocsparseL20bsrxmvn_17_32_kernelILj23E21rocsparse_complex_numIdElldS2_S2_EEvT2_20rocsparse_direction_NS_24const_host_device_scalarIT0_EES3_PKS3_PKT1_SC_S9_PKT3_PKT4_S7_PT5_21rocsparse_index_base_b.num_named_barrier, 0
	.set _ZN9rocsparseL20bsrxmvn_17_32_kernelILj23E21rocsparse_complex_numIdElldS2_S2_EEvT2_20rocsparse_direction_NS_24const_host_device_scalarIT0_EES3_PKS3_PKT1_SC_S9_PKT3_PKT4_S7_PT5_21rocsparse_index_base_b.private_seg_size, 0
	.set _ZN9rocsparseL20bsrxmvn_17_32_kernelILj23E21rocsparse_complex_numIdElldS2_S2_EEvT2_20rocsparse_direction_NS_24const_host_device_scalarIT0_EES3_PKS3_PKT1_SC_S9_PKT3_PKT4_S7_PT5_21rocsparse_index_base_b.uses_vcc, 1
	.set _ZN9rocsparseL20bsrxmvn_17_32_kernelILj23E21rocsparse_complex_numIdElldS2_S2_EEvT2_20rocsparse_direction_NS_24const_host_device_scalarIT0_EES3_PKS3_PKT1_SC_S9_PKT3_PKT4_S7_PT5_21rocsparse_index_base_b.uses_flat_scratch, 0
	.set _ZN9rocsparseL20bsrxmvn_17_32_kernelILj23E21rocsparse_complex_numIdElldS2_S2_EEvT2_20rocsparse_direction_NS_24const_host_device_scalarIT0_EES3_PKS3_PKT1_SC_S9_PKT3_PKT4_S7_PT5_21rocsparse_index_base_b.has_dyn_sized_stack, 0
	.set _ZN9rocsparseL20bsrxmvn_17_32_kernelILj23E21rocsparse_complex_numIdElldS2_S2_EEvT2_20rocsparse_direction_NS_24const_host_device_scalarIT0_EES3_PKS3_PKT1_SC_S9_PKT3_PKT4_S7_PT5_21rocsparse_index_base_b.has_recursion, 0
	.set _ZN9rocsparseL20bsrxmvn_17_32_kernelILj23E21rocsparse_complex_numIdElldS2_S2_EEvT2_20rocsparse_direction_NS_24const_host_device_scalarIT0_EES3_PKS3_PKT1_SC_S9_PKT3_PKT4_S7_PT5_21rocsparse_index_base_b.has_indirect_call, 0
	.section	.AMDGPU.csdata,"",@progbits
; Kernel info:
; codeLenInByte = 1732
; TotalNumSgprs: 26
; NumVgprs: 29
; ScratchSize: 0
; MemoryBound: 1
; FloatMode: 240
; IeeeMode: 1
; LDSByteSize: 8464 bytes/workgroup (compile time only)
; SGPRBlocks: 8
; VGPRBlocks: 7
; NumSGPRsForWavesPerEU: 65
; NumVGPRsForWavesPerEU: 29
; Occupancy: 8
; WaveLimiterHint : 1
; COMPUTE_PGM_RSRC2:SCRATCH_EN: 0
; COMPUTE_PGM_RSRC2:USER_SGPR: 6
; COMPUTE_PGM_RSRC2:TRAP_HANDLER: 0
; COMPUTE_PGM_RSRC2:TGID_X_EN: 1
; COMPUTE_PGM_RSRC2:TGID_Y_EN: 0
; COMPUTE_PGM_RSRC2:TGID_Z_EN: 0
; COMPUTE_PGM_RSRC2:TIDIG_COMP_CNT: 0
	.section	.text._ZN9rocsparseL20bsrxmvn_17_32_kernelILj24E21rocsparse_complex_numIdElldS2_S2_EEvT2_20rocsparse_direction_NS_24const_host_device_scalarIT0_EES3_PKS3_PKT1_SC_S9_PKT3_PKT4_S7_PT5_21rocsparse_index_base_b,"axG",@progbits,_ZN9rocsparseL20bsrxmvn_17_32_kernelILj24E21rocsparse_complex_numIdElldS2_S2_EEvT2_20rocsparse_direction_NS_24const_host_device_scalarIT0_EES3_PKS3_PKT1_SC_S9_PKT3_PKT4_S7_PT5_21rocsparse_index_base_b,comdat
	.globl	_ZN9rocsparseL20bsrxmvn_17_32_kernelILj24E21rocsparse_complex_numIdElldS2_S2_EEvT2_20rocsparse_direction_NS_24const_host_device_scalarIT0_EES3_PKS3_PKT1_SC_S9_PKT3_PKT4_S7_PT5_21rocsparse_index_base_b ; -- Begin function _ZN9rocsparseL20bsrxmvn_17_32_kernelILj24E21rocsparse_complex_numIdElldS2_S2_EEvT2_20rocsparse_direction_NS_24const_host_device_scalarIT0_EES3_PKS3_PKT1_SC_S9_PKT3_PKT4_S7_PT5_21rocsparse_index_base_b
	.p2align	8
	.type	_ZN9rocsparseL20bsrxmvn_17_32_kernelILj24E21rocsparse_complex_numIdElldS2_S2_EEvT2_20rocsparse_direction_NS_24const_host_device_scalarIT0_EES3_PKS3_PKT1_SC_S9_PKT3_PKT4_S7_PT5_21rocsparse_index_base_b,@function
_ZN9rocsparseL20bsrxmvn_17_32_kernelILj24E21rocsparse_complex_numIdElldS2_S2_EEvT2_20rocsparse_direction_NS_24const_host_device_scalarIT0_EES3_PKS3_PKT1_SC_S9_PKT3_PKT4_S7_PT5_21rocsparse_index_base_b: ; @_ZN9rocsparseL20bsrxmvn_17_32_kernelILj24E21rocsparse_complex_numIdElldS2_S2_EEvT2_20rocsparse_direction_NS_24const_host_device_scalarIT0_EES3_PKS3_PKT1_SC_S9_PKT3_PKT4_S7_PT5_21rocsparse_index_base_b
; %bb.0:
	s_load_dwordx2 s[0:1], s[4:5], 0x10
	s_load_dwordx2 s[14:15], s[4:5], 0x70
	s_add_u32 s7, s4, 16
	s_addc_u32 s8, s5, 0
	s_add_u32 s9, s4, 0x58
	s_addc_u32 s10, s5, 0
	s_waitcnt lgkmcnt(0)
	s_bitcmp1_b32 s15, 0
	s_cselect_b32 s1, s8, s1
	s_cselect_b32 s0, s7, s0
	v_mov_b32_e32 v1, s0
	v_mov_b32_e32 v2, s1
	flat_load_dwordx4 v[5:8], v[1:2]
	s_load_dwordx2 s[2:3], s[4:5], 0x58
	s_waitcnt lgkmcnt(0)
	s_cselect_b32 s0, s10, s3
	s_cselect_b32 s1, s9, s2
	v_mov_b32_e32 v1, s1
	v_mov_b32_e32 v2, s0
	flat_load_dwordx4 v[1:4], v[1:2]
	s_waitcnt vmcnt(0)
	v_cmp_eq_f64_e32 vcc, 0, v[5:6]
	v_cmp_eq_f64_e64 s[0:1], 0, v[7:8]
	s_and_b64 s[8:9], vcc, s[0:1]
	s_mov_b64 s[0:1], -1
	s_and_saveexec_b64 s[2:3], s[8:9]
	s_cbranch_execz .LBB471_2
; %bb.1:
	s_waitcnt lgkmcnt(0)
	v_cmp_neq_f64_e32 vcc, 1.0, v[1:2]
	v_cmp_neq_f64_e64 s[0:1], 0, v[3:4]
	s_or_b64 s[0:1], vcc, s[0:1]
	s_orn2_b64 s[0:1], s[0:1], exec
.LBB471_2:
	s_or_b64 exec, exec, s[2:3]
	s_and_saveexec_b64 s[2:3], s[0:1]
	s_cbranch_execz .LBB471_39
; %bb.3:
	s_load_dwordx4 s[0:3], s[4:5], 0x28
	s_load_dwordx2 s[8:9], s[4:5], 0x38
	s_mov_b32 s7, 0
	s_waitcnt lgkmcnt(0)
	s_cmp_eq_u64 s[0:1], 0
	s_cbranch_scc1 .LBB471_5
; %bb.4:
	s_lshl_b64 s[6:7], s[6:7], 3
	s_add_u32 s0, s0, s6
	s_addc_u32 s1, s1, s7
	s_load_dwordx2 s[0:1], s[0:1], 0x0
	s_waitcnt lgkmcnt(0)
	s_sub_u32 s6, s0, s14
	s_subb_u32 s7, s1, 0
.LBB471_5:
	s_load_dword s10, s[4:5], 0x8
	s_load_dwordx2 s[12:13], s[4:5], 0x68
	v_mul_u32_u24_e32 v14, 0xaab, v0
	v_mov_b32_e32 v9, 24
	v_mul_lo_u16_sdwa v9, v14, v9 dst_sel:DWORD dst_unused:UNUSED_PAD src0_sel:WORD_1 src1_sel:DWORD
	s_waitcnt lgkmcnt(0)
	s_cmp_eq_u32 s10, 1
	s_cselect_b64 s[0:1], -1, 0
	s_cmp_lg_u32 s10, 1
	s_cselect_b64 s[16:17], -1, 0
	s_lshl_b64 s[10:11], s[6:7], 3
	s_add_u32 s20, s2, s10
	s_addc_u32 s21, s3, s11
	s_add_u32 s2, s20, 8
	s_addc_u32 s3, s21, 0
	;; [unrolled: 2-line block ×3, first 2 shown]
	s_cmp_eq_u64 s[8:9], 0
	s_cselect_b32 s9, s3, s11
	s_cselect_b32 s8, s2, s10
	s_load_dwordx2 s[2:3], s[8:9], 0x0
	s_load_dwordx2 s[18:19], s[20:21], 0x0
	v_sub_u16_e32 v21, v0, v9
	v_mov_b32_e32 v11, 0
	v_mov_b32_e32 v13, 0
	s_waitcnt lgkmcnt(0)
	v_mov_b32_e32 v10, s3
	v_mov_b32_e32 v9, s2
	v_cmp_ge_i64_e32 vcc, s[18:19], v[9:10]
	v_mov_b32_e32 v9, 0
	v_mov_b32_e32 v12, 0
	;; [unrolled: 1-line block ×3, first 2 shown]
	s_cbranch_vccnz .LBB471_10
; %bb.6:
	s_load_dwordx2 s[20:21], s[4:5], 0x50
	s_load_dwordx4 s[8:11], s[4:5], 0x40
	s_mov_b32 s4, 0xffff
	s_movk_i32 s5, 0x240
	v_and_b32_sdwa v9, s4, v14 dst_sel:DWORD dst_unused:UNUSED_PAD src0_sel:DWORD src1_sel:WORD_1
	s_sub_u32 s2, s2, s14
	v_subrev_u32_e32 v10, 24, v9
	v_cmp_gt_u32_e32 vcc, s5, v0
	s_subb_u32 s3, s3, 0
	v_cndmask_b32_e32 v9, v10, v9, vcc
	s_sub_u32 s4, s18, s14
	v_cndmask_b32_e64 v12, v21, v9, s[0:1]
	s_subb_u32 s5, s19, 0
	v_lshlrev_b64 v[9:10], 4, v[12:13]
	s_mul_i32 s0, s5, 0x1200
	s_mul_hi_u32 s1, s4, 0x1200
	s_add_i32 s1, s1, s0
	s_mul_i32 s0, s4, 0x1200
	s_waitcnt lgkmcnt(0)
	v_mov_b32_e32 v11, s21
	v_add_co_u32_e32 v13, vcc, s20, v9
	s_add_u32 s0, s10, s0
	v_addc_co_u32_e32 v14, vcc, v11, v10, vcc
	s_addc_u32 s1, s11, s1
	v_lshlrev_b32_e32 v9, 3, v0
	v_mov_b32_e32 v10, s1
	v_add_co_u32_e32 v15, vcc, s0, v9
	v_addc_co_u32_e32 v16, vcc, 0, v10, vcc
	s_movk_i32 s0, 0x23f
	v_cmp_lt_u32_e32 vcc, s0, v0
	v_cndmask_b32_e64 v22, 0, 1, vcc
	v_mov_b32_e32 v9, s19
	v_add_co_u32_e32 v10, vcc, s18, v22
	v_addc_co_u32_e32 v11, vcc, 0, v9, vcc
	v_subrev_co_u32_e32 v9, vcc, s14, v10
	v_subbrev_co_u32_e32 v10, vcc, 0, v11, vcc
	v_lshlrev_b64 v[9:10], 3, v[9:10]
	v_mov_b32_e32 v11, s9
	v_add_co_u32_e32 v17, vcc, s8, v9
	v_addc_co_u32_e32 v18, vcc, v11, v10, vcc
	v_mov_b32_e32 v11, 0
	v_mov_b32_e32 v12, 0
	s_mov_b32 s8, 0
	v_mov_b32_e32 v20, s3
	v_mov_b32_e32 v9, v11
	s_movk_i32 s10, 0x180
	s_brev_b32 s9, 1
	v_mov_b32_e32 v19, s2
	v_mov_b32_e32 v10, v12
	s_branch .LBB471_8
.LBB471_7:                              ;   in Loop: Header=BB471_8 Depth=1
	s_or_b64 exec, exec, s[0:1]
	s_add_u32 s4, s4, 1
	s_addc_u32 s5, s5, 0
	v_cmp_lt_i64_e32 vcc, s[4:5], v[19:20]
	v_add_co_u32_e64 v17, s[0:1], 8, v17
	v_addc_co_u32_e64 v18, s[0:1], 0, v18, s[0:1]
	s_cbranch_vccz .LBB471_10
.LBB471_8:                              ; =>This Inner Loop Header: Depth=1
	v_mov_b32_e32 v24, s5
	v_add_co_u32_e32 v23, vcc, s4, v22
	v_addc_co_u32_e32 v24, vcc, 0, v24, vcc
	v_cmp_gt_i64_e32 vcc, s[2:3], v[23:24]
	s_and_saveexec_b64 s[0:1], vcc
	s_cbranch_execz .LBB471_7
; %bb.9:                                ;   in Loop: Header=BB471_8 Depth=1
	global_load_dwordx2 v[23:24], v[17:18], off
	s_waitcnt vmcnt(0)
	v_subrev_co_u32_e32 v23, vcc, s14, v23
	v_subbrev_co_u32_e32 v25, vcc, 0, v24, vcc
	v_mad_u64_u32 v[23:24], s[18:19], v23, s10, v[13:14]
	v_mad_u64_u32 v[24:25], s[18:19], v25, s10, v[24:25]
	global_load_dwordx2 v[27:28], v[15:16], off
	s_nop 0
	global_load_dwordx4 v[23:26], v[23:24], off
	v_add_co_u32_e32 v15, vcc, 0x1200, v15
	v_addc_co_u32_e32 v16, vcc, 0, v16, vcc
	s_waitcnt vmcnt(0)
	v_fma_f64 v[9:10], v[27:28], v[23:24], v[9:10]
	v_fma_f64 v[11:12], v[23:24], 0, v[11:12]
	;; [unrolled: 1-line block ×4, first 2 shown]
	s_branch .LBB471_7
.LBB471_10:
	v_lshlrev_b32_e32 v17, 4, v0
	s_and_b64 vcc, exec, s[16:17]
	ds_write_b128 v17, v[9:12]
	s_waitcnt lgkmcnt(0)
	s_barrier
	s_cbranch_vccz .LBB471_22
; %bb.11:
	v_cmp_gt_u16_e32 vcc, 8, v21
	s_and_saveexec_b64 s[0:1], vcc
	s_cbranch_execz .LBB471_13
; %bb.12:
	ds_read_b128 v[13:16], v17 offset:256
	ds_read_b128 v[22:25], v17
	s_waitcnt lgkmcnt(0)
	v_add_f64 v[13:14], v[13:14], v[22:23]
	v_add_f64 v[15:16], v[15:16], v[24:25]
	ds_write_b128 v17, v[13:16]
.LBB471_13:
	s_or_b64 exec, exec, s[0:1]
	s_waitcnt lgkmcnt(0)
	s_barrier
	s_and_saveexec_b64 s[0:1], vcc
	s_cbranch_execz .LBB471_15
; %bb.14:
	ds_read_b128 v[13:16], v17 offset:128
	ds_read_b128 v[22:25], v17
	s_waitcnt lgkmcnt(0)
	v_add_f64 v[13:14], v[13:14], v[22:23]
	v_add_f64 v[15:16], v[15:16], v[24:25]
	ds_write_b128 v17, v[13:16]
.LBB471_15:
	s_or_b64 exec, exec, s[0:1]
	v_cmp_gt_u16_e32 vcc, 4, v21
	s_waitcnt lgkmcnt(0)
	s_barrier
	s_and_saveexec_b64 s[0:1], vcc
	s_cbranch_execz .LBB471_17
; %bb.16:
	ds_read_b128 v[13:16], v17 offset:64
	ds_read_b128 v[22:25], v17
	s_waitcnt lgkmcnt(0)
	v_add_f64 v[13:14], v[13:14], v[22:23]
	v_add_f64 v[15:16], v[15:16], v[24:25]
	ds_write_b128 v17, v[13:16]
.LBB471_17:
	s_or_b64 exec, exec, s[0:1]
	v_cmp_gt_u16_e32 vcc, 2, v21
	s_waitcnt lgkmcnt(0)
	s_barrier
	s_and_saveexec_b64 s[0:1], vcc
	s_cbranch_execz .LBB471_19
; %bb.18:
	ds_read_b128 v[13:16], v17
	ds_read_b128 v[18:21], v17 offset:32
	s_waitcnt lgkmcnt(0)
	v_add_f64 v[13:14], v[18:19], v[13:14]
	v_add_f64 v[15:16], v[20:21], v[15:16]
	ds_write_b128 v17, v[13:16]
.LBB471_19:
	s_or_b64 exec, exec, s[0:1]
	v_mov_b32_e32 v16, v12
	v_mov_b32_e32 v14, v10
	v_cmp_gt_u32_e32 vcc, 24, v0
	v_mov_b32_e32 v15, v11
	v_mov_b32_e32 v13, v9
	s_waitcnt lgkmcnt(0)
	s_barrier
	s_and_saveexec_b64 s[0:1], vcc
	s_cbranch_execz .LBB471_21
; %bb.20:
	s_movk_i32 s2, 0x170
	v_mad_u32_u24 v18, v0, s2, v17
	ds_read_b128 v[13:16], v18
	ds_read_b128 v[18:21], v18 offset:16
	s_waitcnt lgkmcnt(0)
	v_add_f64 v[13:14], v[18:19], v[13:14]
	v_add_f64 v[15:16], v[20:21], v[15:16]
.LBB471_21:
	s_or_b64 exec, exec, s[0:1]
	s_branch .LBB471_34
.LBB471_22:
                                        ; implicit-def: $vgpr15_vgpr16
                                        ; implicit-def: $vgpr13_vgpr14
	s_cbranch_execz .LBB471_34
; %bb.23:
	s_movk_i32 s0, 0xc0
	v_cmp_gt_u32_e32 vcc, s0, v0
	s_and_saveexec_b64 s[0:1], vcc
	s_cbranch_execz .LBB471_25
; %bb.24:
	ds_read_b128 v[13:16], v17 offset:6144
	ds_read_b128 v[18:21], v17
	s_waitcnt lgkmcnt(0)
	v_add_f64 v[13:14], v[13:14], v[18:19]
	v_add_f64 v[15:16], v[15:16], v[20:21]
	ds_write_b128 v17, v[13:16]
.LBB471_25:
	s_or_b64 exec, exec, s[0:1]
	s_waitcnt lgkmcnt(0)
	s_barrier
	s_and_saveexec_b64 s[0:1], vcc
	s_cbranch_execz .LBB471_27
; %bb.26:
	ds_read_b128 v[13:16], v17 offset:3072
	ds_read_b128 v[18:21], v17
	s_waitcnt lgkmcnt(0)
	v_add_f64 v[13:14], v[13:14], v[18:19]
	v_add_f64 v[15:16], v[15:16], v[20:21]
	ds_write_b128 v17, v[13:16]
.LBB471_27:
	s_or_b64 exec, exec, s[0:1]
	s_movk_i32 s0, 0x60
	v_cmp_gt_u32_e32 vcc, s0, v0
	s_waitcnt lgkmcnt(0)
	s_barrier
	s_and_saveexec_b64 s[0:1], vcc
	s_cbranch_execz .LBB471_29
; %bb.28:
	ds_read_b128 v[13:16], v17 offset:1536
	ds_read_b128 v[18:21], v17
	s_waitcnt lgkmcnt(0)
	v_add_f64 v[13:14], v[13:14], v[18:19]
	v_add_f64 v[15:16], v[15:16], v[20:21]
	ds_write_b128 v17, v[13:16]
.LBB471_29:
	s_or_b64 exec, exec, s[0:1]
	v_cmp_gt_u32_e32 vcc, 48, v0
	s_waitcnt lgkmcnt(0)
	s_barrier
	s_and_saveexec_b64 s[0:1], vcc
	s_cbranch_execz .LBB471_31
; %bb.30:
	ds_read_b128 v[13:16], v17 offset:768
	ds_read_b128 v[18:21], v17
	s_waitcnt lgkmcnt(0)
	v_add_f64 v[13:14], v[13:14], v[18:19]
	v_add_f64 v[15:16], v[15:16], v[20:21]
	ds_write_b128 v17, v[13:16]
.LBB471_31:
	s_or_b64 exec, exec, s[0:1]
	v_cmp_gt_u32_e32 vcc, 24, v0
	s_waitcnt lgkmcnt(0)
	s_and_saveexec_b64 s[0:1], vcc
	s_cbranch_execz .LBB471_33
; %bb.32:
	ds_read_b128 v[9:12], v17 offset:384
	ds_read_b128 v[13:16], v17
	s_waitcnt lgkmcnt(0)
	v_add_f64 v[9:10], v[9:10], v[13:14]
	v_add_f64 v[11:12], v[11:12], v[15:16]
.LBB471_33:
	s_or_b64 exec, exec, s[0:1]
	v_mov_b32_e32 v16, v12
	v_mov_b32_e32 v14, v10
	;; [unrolled: 1-line block ×4, first 2 shown]
.LBB471_34:
	v_cmp_gt_u32_e32 vcc, 24, v0
	s_and_b64 exec, exec, vcc
	s_cbranch_execz .LBB471_39
; %bb.35:
	v_mul_f64 v[9:10], v[15:16], -v[7:8]
	v_mul_f64 v[11:12], v[5:6], v[15:16]
	v_cmp_eq_f64_e32 vcc, 0, v[1:2]
	v_cmp_eq_f64_e64 s[0:1], 0, v[3:4]
	s_mul_i32 s2, s7, 0x180
	s_mul_hi_u32 s3, s6, 0x180
	s_mul_i32 s4, s6, 0x180
	v_fma_f64 v[5:6], v[5:6], v[13:14], v[9:10]
	v_fma_f64 v[7:8], v[7:8], v[13:14], v[11:12]
	s_and_b64 s[0:1], vcc, s[0:1]
	s_and_saveexec_b64 s[6:7], s[0:1]
	s_xor_b64 s[0:1], exec, s[6:7]
	s_cbranch_execz .LBB471_37
; %bb.36:
	s_add_i32 s5, s3, s2
	s_add_u32 s6, s12, s4
	s_addc_u32 s7, s13, s5
	global_store_dwordx4 v17, v[5:8], s[6:7]
                                        ; implicit-def: $vgpr17
                                        ; implicit-def: $vgpr1_vgpr2
                                        ; implicit-def: $vgpr5_vgpr6
.LBB471_37:
	s_andn2_saveexec_b64 s[0:1], s[0:1]
	s_cbranch_execz .LBB471_39
; %bb.38:
	s_add_i32 s3, s3, s2
	s_add_u32 s0, s12, s4
	s_addc_u32 s1, s13, s3
	global_load_dwordx4 v[9:12], v17, s[0:1]
	s_waitcnt vmcnt(0)
	v_fma_f64 v[5:6], v[1:2], v[9:10], v[5:6]
	v_fma_f64 v[7:8], v[3:4], v[9:10], v[7:8]
	v_fma_f64 v[3:4], -v[3:4], v[11:12], v[5:6]
	v_fma_f64 v[5:6], v[1:2], v[11:12], v[7:8]
	global_store_dwordx4 v17, v[3:6], s[0:1]
.LBB471_39:
	s_endpgm
	.section	.rodata,"a",@progbits
	.p2align	6, 0x0
	.amdhsa_kernel _ZN9rocsparseL20bsrxmvn_17_32_kernelILj24E21rocsparse_complex_numIdElldS2_S2_EEvT2_20rocsparse_direction_NS_24const_host_device_scalarIT0_EES3_PKS3_PKT1_SC_S9_PKT3_PKT4_S7_PT5_21rocsparse_index_base_b
		.amdhsa_group_segment_fixed_size 9216
		.amdhsa_private_segment_fixed_size 0
		.amdhsa_kernarg_size 120
		.amdhsa_user_sgpr_count 6
		.amdhsa_user_sgpr_private_segment_buffer 1
		.amdhsa_user_sgpr_dispatch_ptr 0
		.amdhsa_user_sgpr_queue_ptr 0
		.amdhsa_user_sgpr_kernarg_segment_ptr 1
		.amdhsa_user_sgpr_dispatch_id 0
		.amdhsa_user_sgpr_flat_scratch_init 0
		.amdhsa_user_sgpr_private_segment_size 0
		.amdhsa_uses_dynamic_stack 0
		.amdhsa_system_sgpr_private_segment_wavefront_offset 0
		.amdhsa_system_sgpr_workgroup_id_x 1
		.amdhsa_system_sgpr_workgroup_id_y 0
		.amdhsa_system_sgpr_workgroup_id_z 0
		.amdhsa_system_sgpr_workgroup_info 0
		.amdhsa_system_vgpr_workitem_id 0
		.amdhsa_next_free_vgpr 29
		.amdhsa_next_free_sgpr 61
		.amdhsa_reserve_vcc 1
		.amdhsa_reserve_flat_scratch 0
		.amdhsa_float_round_mode_32 0
		.amdhsa_float_round_mode_16_64 0
		.amdhsa_float_denorm_mode_32 3
		.amdhsa_float_denorm_mode_16_64 3
		.amdhsa_dx10_clamp 1
		.amdhsa_ieee_mode 1
		.amdhsa_fp16_overflow 0
		.amdhsa_exception_fp_ieee_invalid_op 0
		.amdhsa_exception_fp_denorm_src 0
		.amdhsa_exception_fp_ieee_div_zero 0
		.amdhsa_exception_fp_ieee_overflow 0
		.amdhsa_exception_fp_ieee_underflow 0
		.amdhsa_exception_fp_ieee_inexact 0
		.amdhsa_exception_int_div_zero 0
	.end_amdhsa_kernel
	.section	.text._ZN9rocsparseL20bsrxmvn_17_32_kernelILj24E21rocsparse_complex_numIdElldS2_S2_EEvT2_20rocsparse_direction_NS_24const_host_device_scalarIT0_EES3_PKS3_PKT1_SC_S9_PKT3_PKT4_S7_PT5_21rocsparse_index_base_b,"axG",@progbits,_ZN9rocsparseL20bsrxmvn_17_32_kernelILj24E21rocsparse_complex_numIdElldS2_S2_EEvT2_20rocsparse_direction_NS_24const_host_device_scalarIT0_EES3_PKS3_PKT1_SC_S9_PKT3_PKT4_S7_PT5_21rocsparse_index_base_b,comdat
.Lfunc_end471:
	.size	_ZN9rocsparseL20bsrxmvn_17_32_kernelILj24E21rocsparse_complex_numIdElldS2_S2_EEvT2_20rocsparse_direction_NS_24const_host_device_scalarIT0_EES3_PKS3_PKT1_SC_S9_PKT3_PKT4_S7_PT5_21rocsparse_index_base_b, .Lfunc_end471-_ZN9rocsparseL20bsrxmvn_17_32_kernelILj24E21rocsparse_complex_numIdElldS2_S2_EEvT2_20rocsparse_direction_NS_24const_host_device_scalarIT0_EES3_PKS3_PKT1_SC_S9_PKT3_PKT4_S7_PT5_21rocsparse_index_base_b
                                        ; -- End function
	.set _ZN9rocsparseL20bsrxmvn_17_32_kernelILj24E21rocsparse_complex_numIdElldS2_S2_EEvT2_20rocsparse_direction_NS_24const_host_device_scalarIT0_EES3_PKS3_PKT1_SC_S9_PKT3_PKT4_S7_PT5_21rocsparse_index_base_b.num_vgpr, 29
	.set _ZN9rocsparseL20bsrxmvn_17_32_kernelILj24E21rocsparse_complex_numIdElldS2_S2_EEvT2_20rocsparse_direction_NS_24const_host_device_scalarIT0_EES3_PKS3_PKT1_SC_S9_PKT3_PKT4_S7_PT5_21rocsparse_index_base_b.num_agpr, 0
	.set _ZN9rocsparseL20bsrxmvn_17_32_kernelILj24E21rocsparse_complex_numIdElldS2_S2_EEvT2_20rocsparse_direction_NS_24const_host_device_scalarIT0_EES3_PKS3_PKT1_SC_S9_PKT3_PKT4_S7_PT5_21rocsparse_index_base_b.numbered_sgpr, 22
	.set _ZN9rocsparseL20bsrxmvn_17_32_kernelILj24E21rocsparse_complex_numIdElldS2_S2_EEvT2_20rocsparse_direction_NS_24const_host_device_scalarIT0_EES3_PKS3_PKT1_SC_S9_PKT3_PKT4_S7_PT5_21rocsparse_index_base_b.num_named_barrier, 0
	.set _ZN9rocsparseL20bsrxmvn_17_32_kernelILj24E21rocsparse_complex_numIdElldS2_S2_EEvT2_20rocsparse_direction_NS_24const_host_device_scalarIT0_EES3_PKS3_PKT1_SC_S9_PKT3_PKT4_S7_PT5_21rocsparse_index_base_b.private_seg_size, 0
	.set _ZN9rocsparseL20bsrxmvn_17_32_kernelILj24E21rocsparse_complex_numIdElldS2_S2_EEvT2_20rocsparse_direction_NS_24const_host_device_scalarIT0_EES3_PKS3_PKT1_SC_S9_PKT3_PKT4_S7_PT5_21rocsparse_index_base_b.uses_vcc, 1
	.set _ZN9rocsparseL20bsrxmvn_17_32_kernelILj24E21rocsparse_complex_numIdElldS2_S2_EEvT2_20rocsparse_direction_NS_24const_host_device_scalarIT0_EES3_PKS3_PKT1_SC_S9_PKT3_PKT4_S7_PT5_21rocsparse_index_base_b.uses_flat_scratch, 0
	.set _ZN9rocsparseL20bsrxmvn_17_32_kernelILj24E21rocsparse_complex_numIdElldS2_S2_EEvT2_20rocsparse_direction_NS_24const_host_device_scalarIT0_EES3_PKS3_PKT1_SC_S9_PKT3_PKT4_S7_PT5_21rocsparse_index_base_b.has_dyn_sized_stack, 0
	.set _ZN9rocsparseL20bsrxmvn_17_32_kernelILj24E21rocsparse_complex_numIdElldS2_S2_EEvT2_20rocsparse_direction_NS_24const_host_device_scalarIT0_EES3_PKS3_PKT1_SC_S9_PKT3_PKT4_S7_PT5_21rocsparse_index_base_b.has_recursion, 0
	.set _ZN9rocsparseL20bsrxmvn_17_32_kernelILj24E21rocsparse_complex_numIdElldS2_S2_EEvT2_20rocsparse_direction_NS_24const_host_device_scalarIT0_EES3_PKS3_PKT1_SC_S9_PKT3_PKT4_S7_PT5_21rocsparse_index_base_b.has_indirect_call, 0
	.section	.AMDGPU.csdata,"",@progbits
; Kernel info:
; codeLenInByte = 1720
; TotalNumSgprs: 26
; NumVgprs: 29
; ScratchSize: 0
; MemoryBound: 1
; FloatMode: 240
; IeeeMode: 1
; LDSByteSize: 9216 bytes/workgroup (compile time only)
; SGPRBlocks: 8
; VGPRBlocks: 7
; NumSGPRsForWavesPerEU: 65
; NumVGPRsForWavesPerEU: 29
; Occupancy: 8
; WaveLimiterHint : 1
; COMPUTE_PGM_RSRC2:SCRATCH_EN: 0
; COMPUTE_PGM_RSRC2:USER_SGPR: 6
; COMPUTE_PGM_RSRC2:TRAP_HANDLER: 0
; COMPUTE_PGM_RSRC2:TGID_X_EN: 1
; COMPUTE_PGM_RSRC2:TGID_Y_EN: 0
; COMPUTE_PGM_RSRC2:TGID_Z_EN: 0
; COMPUTE_PGM_RSRC2:TIDIG_COMP_CNT: 0
	.section	.text._ZN9rocsparseL20bsrxmvn_17_32_kernelILj25E21rocsparse_complex_numIdElldS2_S2_EEvT2_20rocsparse_direction_NS_24const_host_device_scalarIT0_EES3_PKS3_PKT1_SC_S9_PKT3_PKT4_S7_PT5_21rocsparse_index_base_b,"axG",@progbits,_ZN9rocsparseL20bsrxmvn_17_32_kernelILj25E21rocsparse_complex_numIdElldS2_S2_EEvT2_20rocsparse_direction_NS_24const_host_device_scalarIT0_EES3_PKS3_PKT1_SC_S9_PKT3_PKT4_S7_PT5_21rocsparse_index_base_b,comdat
	.globl	_ZN9rocsparseL20bsrxmvn_17_32_kernelILj25E21rocsparse_complex_numIdElldS2_S2_EEvT2_20rocsparse_direction_NS_24const_host_device_scalarIT0_EES3_PKS3_PKT1_SC_S9_PKT3_PKT4_S7_PT5_21rocsparse_index_base_b ; -- Begin function _ZN9rocsparseL20bsrxmvn_17_32_kernelILj25E21rocsparse_complex_numIdElldS2_S2_EEvT2_20rocsparse_direction_NS_24const_host_device_scalarIT0_EES3_PKS3_PKT1_SC_S9_PKT3_PKT4_S7_PT5_21rocsparse_index_base_b
	.p2align	8
	.type	_ZN9rocsparseL20bsrxmvn_17_32_kernelILj25E21rocsparse_complex_numIdElldS2_S2_EEvT2_20rocsparse_direction_NS_24const_host_device_scalarIT0_EES3_PKS3_PKT1_SC_S9_PKT3_PKT4_S7_PT5_21rocsparse_index_base_b,@function
_ZN9rocsparseL20bsrxmvn_17_32_kernelILj25E21rocsparse_complex_numIdElldS2_S2_EEvT2_20rocsparse_direction_NS_24const_host_device_scalarIT0_EES3_PKS3_PKT1_SC_S9_PKT3_PKT4_S7_PT5_21rocsparse_index_base_b: ; @_ZN9rocsparseL20bsrxmvn_17_32_kernelILj25E21rocsparse_complex_numIdElldS2_S2_EEvT2_20rocsparse_direction_NS_24const_host_device_scalarIT0_EES3_PKS3_PKT1_SC_S9_PKT3_PKT4_S7_PT5_21rocsparse_index_base_b
; %bb.0:
	s_load_dwordx2 s[0:1], s[4:5], 0x10
	s_load_dwordx2 s[14:15], s[4:5], 0x70
	s_add_u32 s7, s4, 16
	s_addc_u32 s8, s5, 0
	s_add_u32 s9, s4, 0x58
	s_addc_u32 s10, s5, 0
	s_waitcnt lgkmcnt(0)
	s_bitcmp1_b32 s15, 0
	s_cselect_b32 s1, s8, s1
	s_cselect_b32 s0, s7, s0
	v_mov_b32_e32 v1, s0
	v_mov_b32_e32 v2, s1
	flat_load_dwordx4 v[5:8], v[1:2]
	s_load_dwordx2 s[2:3], s[4:5], 0x58
	s_waitcnt lgkmcnt(0)
	s_cselect_b32 s0, s10, s3
	s_cselect_b32 s1, s9, s2
	v_mov_b32_e32 v1, s1
	v_mov_b32_e32 v2, s0
	flat_load_dwordx4 v[1:4], v[1:2]
	s_waitcnt vmcnt(0)
	v_cmp_eq_f64_e32 vcc, 0, v[5:6]
	v_cmp_eq_f64_e64 s[0:1], 0, v[7:8]
	s_and_b64 s[8:9], vcc, s[0:1]
	s_mov_b64 s[0:1], -1
	s_and_saveexec_b64 s[2:3], s[8:9]
	s_cbranch_execz .LBB472_2
; %bb.1:
	s_waitcnt lgkmcnt(0)
	v_cmp_neq_f64_e32 vcc, 1.0, v[1:2]
	v_cmp_neq_f64_e64 s[0:1], 0, v[3:4]
	s_or_b64 s[0:1], vcc, s[0:1]
	s_orn2_b64 s[0:1], s[0:1], exec
.LBB472_2:
	s_or_b64 exec, exec, s[2:3]
	s_and_saveexec_b64 s[2:3], s[0:1]
	s_cbranch_execz .LBB472_39
; %bb.3:
	s_load_dwordx4 s[0:3], s[4:5], 0x28
	s_load_dwordx2 s[8:9], s[4:5], 0x38
	s_mov_b32 s7, 0
	s_waitcnt lgkmcnt(0)
	s_cmp_eq_u64 s[0:1], 0
	s_cbranch_scc1 .LBB472_5
; %bb.4:
	s_lshl_b64 s[6:7], s[6:7], 3
	s_add_u32 s0, s0, s6
	s_addc_u32 s1, s1, s7
	s_load_dwordx2 s[0:1], s[0:1], 0x0
	s_waitcnt lgkmcnt(0)
	s_sub_u32 s6, s0, s14
	s_subb_u32 s7, s1, 0
.LBB472_5:
	s_load_dword s10, s[4:5], 0x8
	s_load_dwordx2 s[12:13], s[4:5], 0x68
	v_mul_u32_u24_e32 v14, 0xa3e, v0
	v_mov_b32_e32 v9, 25
	v_mul_lo_u16_sdwa v9, v14, v9 dst_sel:DWORD dst_unused:UNUSED_PAD src0_sel:WORD_1 src1_sel:DWORD
	s_waitcnt lgkmcnt(0)
	s_cmp_eq_u32 s10, 1
	s_cselect_b64 s[0:1], -1, 0
	s_cmp_lg_u32 s10, 1
	s_cselect_b64 s[16:17], -1, 0
	s_lshl_b64 s[10:11], s[6:7], 3
	s_add_u32 s20, s2, s10
	s_addc_u32 s21, s3, s11
	s_add_u32 s2, s20, 8
	s_addc_u32 s3, s21, 0
	;; [unrolled: 2-line block ×3, first 2 shown]
	s_cmp_eq_u64 s[8:9], 0
	s_cselect_b32 s9, s3, s11
	s_cselect_b32 s8, s2, s10
	s_load_dwordx2 s[2:3], s[8:9], 0x0
	s_load_dwordx2 s[18:19], s[20:21], 0x0
	v_sub_u16_e32 v21, v0, v9
	v_mov_b32_e32 v11, 0
	v_mov_b32_e32 v13, 0
	s_waitcnt lgkmcnt(0)
	v_mov_b32_e32 v10, s3
	v_mov_b32_e32 v9, s2
	v_cmp_ge_i64_e32 vcc, s[18:19], v[9:10]
	v_mov_b32_e32 v9, 0
	v_mov_b32_e32 v12, 0
	;; [unrolled: 1-line block ×3, first 2 shown]
	s_cbranch_vccnz .LBB472_10
; %bb.6:
	s_load_dwordx2 s[20:21], s[4:5], 0x50
	s_load_dwordx4 s[8:11], s[4:5], 0x40
	s_mov_b32 s4, 0xffff
	s_movk_i32 s5, 0x271
	v_and_b32_sdwa v9, s4, v14 dst_sel:DWORD dst_unused:UNUSED_PAD src0_sel:DWORD src1_sel:WORD_1
	s_sub_u32 s2, s2, s14
	v_subrev_u32_e32 v10, 25, v9
	v_cmp_gt_u32_e32 vcc, s5, v0
	s_subb_u32 s3, s3, 0
	v_cndmask_b32_e32 v9, v10, v9, vcc
	s_sub_u32 s4, s18, s14
	v_cndmask_b32_e64 v12, v21, v9, s[0:1]
	s_subb_u32 s5, s19, 0
	v_lshlrev_b64 v[9:10], 4, v[12:13]
	s_mul_i32 s0, s5, 0x1388
	s_mul_hi_u32 s1, s4, 0x1388
	s_add_i32 s1, s1, s0
	s_mul_i32 s0, s4, 0x1388
	s_waitcnt lgkmcnt(0)
	v_mov_b32_e32 v11, s21
	v_add_co_u32_e32 v13, vcc, s20, v9
	s_add_u32 s0, s10, s0
	v_addc_co_u32_e32 v14, vcc, v11, v10, vcc
	s_addc_u32 s1, s11, s1
	v_lshlrev_b32_e32 v9, 3, v0
	v_mov_b32_e32 v10, s1
	v_add_co_u32_e32 v15, vcc, s0, v9
	v_addc_co_u32_e32 v16, vcc, 0, v10, vcc
	s_movk_i32 s0, 0x270
	v_cmp_lt_u32_e32 vcc, s0, v0
	v_cndmask_b32_e64 v22, 0, 1, vcc
	v_mov_b32_e32 v9, s19
	v_add_co_u32_e32 v10, vcc, s18, v22
	v_addc_co_u32_e32 v11, vcc, 0, v9, vcc
	v_subrev_co_u32_e32 v9, vcc, s14, v10
	v_subbrev_co_u32_e32 v10, vcc, 0, v11, vcc
	v_lshlrev_b64 v[9:10], 3, v[9:10]
	v_mov_b32_e32 v11, s9
	v_add_co_u32_e32 v17, vcc, s8, v9
	v_addc_co_u32_e32 v18, vcc, v11, v10, vcc
	v_mov_b32_e32 v11, 0
	v_mov_b32_e32 v12, 0
	s_mov_b32 s8, 0
	v_mov_b32_e32 v20, s3
	v_mov_b32_e32 v9, v11
	s_movk_i32 s10, 0x190
	s_brev_b32 s9, 1
	v_mov_b32_e32 v19, s2
	v_mov_b32_e32 v10, v12
	s_branch .LBB472_8
.LBB472_7:                              ;   in Loop: Header=BB472_8 Depth=1
	s_or_b64 exec, exec, s[0:1]
	s_add_u32 s4, s4, 1
	s_addc_u32 s5, s5, 0
	v_cmp_lt_i64_e32 vcc, s[4:5], v[19:20]
	v_add_co_u32_e64 v17, s[0:1], 8, v17
	v_addc_co_u32_e64 v18, s[0:1], 0, v18, s[0:1]
	s_cbranch_vccz .LBB472_10
.LBB472_8:                              ; =>This Inner Loop Header: Depth=1
	v_mov_b32_e32 v24, s5
	v_add_co_u32_e32 v23, vcc, s4, v22
	v_addc_co_u32_e32 v24, vcc, 0, v24, vcc
	v_cmp_gt_i64_e32 vcc, s[2:3], v[23:24]
	s_and_saveexec_b64 s[0:1], vcc
	s_cbranch_execz .LBB472_7
; %bb.9:                                ;   in Loop: Header=BB472_8 Depth=1
	global_load_dwordx2 v[23:24], v[17:18], off
	s_waitcnt vmcnt(0)
	v_subrev_co_u32_e32 v23, vcc, s14, v23
	v_subbrev_co_u32_e32 v25, vcc, 0, v24, vcc
	v_mad_u64_u32 v[23:24], s[18:19], v23, s10, v[13:14]
	v_mad_u64_u32 v[24:25], s[18:19], v25, s10, v[24:25]
	global_load_dwordx2 v[27:28], v[15:16], off
	s_nop 0
	global_load_dwordx4 v[23:26], v[23:24], off
	v_add_co_u32_e32 v15, vcc, 0x1388, v15
	v_addc_co_u32_e32 v16, vcc, 0, v16, vcc
	s_waitcnt vmcnt(0)
	v_fma_f64 v[9:10], v[27:28], v[23:24], v[9:10]
	v_fma_f64 v[11:12], v[23:24], 0, v[11:12]
	;; [unrolled: 1-line block ×4, first 2 shown]
	s_branch .LBB472_7
.LBB472_10:
	v_lshlrev_b32_e32 v17, 4, v0
	s_and_b64 vcc, exec, s[16:17]
	ds_write_b128 v17, v[9:12]
	s_waitcnt lgkmcnt(0)
	s_barrier
	s_cbranch_vccz .LBB472_22
; %bb.11:
	v_cmp_gt_u16_e32 vcc, 9, v21
	s_and_saveexec_b64 s[0:1], vcc
	s_cbranch_execz .LBB472_13
; %bb.12:
	ds_read_b128 v[13:16], v17 offset:256
	ds_read_b128 v[22:25], v17
	s_waitcnt lgkmcnt(0)
	v_add_f64 v[13:14], v[13:14], v[22:23]
	v_add_f64 v[15:16], v[15:16], v[24:25]
	ds_write_b128 v17, v[13:16]
.LBB472_13:
	s_or_b64 exec, exec, s[0:1]
	v_cmp_gt_u16_e32 vcc, 8, v21
	s_waitcnt lgkmcnt(0)
	s_barrier
	s_and_saveexec_b64 s[0:1], vcc
	s_cbranch_execz .LBB472_15
; %bb.14:
	ds_read_b128 v[13:16], v17 offset:128
	ds_read_b128 v[22:25], v17
	s_waitcnt lgkmcnt(0)
	v_add_f64 v[13:14], v[13:14], v[22:23]
	v_add_f64 v[15:16], v[15:16], v[24:25]
	ds_write_b128 v17, v[13:16]
.LBB472_15:
	s_or_b64 exec, exec, s[0:1]
	v_cmp_gt_u16_e32 vcc, 4, v21
	s_waitcnt lgkmcnt(0)
	s_barrier
	;; [unrolled: 14-line block ×3, first 2 shown]
	s_and_saveexec_b64 s[0:1], vcc
	s_cbranch_execz .LBB472_19
; %bb.18:
	ds_read_b128 v[13:16], v17
	ds_read_b128 v[18:21], v17 offset:32
	s_waitcnt lgkmcnt(0)
	v_add_f64 v[13:14], v[18:19], v[13:14]
	v_add_f64 v[15:16], v[20:21], v[15:16]
	ds_write_b128 v17, v[13:16]
.LBB472_19:
	s_or_b64 exec, exec, s[0:1]
	v_mov_b32_e32 v16, v12
	v_mov_b32_e32 v14, v10
	v_cmp_gt_u32_e32 vcc, 25, v0
	v_mov_b32_e32 v15, v11
	v_mov_b32_e32 v13, v9
	s_waitcnt lgkmcnt(0)
	s_barrier
	s_and_saveexec_b64 s[0:1], vcc
	s_cbranch_execz .LBB472_21
; %bb.20:
	s_movk_i32 s2, 0x180
	v_mad_u32_u24 v18, v0, s2, v17
	ds_read_b128 v[13:16], v18
	ds_read_b128 v[18:21], v18 offset:16
	s_waitcnt lgkmcnt(0)
	v_add_f64 v[13:14], v[18:19], v[13:14]
	v_add_f64 v[15:16], v[20:21], v[15:16]
.LBB472_21:
	s_or_b64 exec, exec, s[0:1]
	s_branch .LBB472_34
.LBB472_22:
                                        ; implicit-def: $vgpr15_vgpr16
                                        ; implicit-def: $vgpr13_vgpr14
	s_cbranch_execz .LBB472_34
; %bb.23:
	s_movk_i32 s0, 0xe1
	v_cmp_gt_u32_e32 vcc, s0, v0
	s_and_saveexec_b64 s[0:1], vcc
	s_cbranch_execz .LBB472_25
; %bb.24:
	ds_read_b128 v[13:16], v17 offset:6400
	ds_read_b128 v[18:21], v17
	s_waitcnt lgkmcnt(0)
	v_add_f64 v[13:14], v[13:14], v[18:19]
	v_add_f64 v[15:16], v[15:16], v[20:21]
	ds_write_b128 v17, v[13:16]
.LBB472_25:
	s_or_b64 exec, exec, s[0:1]
	s_movk_i32 s0, 0xc8
	v_cmp_gt_u32_e32 vcc, s0, v0
	s_waitcnt lgkmcnt(0)
	s_barrier
	s_and_saveexec_b64 s[0:1], vcc
	s_cbranch_execz .LBB472_27
; %bb.26:
	ds_read_b128 v[13:16], v17 offset:3200
	ds_read_b128 v[18:21], v17
	s_waitcnt lgkmcnt(0)
	v_add_f64 v[13:14], v[13:14], v[18:19]
	v_add_f64 v[15:16], v[15:16], v[20:21]
	ds_write_b128 v17, v[13:16]
.LBB472_27:
	s_or_b64 exec, exec, s[0:1]
	s_movk_i32 s0, 0x64
	v_cmp_gt_u32_e32 vcc, s0, v0
	s_waitcnt lgkmcnt(0)
	s_barrier
	s_and_saveexec_b64 s[0:1], vcc
	s_cbranch_execz .LBB472_29
; %bb.28:
	ds_read_b128 v[13:16], v17 offset:1600
	ds_read_b128 v[18:21], v17
	s_waitcnt lgkmcnt(0)
	v_add_f64 v[13:14], v[13:14], v[18:19]
	v_add_f64 v[15:16], v[15:16], v[20:21]
	ds_write_b128 v17, v[13:16]
.LBB472_29:
	s_or_b64 exec, exec, s[0:1]
	v_cmp_gt_u32_e32 vcc, 50, v0
	s_waitcnt lgkmcnt(0)
	s_barrier
	s_and_saveexec_b64 s[0:1], vcc
	s_cbranch_execz .LBB472_31
; %bb.30:
	ds_read_b128 v[13:16], v17 offset:800
	ds_read_b128 v[18:21], v17
	s_waitcnt lgkmcnt(0)
	v_add_f64 v[13:14], v[13:14], v[18:19]
	v_add_f64 v[15:16], v[15:16], v[20:21]
	ds_write_b128 v17, v[13:16]
.LBB472_31:
	s_or_b64 exec, exec, s[0:1]
	v_cmp_gt_u32_e32 vcc, 25, v0
	s_waitcnt lgkmcnt(0)
	s_and_saveexec_b64 s[0:1], vcc
	s_cbranch_execz .LBB472_33
; %bb.32:
	ds_read_b128 v[9:12], v17 offset:400
	ds_read_b128 v[13:16], v17
	s_waitcnt lgkmcnt(0)
	v_add_f64 v[9:10], v[9:10], v[13:14]
	v_add_f64 v[11:12], v[11:12], v[15:16]
.LBB472_33:
	s_or_b64 exec, exec, s[0:1]
	v_mov_b32_e32 v16, v12
	v_mov_b32_e32 v14, v10
	v_mov_b32_e32 v15, v11
	v_mov_b32_e32 v13, v9
.LBB472_34:
	v_cmp_gt_u32_e32 vcc, 25, v0
	s_and_b64 exec, exec, vcc
	s_cbranch_execz .LBB472_39
; %bb.35:
	v_mul_f64 v[9:10], v[15:16], -v[7:8]
	v_mul_f64 v[11:12], v[5:6], v[15:16]
	v_cmp_eq_f64_e32 vcc, 0, v[1:2]
	v_cmp_eq_f64_e64 s[0:1], 0, v[3:4]
	s_mul_i32 s2, s7, 0x190
	s_mul_hi_u32 s3, s6, 0x190
	s_mul_i32 s4, s6, 0x190
	v_fma_f64 v[5:6], v[5:6], v[13:14], v[9:10]
	v_fma_f64 v[7:8], v[7:8], v[13:14], v[11:12]
	s_and_b64 s[0:1], vcc, s[0:1]
	s_and_saveexec_b64 s[6:7], s[0:1]
	s_xor_b64 s[0:1], exec, s[6:7]
	s_cbranch_execz .LBB472_37
; %bb.36:
	s_add_i32 s5, s3, s2
	s_add_u32 s6, s12, s4
	s_addc_u32 s7, s13, s5
	global_store_dwordx4 v17, v[5:8], s[6:7]
                                        ; implicit-def: $vgpr17
                                        ; implicit-def: $vgpr1_vgpr2
                                        ; implicit-def: $vgpr5_vgpr6
.LBB472_37:
	s_andn2_saveexec_b64 s[0:1], s[0:1]
	s_cbranch_execz .LBB472_39
; %bb.38:
	s_add_i32 s3, s3, s2
	s_add_u32 s0, s12, s4
	s_addc_u32 s1, s13, s3
	global_load_dwordx4 v[9:12], v17, s[0:1]
	s_waitcnt vmcnt(0)
	v_fma_f64 v[5:6], v[1:2], v[9:10], v[5:6]
	v_fma_f64 v[7:8], v[3:4], v[9:10], v[7:8]
	v_fma_f64 v[3:4], -v[3:4], v[11:12], v[5:6]
	v_fma_f64 v[5:6], v[1:2], v[11:12], v[7:8]
	global_store_dwordx4 v17, v[3:6], s[0:1]
.LBB472_39:
	s_endpgm
	.section	.rodata,"a",@progbits
	.p2align	6, 0x0
	.amdhsa_kernel _ZN9rocsparseL20bsrxmvn_17_32_kernelILj25E21rocsparse_complex_numIdElldS2_S2_EEvT2_20rocsparse_direction_NS_24const_host_device_scalarIT0_EES3_PKS3_PKT1_SC_S9_PKT3_PKT4_S7_PT5_21rocsparse_index_base_b
		.amdhsa_group_segment_fixed_size 10000
		.amdhsa_private_segment_fixed_size 0
		.amdhsa_kernarg_size 120
		.amdhsa_user_sgpr_count 6
		.amdhsa_user_sgpr_private_segment_buffer 1
		.amdhsa_user_sgpr_dispatch_ptr 0
		.amdhsa_user_sgpr_queue_ptr 0
		.amdhsa_user_sgpr_kernarg_segment_ptr 1
		.amdhsa_user_sgpr_dispatch_id 0
		.amdhsa_user_sgpr_flat_scratch_init 0
		.amdhsa_user_sgpr_private_segment_size 0
		.amdhsa_uses_dynamic_stack 0
		.amdhsa_system_sgpr_private_segment_wavefront_offset 0
		.amdhsa_system_sgpr_workgroup_id_x 1
		.amdhsa_system_sgpr_workgroup_id_y 0
		.amdhsa_system_sgpr_workgroup_id_z 0
		.amdhsa_system_sgpr_workgroup_info 0
		.amdhsa_system_vgpr_workitem_id 0
		.amdhsa_next_free_vgpr 29
		.amdhsa_next_free_sgpr 22
		.amdhsa_reserve_vcc 1
		.amdhsa_reserve_flat_scratch 0
		.amdhsa_float_round_mode_32 0
		.amdhsa_float_round_mode_16_64 0
		.amdhsa_float_denorm_mode_32 3
		.amdhsa_float_denorm_mode_16_64 3
		.amdhsa_dx10_clamp 1
		.amdhsa_ieee_mode 1
		.amdhsa_fp16_overflow 0
		.amdhsa_exception_fp_ieee_invalid_op 0
		.amdhsa_exception_fp_denorm_src 0
		.amdhsa_exception_fp_ieee_div_zero 0
		.amdhsa_exception_fp_ieee_overflow 0
		.amdhsa_exception_fp_ieee_underflow 0
		.amdhsa_exception_fp_ieee_inexact 0
		.amdhsa_exception_int_div_zero 0
	.end_amdhsa_kernel
	.section	.text._ZN9rocsparseL20bsrxmvn_17_32_kernelILj25E21rocsparse_complex_numIdElldS2_S2_EEvT2_20rocsparse_direction_NS_24const_host_device_scalarIT0_EES3_PKS3_PKT1_SC_S9_PKT3_PKT4_S7_PT5_21rocsparse_index_base_b,"axG",@progbits,_ZN9rocsparseL20bsrxmvn_17_32_kernelILj25E21rocsparse_complex_numIdElldS2_S2_EEvT2_20rocsparse_direction_NS_24const_host_device_scalarIT0_EES3_PKS3_PKT1_SC_S9_PKT3_PKT4_S7_PT5_21rocsparse_index_base_b,comdat
.Lfunc_end472:
	.size	_ZN9rocsparseL20bsrxmvn_17_32_kernelILj25E21rocsparse_complex_numIdElldS2_S2_EEvT2_20rocsparse_direction_NS_24const_host_device_scalarIT0_EES3_PKS3_PKT1_SC_S9_PKT3_PKT4_S7_PT5_21rocsparse_index_base_b, .Lfunc_end472-_ZN9rocsparseL20bsrxmvn_17_32_kernelILj25E21rocsparse_complex_numIdElldS2_S2_EEvT2_20rocsparse_direction_NS_24const_host_device_scalarIT0_EES3_PKS3_PKT1_SC_S9_PKT3_PKT4_S7_PT5_21rocsparse_index_base_b
                                        ; -- End function
	.set _ZN9rocsparseL20bsrxmvn_17_32_kernelILj25E21rocsparse_complex_numIdElldS2_S2_EEvT2_20rocsparse_direction_NS_24const_host_device_scalarIT0_EES3_PKS3_PKT1_SC_S9_PKT3_PKT4_S7_PT5_21rocsparse_index_base_b.num_vgpr, 29
	.set _ZN9rocsparseL20bsrxmvn_17_32_kernelILj25E21rocsparse_complex_numIdElldS2_S2_EEvT2_20rocsparse_direction_NS_24const_host_device_scalarIT0_EES3_PKS3_PKT1_SC_S9_PKT3_PKT4_S7_PT5_21rocsparse_index_base_b.num_agpr, 0
	.set _ZN9rocsparseL20bsrxmvn_17_32_kernelILj25E21rocsparse_complex_numIdElldS2_S2_EEvT2_20rocsparse_direction_NS_24const_host_device_scalarIT0_EES3_PKS3_PKT1_SC_S9_PKT3_PKT4_S7_PT5_21rocsparse_index_base_b.numbered_sgpr, 22
	.set _ZN9rocsparseL20bsrxmvn_17_32_kernelILj25E21rocsparse_complex_numIdElldS2_S2_EEvT2_20rocsparse_direction_NS_24const_host_device_scalarIT0_EES3_PKS3_PKT1_SC_S9_PKT3_PKT4_S7_PT5_21rocsparse_index_base_b.num_named_barrier, 0
	.set _ZN9rocsparseL20bsrxmvn_17_32_kernelILj25E21rocsparse_complex_numIdElldS2_S2_EEvT2_20rocsparse_direction_NS_24const_host_device_scalarIT0_EES3_PKS3_PKT1_SC_S9_PKT3_PKT4_S7_PT5_21rocsparse_index_base_b.private_seg_size, 0
	.set _ZN9rocsparseL20bsrxmvn_17_32_kernelILj25E21rocsparse_complex_numIdElldS2_S2_EEvT2_20rocsparse_direction_NS_24const_host_device_scalarIT0_EES3_PKS3_PKT1_SC_S9_PKT3_PKT4_S7_PT5_21rocsparse_index_base_b.uses_vcc, 1
	.set _ZN9rocsparseL20bsrxmvn_17_32_kernelILj25E21rocsparse_complex_numIdElldS2_S2_EEvT2_20rocsparse_direction_NS_24const_host_device_scalarIT0_EES3_PKS3_PKT1_SC_S9_PKT3_PKT4_S7_PT5_21rocsparse_index_base_b.uses_flat_scratch, 0
	.set _ZN9rocsparseL20bsrxmvn_17_32_kernelILj25E21rocsparse_complex_numIdElldS2_S2_EEvT2_20rocsparse_direction_NS_24const_host_device_scalarIT0_EES3_PKS3_PKT1_SC_S9_PKT3_PKT4_S7_PT5_21rocsparse_index_base_b.has_dyn_sized_stack, 0
	.set _ZN9rocsparseL20bsrxmvn_17_32_kernelILj25E21rocsparse_complex_numIdElldS2_S2_EEvT2_20rocsparse_direction_NS_24const_host_device_scalarIT0_EES3_PKS3_PKT1_SC_S9_PKT3_PKT4_S7_PT5_21rocsparse_index_base_b.has_recursion, 0
	.set _ZN9rocsparseL20bsrxmvn_17_32_kernelILj25E21rocsparse_complex_numIdElldS2_S2_EEvT2_20rocsparse_direction_NS_24const_host_device_scalarIT0_EES3_PKS3_PKT1_SC_S9_PKT3_PKT4_S7_PT5_21rocsparse_index_base_b.has_indirect_call, 0
	.section	.AMDGPU.csdata,"",@progbits
; Kernel info:
; codeLenInByte = 1732
; TotalNumSgprs: 26
; NumVgprs: 29
; ScratchSize: 0
; MemoryBound: 1
; FloatMode: 240
; IeeeMode: 1
; LDSByteSize: 10000 bytes/workgroup (compile time only)
; SGPRBlocks: 3
; VGPRBlocks: 7
; NumSGPRsForWavesPerEU: 26
; NumVGPRsForWavesPerEU: 29
; Occupancy: 8
; WaveLimiterHint : 1
; COMPUTE_PGM_RSRC2:SCRATCH_EN: 0
; COMPUTE_PGM_RSRC2:USER_SGPR: 6
; COMPUTE_PGM_RSRC2:TRAP_HANDLER: 0
; COMPUTE_PGM_RSRC2:TGID_X_EN: 1
; COMPUTE_PGM_RSRC2:TGID_Y_EN: 0
; COMPUTE_PGM_RSRC2:TGID_Z_EN: 0
; COMPUTE_PGM_RSRC2:TIDIG_COMP_CNT: 0
	.section	.text._ZN9rocsparseL20bsrxmvn_17_32_kernelILj26E21rocsparse_complex_numIdElldS2_S2_EEvT2_20rocsparse_direction_NS_24const_host_device_scalarIT0_EES3_PKS3_PKT1_SC_S9_PKT3_PKT4_S7_PT5_21rocsparse_index_base_b,"axG",@progbits,_ZN9rocsparseL20bsrxmvn_17_32_kernelILj26E21rocsparse_complex_numIdElldS2_S2_EEvT2_20rocsparse_direction_NS_24const_host_device_scalarIT0_EES3_PKS3_PKT1_SC_S9_PKT3_PKT4_S7_PT5_21rocsparse_index_base_b,comdat
	.globl	_ZN9rocsparseL20bsrxmvn_17_32_kernelILj26E21rocsparse_complex_numIdElldS2_S2_EEvT2_20rocsparse_direction_NS_24const_host_device_scalarIT0_EES3_PKS3_PKT1_SC_S9_PKT3_PKT4_S7_PT5_21rocsparse_index_base_b ; -- Begin function _ZN9rocsparseL20bsrxmvn_17_32_kernelILj26E21rocsparse_complex_numIdElldS2_S2_EEvT2_20rocsparse_direction_NS_24const_host_device_scalarIT0_EES3_PKS3_PKT1_SC_S9_PKT3_PKT4_S7_PT5_21rocsparse_index_base_b
	.p2align	8
	.type	_ZN9rocsparseL20bsrxmvn_17_32_kernelILj26E21rocsparse_complex_numIdElldS2_S2_EEvT2_20rocsparse_direction_NS_24const_host_device_scalarIT0_EES3_PKS3_PKT1_SC_S9_PKT3_PKT4_S7_PT5_21rocsparse_index_base_b,@function
_ZN9rocsparseL20bsrxmvn_17_32_kernelILj26E21rocsparse_complex_numIdElldS2_S2_EEvT2_20rocsparse_direction_NS_24const_host_device_scalarIT0_EES3_PKS3_PKT1_SC_S9_PKT3_PKT4_S7_PT5_21rocsparse_index_base_b: ; @_ZN9rocsparseL20bsrxmvn_17_32_kernelILj26E21rocsparse_complex_numIdElldS2_S2_EEvT2_20rocsparse_direction_NS_24const_host_device_scalarIT0_EES3_PKS3_PKT1_SC_S9_PKT3_PKT4_S7_PT5_21rocsparse_index_base_b
; %bb.0:
	s_load_dwordx2 s[0:1], s[4:5], 0x10
	s_load_dwordx2 s[14:15], s[4:5], 0x70
	s_add_u32 s7, s4, 16
	s_addc_u32 s8, s5, 0
	s_add_u32 s9, s4, 0x58
	s_addc_u32 s10, s5, 0
	s_waitcnt lgkmcnt(0)
	s_bitcmp1_b32 s15, 0
	s_cselect_b32 s1, s8, s1
	s_cselect_b32 s0, s7, s0
	v_mov_b32_e32 v1, s0
	v_mov_b32_e32 v2, s1
	flat_load_dwordx4 v[5:8], v[1:2]
	s_load_dwordx2 s[2:3], s[4:5], 0x58
	s_waitcnt lgkmcnt(0)
	s_cselect_b32 s0, s10, s3
	s_cselect_b32 s1, s9, s2
	v_mov_b32_e32 v1, s1
	v_mov_b32_e32 v2, s0
	flat_load_dwordx4 v[1:4], v[1:2]
	s_waitcnt vmcnt(0)
	v_cmp_eq_f64_e32 vcc, 0, v[5:6]
	v_cmp_eq_f64_e64 s[0:1], 0, v[7:8]
	s_and_b64 s[8:9], vcc, s[0:1]
	s_mov_b64 s[0:1], -1
	s_and_saveexec_b64 s[2:3], s[8:9]
	s_cbranch_execz .LBB473_2
; %bb.1:
	s_waitcnt lgkmcnt(0)
	v_cmp_neq_f64_e32 vcc, 1.0, v[1:2]
	v_cmp_neq_f64_e64 s[0:1], 0, v[3:4]
	s_or_b64 s[0:1], vcc, s[0:1]
	s_orn2_b64 s[0:1], s[0:1], exec
.LBB473_2:
	s_or_b64 exec, exec, s[2:3]
	s_and_saveexec_b64 s[2:3], s[0:1]
	s_cbranch_execz .LBB473_39
; %bb.3:
	s_load_dwordx4 s[0:3], s[4:5], 0x28
	s_load_dwordx2 s[8:9], s[4:5], 0x38
	s_mov_b32 s7, 0
	s_waitcnt lgkmcnt(0)
	s_cmp_eq_u64 s[0:1], 0
	s_cbranch_scc1 .LBB473_5
; %bb.4:
	s_lshl_b64 s[6:7], s[6:7], 3
	s_add_u32 s0, s0, s6
	s_addc_u32 s1, s1, s7
	s_load_dwordx2 s[0:1], s[0:1], 0x0
	s_waitcnt lgkmcnt(0)
	s_sub_u32 s6, s0, s14
	s_subb_u32 s7, s1, 0
.LBB473_5:
	s_load_dword s10, s[4:5], 0x8
	s_load_dwordx2 s[12:13], s[4:5], 0x68
	v_mul_u32_u24_e32 v14, 0x9d9, v0
	v_mov_b32_e32 v9, 26
	v_mul_lo_u16_sdwa v9, v14, v9 dst_sel:DWORD dst_unused:UNUSED_PAD src0_sel:WORD_1 src1_sel:DWORD
	s_waitcnt lgkmcnt(0)
	s_cmp_eq_u32 s10, 1
	s_cselect_b64 s[0:1], -1, 0
	s_cmp_lg_u32 s10, 1
	s_cselect_b64 s[16:17], -1, 0
	s_lshl_b64 s[10:11], s[6:7], 3
	s_add_u32 s20, s2, s10
	s_addc_u32 s21, s3, s11
	s_add_u32 s2, s20, 8
	s_addc_u32 s3, s21, 0
	;; [unrolled: 2-line block ×3, first 2 shown]
	s_cmp_eq_u64 s[8:9], 0
	s_cselect_b32 s9, s3, s11
	s_cselect_b32 s8, s2, s10
	s_load_dwordx2 s[2:3], s[8:9], 0x0
	s_load_dwordx2 s[18:19], s[20:21], 0x0
	v_sub_u16_e32 v21, v0, v9
	v_mov_b32_e32 v11, 0
	v_mov_b32_e32 v13, 0
	s_waitcnt lgkmcnt(0)
	v_mov_b32_e32 v10, s3
	v_mov_b32_e32 v9, s2
	v_cmp_ge_i64_e32 vcc, s[18:19], v[9:10]
	v_mov_b32_e32 v9, 0
	v_mov_b32_e32 v12, 0
	;; [unrolled: 1-line block ×3, first 2 shown]
	s_cbranch_vccnz .LBB473_10
; %bb.6:
	s_load_dwordx2 s[20:21], s[4:5], 0x50
	s_load_dwordx4 s[8:11], s[4:5], 0x40
	s_mov_b32 s4, 0xffff
	s_movk_i32 s5, 0x2a4
	v_and_b32_sdwa v9, s4, v14 dst_sel:DWORD dst_unused:UNUSED_PAD src0_sel:DWORD src1_sel:WORD_1
	s_sub_u32 s2, s2, s14
	v_subrev_u32_e32 v10, 26, v9
	v_cmp_gt_u32_e32 vcc, s5, v0
	s_subb_u32 s3, s3, 0
	v_cndmask_b32_e32 v9, v10, v9, vcc
	s_sub_u32 s4, s18, s14
	v_cndmask_b32_e64 v12, v21, v9, s[0:1]
	s_subb_u32 s5, s19, 0
	v_lshlrev_b64 v[9:10], 4, v[12:13]
	s_mul_i32 s0, s5, 0x1520
	s_mul_hi_u32 s1, s4, 0x1520
	s_add_i32 s1, s1, s0
	s_mul_i32 s0, s4, 0x1520
	s_waitcnt lgkmcnt(0)
	v_mov_b32_e32 v11, s21
	v_add_co_u32_e32 v13, vcc, s20, v9
	s_add_u32 s0, s10, s0
	v_addc_co_u32_e32 v14, vcc, v11, v10, vcc
	s_addc_u32 s1, s11, s1
	v_lshlrev_b32_e32 v9, 3, v0
	v_mov_b32_e32 v10, s1
	v_add_co_u32_e32 v15, vcc, s0, v9
	v_addc_co_u32_e32 v16, vcc, 0, v10, vcc
	s_movk_i32 s0, 0x2a3
	v_cmp_lt_u32_e32 vcc, s0, v0
	v_cndmask_b32_e64 v22, 0, 1, vcc
	v_mov_b32_e32 v9, s19
	v_add_co_u32_e32 v10, vcc, s18, v22
	v_addc_co_u32_e32 v11, vcc, 0, v9, vcc
	v_subrev_co_u32_e32 v9, vcc, s14, v10
	v_subbrev_co_u32_e32 v10, vcc, 0, v11, vcc
	v_lshlrev_b64 v[9:10], 3, v[9:10]
	v_mov_b32_e32 v11, s9
	v_add_co_u32_e32 v17, vcc, s8, v9
	v_addc_co_u32_e32 v18, vcc, v11, v10, vcc
	v_mov_b32_e32 v11, 0
	v_mov_b32_e32 v12, 0
	s_mov_b32 s8, 0
	v_mov_b32_e32 v20, s3
	v_mov_b32_e32 v9, v11
	s_movk_i32 s10, 0x1a0
	s_brev_b32 s9, 1
	v_mov_b32_e32 v19, s2
	v_mov_b32_e32 v10, v12
	s_branch .LBB473_8
.LBB473_7:                              ;   in Loop: Header=BB473_8 Depth=1
	s_or_b64 exec, exec, s[0:1]
	s_add_u32 s4, s4, 1
	s_addc_u32 s5, s5, 0
	v_cmp_lt_i64_e32 vcc, s[4:5], v[19:20]
	v_add_co_u32_e64 v17, s[0:1], 8, v17
	v_addc_co_u32_e64 v18, s[0:1], 0, v18, s[0:1]
	s_cbranch_vccz .LBB473_10
.LBB473_8:                              ; =>This Inner Loop Header: Depth=1
	v_mov_b32_e32 v24, s5
	v_add_co_u32_e32 v23, vcc, s4, v22
	v_addc_co_u32_e32 v24, vcc, 0, v24, vcc
	v_cmp_gt_i64_e32 vcc, s[2:3], v[23:24]
	s_and_saveexec_b64 s[0:1], vcc
	s_cbranch_execz .LBB473_7
; %bb.9:                                ;   in Loop: Header=BB473_8 Depth=1
	global_load_dwordx2 v[23:24], v[17:18], off
	s_waitcnt vmcnt(0)
	v_subrev_co_u32_e32 v23, vcc, s14, v23
	v_subbrev_co_u32_e32 v25, vcc, 0, v24, vcc
	v_mad_u64_u32 v[23:24], s[18:19], v23, s10, v[13:14]
	v_mad_u64_u32 v[24:25], s[18:19], v25, s10, v[24:25]
	global_load_dwordx2 v[27:28], v[15:16], off
	s_nop 0
	global_load_dwordx4 v[23:26], v[23:24], off
	v_add_co_u32_e32 v15, vcc, 0x1520, v15
	v_addc_co_u32_e32 v16, vcc, 0, v16, vcc
	s_waitcnt vmcnt(0)
	v_fma_f64 v[9:10], v[27:28], v[23:24], v[9:10]
	v_fma_f64 v[11:12], v[23:24], 0, v[11:12]
	;; [unrolled: 1-line block ×4, first 2 shown]
	s_branch .LBB473_7
.LBB473_10:
	v_lshlrev_b32_e32 v17, 4, v0
	s_and_b64 vcc, exec, s[16:17]
	ds_write_b128 v17, v[9:12]
	s_waitcnt lgkmcnt(0)
	s_barrier
	s_cbranch_vccz .LBB473_22
; %bb.11:
	v_cmp_gt_u16_e32 vcc, 10, v21
	s_and_saveexec_b64 s[0:1], vcc
	s_cbranch_execz .LBB473_13
; %bb.12:
	ds_read_b128 v[13:16], v17 offset:256
	ds_read_b128 v[22:25], v17
	s_waitcnt lgkmcnt(0)
	v_add_f64 v[13:14], v[13:14], v[22:23]
	v_add_f64 v[15:16], v[15:16], v[24:25]
	ds_write_b128 v17, v[13:16]
.LBB473_13:
	s_or_b64 exec, exec, s[0:1]
	v_cmp_gt_u16_e32 vcc, 8, v21
	s_waitcnt lgkmcnt(0)
	s_barrier
	s_and_saveexec_b64 s[0:1], vcc
	s_cbranch_execz .LBB473_15
; %bb.14:
	ds_read_b128 v[13:16], v17 offset:128
	ds_read_b128 v[22:25], v17
	s_waitcnt lgkmcnt(0)
	v_add_f64 v[13:14], v[13:14], v[22:23]
	v_add_f64 v[15:16], v[15:16], v[24:25]
	ds_write_b128 v17, v[13:16]
.LBB473_15:
	s_or_b64 exec, exec, s[0:1]
	v_cmp_gt_u16_e32 vcc, 4, v21
	s_waitcnt lgkmcnt(0)
	s_barrier
	;; [unrolled: 14-line block ×3, first 2 shown]
	s_and_saveexec_b64 s[0:1], vcc
	s_cbranch_execz .LBB473_19
; %bb.18:
	ds_read_b128 v[13:16], v17
	ds_read_b128 v[18:21], v17 offset:32
	s_waitcnt lgkmcnt(0)
	v_add_f64 v[13:14], v[18:19], v[13:14]
	v_add_f64 v[15:16], v[20:21], v[15:16]
	ds_write_b128 v17, v[13:16]
.LBB473_19:
	s_or_b64 exec, exec, s[0:1]
	v_mov_b32_e32 v16, v12
	v_mov_b32_e32 v14, v10
	v_cmp_gt_u32_e32 vcc, 26, v0
	v_mov_b32_e32 v15, v11
	v_mov_b32_e32 v13, v9
	s_waitcnt lgkmcnt(0)
	s_barrier
	s_and_saveexec_b64 s[0:1], vcc
	s_cbranch_execz .LBB473_21
; %bb.20:
	s_movk_i32 s2, 0x190
	v_mad_u32_u24 v18, v0, s2, v17
	ds_read_b128 v[13:16], v18
	ds_read_b128 v[18:21], v18 offset:16
	s_waitcnt lgkmcnt(0)
	v_add_f64 v[13:14], v[18:19], v[13:14]
	v_add_f64 v[15:16], v[20:21], v[15:16]
.LBB473_21:
	s_or_b64 exec, exec, s[0:1]
	s_branch .LBB473_34
.LBB473_22:
                                        ; implicit-def: $vgpr15_vgpr16
                                        ; implicit-def: $vgpr13_vgpr14
	s_cbranch_execz .LBB473_34
; %bb.23:
	s_movk_i32 s0, 0x104
	v_cmp_gt_u32_e32 vcc, s0, v0
	s_and_saveexec_b64 s[0:1], vcc
	s_cbranch_execz .LBB473_25
; %bb.24:
	ds_read_b128 v[13:16], v17 offset:6656
	ds_read_b128 v[18:21], v17
	s_waitcnt lgkmcnt(0)
	v_add_f64 v[13:14], v[13:14], v[18:19]
	v_add_f64 v[15:16], v[15:16], v[20:21]
	ds_write_b128 v17, v[13:16]
.LBB473_25:
	s_or_b64 exec, exec, s[0:1]
	s_movk_i32 s0, 0xd0
	v_cmp_gt_u32_e32 vcc, s0, v0
	s_waitcnt lgkmcnt(0)
	s_barrier
	s_and_saveexec_b64 s[0:1], vcc
	s_cbranch_execz .LBB473_27
; %bb.26:
	ds_read_b128 v[13:16], v17 offset:3328
	ds_read_b128 v[18:21], v17
	s_waitcnt lgkmcnt(0)
	v_add_f64 v[13:14], v[13:14], v[18:19]
	v_add_f64 v[15:16], v[15:16], v[20:21]
	ds_write_b128 v17, v[13:16]
.LBB473_27:
	s_or_b64 exec, exec, s[0:1]
	s_movk_i32 s0, 0x68
	v_cmp_gt_u32_e32 vcc, s0, v0
	s_waitcnt lgkmcnt(0)
	s_barrier
	s_and_saveexec_b64 s[0:1], vcc
	s_cbranch_execz .LBB473_29
; %bb.28:
	ds_read_b128 v[13:16], v17 offset:1664
	ds_read_b128 v[18:21], v17
	s_waitcnt lgkmcnt(0)
	v_add_f64 v[13:14], v[13:14], v[18:19]
	v_add_f64 v[15:16], v[15:16], v[20:21]
	ds_write_b128 v17, v[13:16]
.LBB473_29:
	s_or_b64 exec, exec, s[0:1]
	v_cmp_gt_u32_e32 vcc, 52, v0
	s_waitcnt lgkmcnt(0)
	s_barrier
	s_and_saveexec_b64 s[0:1], vcc
	s_cbranch_execz .LBB473_31
; %bb.30:
	ds_read_b128 v[13:16], v17 offset:832
	ds_read_b128 v[18:21], v17
	s_waitcnt lgkmcnt(0)
	v_add_f64 v[13:14], v[13:14], v[18:19]
	v_add_f64 v[15:16], v[15:16], v[20:21]
	ds_write_b128 v17, v[13:16]
.LBB473_31:
	s_or_b64 exec, exec, s[0:1]
	v_cmp_gt_u32_e32 vcc, 26, v0
	s_waitcnt lgkmcnt(0)
	s_and_saveexec_b64 s[0:1], vcc
	s_cbranch_execz .LBB473_33
; %bb.32:
	ds_read_b128 v[9:12], v17 offset:416
	ds_read_b128 v[13:16], v17
	s_waitcnt lgkmcnt(0)
	v_add_f64 v[9:10], v[9:10], v[13:14]
	v_add_f64 v[11:12], v[11:12], v[15:16]
.LBB473_33:
	s_or_b64 exec, exec, s[0:1]
	v_mov_b32_e32 v16, v12
	v_mov_b32_e32 v14, v10
	;; [unrolled: 1-line block ×4, first 2 shown]
.LBB473_34:
	v_cmp_gt_u32_e32 vcc, 26, v0
	s_and_b64 exec, exec, vcc
	s_cbranch_execz .LBB473_39
; %bb.35:
	v_mul_f64 v[9:10], v[15:16], -v[7:8]
	v_mul_f64 v[11:12], v[5:6], v[15:16]
	v_cmp_eq_f64_e32 vcc, 0, v[1:2]
	v_cmp_eq_f64_e64 s[0:1], 0, v[3:4]
	s_mul_i32 s2, s7, 0x1a0
	s_mul_hi_u32 s3, s6, 0x1a0
	s_mul_i32 s4, s6, 0x1a0
	v_fma_f64 v[5:6], v[5:6], v[13:14], v[9:10]
	v_fma_f64 v[7:8], v[7:8], v[13:14], v[11:12]
	s_and_b64 s[0:1], vcc, s[0:1]
	s_and_saveexec_b64 s[6:7], s[0:1]
	s_xor_b64 s[0:1], exec, s[6:7]
	s_cbranch_execz .LBB473_37
; %bb.36:
	s_add_i32 s5, s3, s2
	s_add_u32 s6, s12, s4
	s_addc_u32 s7, s13, s5
	global_store_dwordx4 v17, v[5:8], s[6:7]
                                        ; implicit-def: $vgpr17
                                        ; implicit-def: $vgpr1_vgpr2
                                        ; implicit-def: $vgpr5_vgpr6
.LBB473_37:
	s_andn2_saveexec_b64 s[0:1], s[0:1]
	s_cbranch_execz .LBB473_39
; %bb.38:
	s_add_i32 s3, s3, s2
	s_add_u32 s0, s12, s4
	s_addc_u32 s1, s13, s3
	global_load_dwordx4 v[9:12], v17, s[0:1]
	s_waitcnt vmcnt(0)
	v_fma_f64 v[5:6], v[1:2], v[9:10], v[5:6]
	v_fma_f64 v[7:8], v[3:4], v[9:10], v[7:8]
	v_fma_f64 v[3:4], -v[3:4], v[11:12], v[5:6]
	v_fma_f64 v[5:6], v[1:2], v[11:12], v[7:8]
	global_store_dwordx4 v17, v[3:6], s[0:1]
.LBB473_39:
	s_endpgm
	.section	.rodata,"a",@progbits
	.p2align	6, 0x0
	.amdhsa_kernel _ZN9rocsparseL20bsrxmvn_17_32_kernelILj26E21rocsparse_complex_numIdElldS2_S2_EEvT2_20rocsparse_direction_NS_24const_host_device_scalarIT0_EES3_PKS3_PKT1_SC_S9_PKT3_PKT4_S7_PT5_21rocsparse_index_base_b
		.amdhsa_group_segment_fixed_size 10816
		.amdhsa_private_segment_fixed_size 0
		.amdhsa_kernarg_size 120
		.amdhsa_user_sgpr_count 6
		.amdhsa_user_sgpr_private_segment_buffer 1
		.amdhsa_user_sgpr_dispatch_ptr 0
		.amdhsa_user_sgpr_queue_ptr 0
		.amdhsa_user_sgpr_kernarg_segment_ptr 1
		.amdhsa_user_sgpr_dispatch_id 0
		.amdhsa_user_sgpr_flat_scratch_init 0
		.amdhsa_user_sgpr_private_segment_size 0
		.amdhsa_uses_dynamic_stack 0
		.amdhsa_system_sgpr_private_segment_wavefront_offset 0
		.amdhsa_system_sgpr_workgroup_id_x 1
		.amdhsa_system_sgpr_workgroup_id_y 0
		.amdhsa_system_sgpr_workgroup_id_z 0
		.amdhsa_system_sgpr_workgroup_info 0
		.amdhsa_system_vgpr_workitem_id 0
		.amdhsa_next_free_vgpr 29
		.amdhsa_next_free_sgpr 61
		.amdhsa_reserve_vcc 1
		.amdhsa_reserve_flat_scratch 0
		.amdhsa_float_round_mode_32 0
		.amdhsa_float_round_mode_16_64 0
		.amdhsa_float_denorm_mode_32 3
		.amdhsa_float_denorm_mode_16_64 3
		.amdhsa_dx10_clamp 1
		.amdhsa_ieee_mode 1
		.amdhsa_fp16_overflow 0
		.amdhsa_exception_fp_ieee_invalid_op 0
		.amdhsa_exception_fp_denorm_src 0
		.amdhsa_exception_fp_ieee_div_zero 0
		.amdhsa_exception_fp_ieee_overflow 0
		.amdhsa_exception_fp_ieee_underflow 0
		.amdhsa_exception_fp_ieee_inexact 0
		.amdhsa_exception_int_div_zero 0
	.end_amdhsa_kernel
	.section	.text._ZN9rocsparseL20bsrxmvn_17_32_kernelILj26E21rocsparse_complex_numIdElldS2_S2_EEvT2_20rocsparse_direction_NS_24const_host_device_scalarIT0_EES3_PKS3_PKT1_SC_S9_PKT3_PKT4_S7_PT5_21rocsparse_index_base_b,"axG",@progbits,_ZN9rocsparseL20bsrxmvn_17_32_kernelILj26E21rocsparse_complex_numIdElldS2_S2_EEvT2_20rocsparse_direction_NS_24const_host_device_scalarIT0_EES3_PKS3_PKT1_SC_S9_PKT3_PKT4_S7_PT5_21rocsparse_index_base_b,comdat
.Lfunc_end473:
	.size	_ZN9rocsparseL20bsrxmvn_17_32_kernelILj26E21rocsparse_complex_numIdElldS2_S2_EEvT2_20rocsparse_direction_NS_24const_host_device_scalarIT0_EES3_PKS3_PKT1_SC_S9_PKT3_PKT4_S7_PT5_21rocsparse_index_base_b, .Lfunc_end473-_ZN9rocsparseL20bsrxmvn_17_32_kernelILj26E21rocsparse_complex_numIdElldS2_S2_EEvT2_20rocsparse_direction_NS_24const_host_device_scalarIT0_EES3_PKS3_PKT1_SC_S9_PKT3_PKT4_S7_PT5_21rocsparse_index_base_b
                                        ; -- End function
	.set _ZN9rocsparseL20bsrxmvn_17_32_kernelILj26E21rocsparse_complex_numIdElldS2_S2_EEvT2_20rocsparse_direction_NS_24const_host_device_scalarIT0_EES3_PKS3_PKT1_SC_S9_PKT3_PKT4_S7_PT5_21rocsparse_index_base_b.num_vgpr, 29
	.set _ZN9rocsparseL20bsrxmvn_17_32_kernelILj26E21rocsparse_complex_numIdElldS2_S2_EEvT2_20rocsparse_direction_NS_24const_host_device_scalarIT0_EES3_PKS3_PKT1_SC_S9_PKT3_PKT4_S7_PT5_21rocsparse_index_base_b.num_agpr, 0
	.set _ZN9rocsparseL20bsrxmvn_17_32_kernelILj26E21rocsparse_complex_numIdElldS2_S2_EEvT2_20rocsparse_direction_NS_24const_host_device_scalarIT0_EES3_PKS3_PKT1_SC_S9_PKT3_PKT4_S7_PT5_21rocsparse_index_base_b.numbered_sgpr, 22
	.set _ZN9rocsparseL20bsrxmvn_17_32_kernelILj26E21rocsparse_complex_numIdElldS2_S2_EEvT2_20rocsparse_direction_NS_24const_host_device_scalarIT0_EES3_PKS3_PKT1_SC_S9_PKT3_PKT4_S7_PT5_21rocsparse_index_base_b.num_named_barrier, 0
	.set _ZN9rocsparseL20bsrxmvn_17_32_kernelILj26E21rocsparse_complex_numIdElldS2_S2_EEvT2_20rocsparse_direction_NS_24const_host_device_scalarIT0_EES3_PKS3_PKT1_SC_S9_PKT3_PKT4_S7_PT5_21rocsparse_index_base_b.private_seg_size, 0
	.set _ZN9rocsparseL20bsrxmvn_17_32_kernelILj26E21rocsparse_complex_numIdElldS2_S2_EEvT2_20rocsparse_direction_NS_24const_host_device_scalarIT0_EES3_PKS3_PKT1_SC_S9_PKT3_PKT4_S7_PT5_21rocsparse_index_base_b.uses_vcc, 1
	.set _ZN9rocsparseL20bsrxmvn_17_32_kernelILj26E21rocsparse_complex_numIdElldS2_S2_EEvT2_20rocsparse_direction_NS_24const_host_device_scalarIT0_EES3_PKS3_PKT1_SC_S9_PKT3_PKT4_S7_PT5_21rocsparse_index_base_b.uses_flat_scratch, 0
	.set _ZN9rocsparseL20bsrxmvn_17_32_kernelILj26E21rocsparse_complex_numIdElldS2_S2_EEvT2_20rocsparse_direction_NS_24const_host_device_scalarIT0_EES3_PKS3_PKT1_SC_S9_PKT3_PKT4_S7_PT5_21rocsparse_index_base_b.has_dyn_sized_stack, 0
	.set _ZN9rocsparseL20bsrxmvn_17_32_kernelILj26E21rocsparse_complex_numIdElldS2_S2_EEvT2_20rocsparse_direction_NS_24const_host_device_scalarIT0_EES3_PKS3_PKT1_SC_S9_PKT3_PKT4_S7_PT5_21rocsparse_index_base_b.has_recursion, 0
	.set _ZN9rocsparseL20bsrxmvn_17_32_kernelILj26E21rocsparse_complex_numIdElldS2_S2_EEvT2_20rocsparse_direction_NS_24const_host_device_scalarIT0_EES3_PKS3_PKT1_SC_S9_PKT3_PKT4_S7_PT5_21rocsparse_index_base_b.has_indirect_call, 0
	.section	.AMDGPU.csdata,"",@progbits
; Kernel info:
; codeLenInByte = 1732
; TotalNumSgprs: 26
; NumVgprs: 29
; ScratchSize: 0
; MemoryBound: 1
; FloatMode: 240
; IeeeMode: 1
; LDSByteSize: 10816 bytes/workgroup (compile time only)
; SGPRBlocks: 8
; VGPRBlocks: 7
; NumSGPRsForWavesPerEU: 65
; NumVGPRsForWavesPerEU: 29
; Occupancy: 8
; WaveLimiterHint : 1
; COMPUTE_PGM_RSRC2:SCRATCH_EN: 0
; COMPUTE_PGM_RSRC2:USER_SGPR: 6
; COMPUTE_PGM_RSRC2:TRAP_HANDLER: 0
; COMPUTE_PGM_RSRC2:TGID_X_EN: 1
; COMPUTE_PGM_RSRC2:TGID_Y_EN: 0
; COMPUTE_PGM_RSRC2:TGID_Z_EN: 0
; COMPUTE_PGM_RSRC2:TIDIG_COMP_CNT: 0
	.section	.text._ZN9rocsparseL20bsrxmvn_17_32_kernelILj27E21rocsparse_complex_numIdElldS2_S2_EEvT2_20rocsparse_direction_NS_24const_host_device_scalarIT0_EES3_PKS3_PKT1_SC_S9_PKT3_PKT4_S7_PT5_21rocsparse_index_base_b,"axG",@progbits,_ZN9rocsparseL20bsrxmvn_17_32_kernelILj27E21rocsparse_complex_numIdElldS2_S2_EEvT2_20rocsparse_direction_NS_24const_host_device_scalarIT0_EES3_PKS3_PKT1_SC_S9_PKT3_PKT4_S7_PT5_21rocsparse_index_base_b,comdat
	.globl	_ZN9rocsparseL20bsrxmvn_17_32_kernelILj27E21rocsparse_complex_numIdElldS2_S2_EEvT2_20rocsparse_direction_NS_24const_host_device_scalarIT0_EES3_PKS3_PKT1_SC_S9_PKT3_PKT4_S7_PT5_21rocsparse_index_base_b ; -- Begin function _ZN9rocsparseL20bsrxmvn_17_32_kernelILj27E21rocsparse_complex_numIdElldS2_S2_EEvT2_20rocsparse_direction_NS_24const_host_device_scalarIT0_EES3_PKS3_PKT1_SC_S9_PKT3_PKT4_S7_PT5_21rocsparse_index_base_b
	.p2align	8
	.type	_ZN9rocsparseL20bsrxmvn_17_32_kernelILj27E21rocsparse_complex_numIdElldS2_S2_EEvT2_20rocsparse_direction_NS_24const_host_device_scalarIT0_EES3_PKS3_PKT1_SC_S9_PKT3_PKT4_S7_PT5_21rocsparse_index_base_b,@function
_ZN9rocsparseL20bsrxmvn_17_32_kernelILj27E21rocsparse_complex_numIdElldS2_S2_EEvT2_20rocsparse_direction_NS_24const_host_device_scalarIT0_EES3_PKS3_PKT1_SC_S9_PKT3_PKT4_S7_PT5_21rocsparse_index_base_b: ; @_ZN9rocsparseL20bsrxmvn_17_32_kernelILj27E21rocsparse_complex_numIdElldS2_S2_EEvT2_20rocsparse_direction_NS_24const_host_device_scalarIT0_EES3_PKS3_PKT1_SC_S9_PKT3_PKT4_S7_PT5_21rocsparse_index_base_b
; %bb.0:
	s_load_dwordx2 s[0:1], s[4:5], 0x10
	s_load_dwordx2 s[14:15], s[4:5], 0x70
	s_add_u32 s7, s4, 16
	s_addc_u32 s8, s5, 0
	s_add_u32 s9, s4, 0x58
	s_addc_u32 s10, s5, 0
	s_waitcnt lgkmcnt(0)
	s_bitcmp1_b32 s15, 0
	s_cselect_b32 s1, s8, s1
	s_cselect_b32 s0, s7, s0
	v_mov_b32_e32 v1, s0
	v_mov_b32_e32 v2, s1
	flat_load_dwordx4 v[5:8], v[1:2]
	s_load_dwordx2 s[2:3], s[4:5], 0x58
	s_waitcnt lgkmcnt(0)
	s_cselect_b32 s0, s10, s3
	s_cselect_b32 s1, s9, s2
	v_mov_b32_e32 v1, s1
	v_mov_b32_e32 v2, s0
	flat_load_dwordx4 v[1:4], v[1:2]
	s_waitcnt vmcnt(0)
	v_cmp_eq_f64_e32 vcc, 0, v[5:6]
	v_cmp_eq_f64_e64 s[0:1], 0, v[7:8]
	s_and_b64 s[8:9], vcc, s[0:1]
	s_mov_b64 s[0:1], -1
	s_and_saveexec_b64 s[2:3], s[8:9]
	s_cbranch_execz .LBB474_2
; %bb.1:
	s_waitcnt lgkmcnt(0)
	v_cmp_neq_f64_e32 vcc, 1.0, v[1:2]
	v_cmp_neq_f64_e64 s[0:1], 0, v[3:4]
	s_or_b64 s[0:1], vcc, s[0:1]
	s_orn2_b64 s[0:1], s[0:1], exec
.LBB474_2:
	s_or_b64 exec, exec, s[2:3]
	s_and_saveexec_b64 s[2:3], s[0:1]
	s_cbranch_execz .LBB474_39
; %bb.3:
	s_load_dwordx4 s[0:3], s[4:5], 0x28
	s_load_dwordx2 s[8:9], s[4:5], 0x38
	s_mov_b32 s7, 0
	s_waitcnt lgkmcnt(0)
	s_cmp_eq_u64 s[0:1], 0
	s_cbranch_scc1 .LBB474_5
; %bb.4:
	s_lshl_b64 s[6:7], s[6:7], 3
	s_add_u32 s0, s0, s6
	s_addc_u32 s1, s1, s7
	s_load_dwordx2 s[0:1], s[0:1], 0x0
	s_waitcnt lgkmcnt(0)
	s_sub_u32 s6, s0, s14
	s_subb_u32 s7, s1, 0
.LBB474_5:
	s_load_dword s10, s[4:5], 0x8
	s_load_dwordx2 s[12:13], s[4:5], 0x68
	v_mul_u32_u24_e32 v14, 0x97c, v0
	v_mov_b32_e32 v9, 27
	v_mul_lo_u16_sdwa v9, v14, v9 dst_sel:DWORD dst_unused:UNUSED_PAD src0_sel:WORD_1 src1_sel:DWORD
	s_waitcnt lgkmcnt(0)
	s_cmp_eq_u32 s10, 1
	s_cselect_b64 s[0:1], -1, 0
	s_cmp_lg_u32 s10, 1
	s_cselect_b64 s[16:17], -1, 0
	s_lshl_b64 s[10:11], s[6:7], 3
	s_add_u32 s20, s2, s10
	s_addc_u32 s21, s3, s11
	s_add_u32 s2, s20, 8
	s_addc_u32 s3, s21, 0
	;; [unrolled: 2-line block ×3, first 2 shown]
	s_cmp_eq_u64 s[8:9], 0
	s_cselect_b32 s9, s3, s11
	s_cselect_b32 s8, s2, s10
	s_load_dwordx2 s[2:3], s[8:9], 0x0
	s_load_dwordx2 s[18:19], s[20:21], 0x0
	v_sub_u16_e32 v21, v0, v9
	v_mov_b32_e32 v11, 0
	v_mov_b32_e32 v13, 0
	s_waitcnt lgkmcnt(0)
	v_mov_b32_e32 v10, s3
	v_mov_b32_e32 v9, s2
	v_cmp_ge_i64_e32 vcc, s[18:19], v[9:10]
	v_mov_b32_e32 v9, 0
	v_mov_b32_e32 v12, 0
	;; [unrolled: 1-line block ×3, first 2 shown]
	s_cbranch_vccnz .LBB474_10
; %bb.6:
	s_load_dwordx2 s[20:21], s[4:5], 0x50
	s_load_dwordx4 s[8:11], s[4:5], 0x40
	s_mov_b32 s4, 0xffff
	s_movk_i32 s5, 0x2d9
	v_and_b32_sdwa v9, s4, v14 dst_sel:DWORD dst_unused:UNUSED_PAD src0_sel:DWORD src1_sel:WORD_1
	s_sub_u32 s2, s2, s14
	v_subrev_u32_e32 v10, 27, v9
	v_cmp_gt_u32_e32 vcc, s5, v0
	s_subb_u32 s3, s3, 0
	v_cndmask_b32_e32 v9, v10, v9, vcc
	s_sub_u32 s4, s18, s14
	v_cndmask_b32_e64 v12, v21, v9, s[0:1]
	s_subb_u32 s5, s19, 0
	v_lshlrev_b64 v[9:10], 4, v[12:13]
	s_mul_i32 s0, s5, 0x16c8
	s_mul_hi_u32 s1, s4, 0x16c8
	s_add_i32 s1, s1, s0
	s_mul_i32 s0, s4, 0x16c8
	s_waitcnt lgkmcnt(0)
	v_mov_b32_e32 v11, s21
	v_add_co_u32_e32 v13, vcc, s20, v9
	s_add_u32 s0, s10, s0
	v_addc_co_u32_e32 v14, vcc, v11, v10, vcc
	s_addc_u32 s1, s11, s1
	v_lshlrev_b32_e32 v9, 3, v0
	v_mov_b32_e32 v10, s1
	v_add_co_u32_e32 v15, vcc, s0, v9
	v_addc_co_u32_e32 v16, vcc, 0, v10, vcc
	s_movk_i32 s0, 0x2d8
	v_cmp_lt_u32_e32 vcc, s0, v0
	v_cndmask_b32_e64 v22, 0, 1, vcc
	v_mov_b32_e32 v9, s19
	v_add_co_u32_e32 v10, vcc, s18, v22
	v_addc_co_u32_e32 v11, vcc, 0, v9, vcc
	v_subrev_co_u32_e32 v9, vcc, s14, v10
	v_subbrev_co_u32_e32 v10, vcc, 0, v11, vcc
	v_lshlrev_b64 v[9:10], 3, v[9:10]
	v_mov_b32_e32 v11, s9
	v_add_co_u32_e32 v17, vcc, s8, v9
	v_addc_co_u32_e32 v18, vcc, v11, v10, vcc
	v_mov_b32_e32 v11, 0
	v_mov_b32_e32 v12, 0
	s_mov_b32 s8, 0
	v_mov_b32_e32 v20, s3
	v_mov_b32_e32 v9, v11
	s_movk_i32 s10, 0x1b0
	s_brev_b32 s9, 1
	v_mov_b32_e32 v19, s2
	v_mov_b32_e32 v10, v12
	s_branch .LBB474_8
.LBB474_7:                              ;   in Loop: Header=BB474_8 Depth=1
	s_or_b64 exec, exec, s[0:1]
	s_add_u32 s4, s4, 1
	s_addc_u32 s5, s5, 0
	v_cmp_lt_i64_e32 vcc, s[4:5], v[19:20]
	v_add_co_u32_e64 v17, s[0:1], 8, v17
	v_addc_co_u32_e64 v18, s[0:1], 0, v18, s[0:1]
	s_cbranch_vccz .LBB474_10
.LBB474_8:                              ; =>This Inner Loop Header: Depth=1
	v_mov_b32_e32 v24, s5
	v_add_co_u32_e32 v23, vcc, s4, v22
	v_addc_co_u32_e32 v24, vcc, 0, v24, vcc
	v_cmp_gt_i64_e32 vcc, s[2:3], v[23:24]
	s_and_saveexec_b64 s[0:1], vcc
	s_cbranch_execz .LBB474_7
; %bb.9:                                ;   in Loop: Header=BB474_8 Depth=1
	global_load_dwordx2 v[23:24], v[17:18], off
	s_waitcnt vmcnt(0)
	v_subrev_co_u32_e32 v23, vcc, s14, v23
	v_subbrev_co_u32_e32 v25, vcc, 0, v24, vcc
	v_mad_u64_u32 v[23:24], s[18:19], v23, s10, v[13:14]
	v_mad_u64_u32 v[24:25], s[18:19], v25, s10, v[24:25]
	global_load_dwordx2 v[27:28], v[15:16], off
	s_nop 0
	global_load_dwordx4 v[23:26], v[23:24], off
	v_add_co_u32_e32 v15, vcc, 0x16c8, v15
	v_addc_co_u32_e32 v16, vcc, 0, v16, vcc
	s_waitcnt vmcnt(0)
	v_fma_f64 v[9:10], v[27:28], v[23:24], v[9:10]
	v_fma_f64 v[11:12], v[23:24], 0, v[11:12]
	;; [unrolled: 1-line block ×4, first 2 shown]
	s_branch .LBB474_7
.LBB474_10:
	v_lshlrev_b32_e32 v17, 4, v0
	s_and_b64 vcc, exec, s[16:17]
	ds_write_b128 v17, v[9:12]
	s_waitcnt lgkmcnt(0)
	s_barrier
	s_cbranch_vccz .LBB474_22
; %bb.11:
	v_cmp_gt_u16_e32 vcc, 11, v21
	s_and_saveexec_b64 s[0:1], vcc
	s_cbranch_execz .LBB474_13
; %bb.12:
	ds_read_b128 v[13:16], v17 offset:256
	ds_read_b128 v[22:25], v17
	s_waitcnt lgkmcnt(0)
	v_add_f64 v[13:14], v[13:14], v[22:23]
	v_add_f64 v[15:16], v[15:16], v[24:25]
	ds_write_b128 v17, v[13:16]
.LBB474_13:
	s_or_b64 exec, exec, s[0:1]
	v_cmp_gt_u16_e32 vcc, 8, v21
	s_waitcnt lgkmcnt(0)
	s_barrier
	s_and_saveexec_b64 s[0:1], vcc
	s_cbranch_execz .LBB474_15
; %bb.14:
	ds_read_b128 v[13:16], v17 offset:128
	ds_read_b128 v[22:25], v17
	s_waitcnt lgkmcnt(0)
	v_add_f64 v[13:14], v[13:14], v[22:23]
	v_add_f64 v[15:16], v[15:16], v[24:25]
	ds_write_b128 v17, v[13:16]
.LBB474_15:
	s_or_b64 exec, exec, s[0:1]
	v_cmp_gt_u16_e32 vcc, 4, v21
	s_waitcnt lgkmcnt(0)
	s_barrier
	;; [unrolled: 14-line block ×3, first 2 shown]
	s_and_saveexec_b64 s[0:1], vcc
	s_cbranch_execz .LBB474_19
; %bb.18:
	ds_read_b128 v[13:16], v17
	ds_read_b128 v[18:21], v17 offset:32
	s_waitcnt lgkmcnt(0)
	v_add_f64 v[13:14], v[18:19], v[13:14]
	v_add_f64 v[15:16], v[20:21], v[15:16]
	ds_write_b128 v17, v[13:16]
.LBB474_19:
	s_or_b64 exec, exec, s[0:1]
	v_mov_b32_e32 v16, v12
	v_mov_b32_e32 v14, v10
	v_cmp_gt_u32_e32 vcc, 27, v0
	v_mov_b32_e32 v15, v11
	v_mov_b32_e32 v13, v9
	s_waitcnt lgkmcnt(0)
	s_barrier
	s_and_saveexec_b64 s[0:1], vcc
	s_cbranch_execz .LBB474_21
; %bb.20:
	s_movk_i32 s2, 0x1a0
	v_mad_u32_u24 v18, v0, s2, v17
	ds_read_b128 v[13:16], v18
	ds_read_b128 v[18:21], v18 offset:16
	s_waitcnt lgkmcnt(0)
	v_add_f64 v[13:14], v[18:19], v[13:14]
	v_add_f64 v[15:16], v[20:21], v[15:16]
.LBB474_21:
	s_or_b64 exec, exec, s[0:1]
	s_branch .LBB474_34
.LBB474_22:
                                        ; implicit-def: $vgpr15_vgpr16
                                        ; implicit-def: $vgpr13_vgpr14
	s_cbranch_execz .LBB474_34
; %bb.23:
	s_movk_i32 s0, 0x129
	v_cmp_gt_u32_e32 vcc, s0, v0
	s_and_saveexec_b64 s[0:1], vcc
	s_cbranch_execz .LBB474_25
; %bb.24:
	ds_read_b128 v[13:16], v17 offset:6912
	ds_read_b128 v[18:21], v17
	s_waitcnt lgkmcnt(0)
	v_add_f64 v[13:14], v[13:14], v[18:19]
	v_add_f64 v[15:16], v[15:16], v[20:21]
	ds_write_b128 v17, v[13:16]
.LBB474_25:
	s_or_b64 exec, exec, s[0:1]
	s_movk_i32 s0, 0xd8
	v_cmp_gt_u32_e32 vcc, s0, v0
	s_waitcnt lgkmcnt(0)
	s_barrier
	s_and_saveexec_b64 s[0:1], vcc
	s_cbranch_execz .LBB474_27
; %bb.26:
	ds_read_b128 v[13:16], v17 offset:3456
	ds_read_b128 v[18:21], v17
	s_waitcnt lgkmcnt(0)
	v_add_f64 v[13:14], v[13:14], v[18:19]
	v_add_f64 v[15:16], v[15:16], v[20:21]
	ds_write_b128 v17, v[13:16]
.LBB474_27:
	s_or_b64 exec, exec, s[0:1]
	s_movk_i32 s0, 0x6c
	v_cmp_gt_u32_e32 vcc, s0, v0
	s_waitcnt lgkmcnt(0)
	s_barrier
	s_and_saveexec_b64 s[0:1], vcc
	s_cbranch_execz .LBB474_29
; %bb.28:
	ds_read_b128 v[13:16], v17 offset:1728
	ds_read_b128 v[18:21], v17
	s_waitcnt lgkmcnt(0)
	v_add_f64 v[13:14], v[13:14], v[18:19]
	v_add_f64 v[15:16], v[15:16], v[20:21]
	ds_write_b128 v17, v[13:16]
.LBB474_29:
	s_or_b64 exec, exec, s[0:1]
	v_cmp_gt_u32_e32 vcc, 54, v0
	s_waitcnt lgkmcnt(0)
	s_barrier
	s_and_saveexec_b64 s[0:1], vcc
	s_cbranch_execz .LBB474_31
; %bb.30:
	ds_read_b128 v[13:16], v17 offset:864
	ds_read_b128 v[18:21], v17
	s_waitcnt lgkmcnt(0)
	v_add_f64 v[13:14], v[13:14], v[18:19]
	v_add_f64 v[15:16], v[15:16], v[20:21]
	ds_write_b128 v17, v[13:16]
.LBB474_31:
	s_or_b64 exec, exec, s[0:1]
	v_cmp_gt_u32_e32 vcc, 27, v0
	s_waitcnt lgkmcnt(0)
	s_and_saveexec_b64 s[0:1], vcc
	s_cbranch_execz .LBB474_33
; %bb.32:
	ds_read_b128 v[9:12], v17 offset:432
	ds_read_b128 v[13:16], v17
	s_waitcnt lgkmcnt(0)
	v_add_f64 v[9:10], v[9:10], v[13:14]
	v_add_f64 v[11:12], v[11:12], v[15:16]
.LBB474_33:
	s_or_b64 exec, exec, s[0:1]
	v_mov_b32_e32 v16, v12
	v_mov_b32_e32 v14, v10
	;; [unrolled: 1-line block ×4, first 2 shown]
.LBB474_34:
	v_cmp_gt_u32_e32 vcc, 27, v0
	s_and_b64 exec, exec, vcc
	s_cbranch_execz .LBB474_39
; %bb.35:
	v_mul_f64 v[9:10], v[15:16], -v[7:8]
	v_mul_f64 v[11:12], v[5:6], v[15:16]
	v_cmp_eq_f64_e32 vcc, 0, v[1:2]
	v_cmp_eq_f64_e64 s[0:1], 0, v[3:4]
	s_mul_i32 s2, s7, 0x1b0
	s_mul_hi_u32 s3, s6, 0x1b0
	s_mul_i32 s4, s6, 0x1b0
	v_fma_f64 v[5:6], v[5:6], v[13:14], v[9:10]
	v_fma_f64 v[7:8], v[7:8], v[13:14], v[11:12]
	s_and_b64 s[0:1], vcc, s[0:1]
	s_and_saveexec_b64 s[6:7], s[0:1]
	s_xor_b64 s[0:1], exec, s[6:7]
	s_cbranch_execz .LBB474_37
; %bb.36:
	s_add_i32 s5, s3, s2
	s_add_u32 s6, s12, s4
	s_addc_u32 s7, s13, s5
	global_store_dwordx4 v17, v[5:8], s[6:7]
                                        ; implicit-def: $vgpr17
                                        ; implicit-def: $vgpr1_vgpr2
                                        ; implicit-def: $vgpr5_vgpr6
.LBB474_37:
	s_andn2_saveexec_b64 s[0:1], s[0:1]
	s_cbranch_execz .LBB474_39
; %bb.38:
	s_add_i32 s3, s3, s2
	s_add_u32 s0, s12, s4
	s_addc_u32 s1, s13, s3
	global_load_dwordx4 v[9:12], v17, s[0:1]
	s_waitcnt vmcnt(0)
	v_fma_f64 v[5:6], v[1:2], v[9:10], v[5:6]
	v_fma_f64 v[7:8], v[3:4], v[9:10], v[7:8]
	v_fma_f64 v[3:4], -v[3:4], v[11:12], v[5:6]
	v_fma_f64 v[5:6], v[1:2], v[11:12], v[7:8]
	global_store_dwordx4 v17, v[3:6], s[0:1]
.LBB474_39:
	s_endpgm
	.section	.rodata,"a",@progbits
	.p2align	6, 0x0
	.amdhsa_kernel _ZN9rocsparseL20bsrxmvn_17_32_kernelILj27E21rocsparse_complex_numIdElldS2_S2_EEvT2_20rocsparse_direction_NS_24const_host_device_scalarIT0_EES3_PKS3_PKT1_SC_S9_PKT3_PKT4_S7_PT5_21rocsparse_index_base_b
		.amdhsa_group_segment_fixed_size 11664
		.amdhsa_private_segment_fixed_size 0
		.amdhsa_kernarg_size 120
		.amdhsa_user_sgpr_count 6
		.amdhsa_user_sgpr_private_segment_buffer 1
		.amdhsa_user_sgpr_dispatch_ptr 0
		.amdhsa_user_sgpr_queue_ptr 0
		.amdhsa_user_sgpr_kernarg_segment_ptr 1
		.amdhsa_user_sgpr_dispatch_id 0
		.amdhsa_user_sgpr_flat_scratch_init 0
		.amdhsa_user_sgpr_private_segment_size 0
		.amdhsa_uses_dynamic_stack 0
		.amdhsa_system_sgpr_private_segment_wavefront_offset 0
		.amdhsa_system_sgpr_workgroup_id_x 1
		.amdhsa_system_sgpr_workgroup_id_y 0
		.amdhsa_system_sgpr_workgroup_id_z 0
		.amdhsa_system_sgpr_workgroup_info 0
		.amdhsa_system_vgpr_workitem_id 0
		.amdhsa_next_free_vgpr 29
		.amdhsa_next_free_sgpr 61
		.amdhsa_reserve_vcc 1
		.amdhsa_reserve_flat_scratch 0
		.amdhsa_float_round_mode_32 0
		.amdhsa_float_round_mode_16_64 0
		.amdhsa_float_denorm_mode_32 3
		.amdhsa_float_denorm_mode_16_64 3
		.amdhsa_dx10_clamp 1
		.amdhsa_ieee_mode 1
		.amdhsa_fp16_overflow 0
		.amdhsa_exception_fp_ieee_invalid_op 0
		.amdhsa_exception_fp_denorm_src 0
		.amdhsa_exception_fp_ieee_div_zero 0
		.amdhsa_exception_fp_ieee_overflow 0
		.amdhsa_exception_fp_ieee_underflow 0
		.amdhsa_exception_fp_ieee_inexact 0
		.amdhsa_exception_int_div_zero 0
	.end_amdhsa_kernel
	.section	.text._ZN9rocsparseL20bsrxmvn_17_32_kernelILj27E21rocsparse_complex_numIdElldS2_S2_EEvT2_20rocsparse_direction_NS_24const_host_device_scalarIT0_EES3_PKS3_PKT1_SC_S9_PKT3_PKT4_S7_PT5_21rocsparse_index_base_b,"axG",@progbits,_ZN9rocsparseL20bsrxmvn_17_32_kernelILj27E21rocsparse_complex_numIdElldS2_S2_EEvT2_20rocsparse_direction_NS_24const_host_device_scalarIT0_EES3_PKS3_PKT1_SC_S9_PKT3_PKT4_S7_PT5_21rocsparse_index_base_b,comdat
.Lfunc_end474:
	.size	_ZN9rocsparseL20bsrxmvn_17_32_kernelILj27E21rocsparse_complex_numIdElldS2_S2_EEvT2_20rocsparse_direction_NS_24const_host_device_scalarIT0_EES3_PKS3_PKT1_SC_S9_PKT3_PKT4_S7_PT5_21rocsparse_index_base_b, .Lfunc_end474-_ZN9rocsparseL20bsrxmvn_17_32_kernelILj27E21rocsparse_complex_numIdElldS2_S2_EEvT2_20rocsparse_direction_NS_24const_host_device_scalarIT0_EES3_PKS3_PKT1_SC_S9_PKT3_PKT4_S7_PT5_21rocsparse_index_base_b
                                        ; -- End function
	.set _ZN9rocsparseL20bsrxmvn_17_32_kernelILj27E21rocsparse_complex_numIdElldS2_S2_EEvT2_20rocsparse_direction_NS_24const_host_device_scalarIT0_EES3_PKS3_PKT1_SC_S9_PKT3_PKT4_S7_PT5_21rocsparse_index_base_b.num_vgpr, 29
	.set _ZN9rocsparseL20bsrxmvn_17_32_kernelILj27E21rocsparse_complex_numIdElldS2_S2_EEvT2_20rocsparse_direction_NS_24const_host_device_scalarIT0_EES3_PKS3_PKT1_SC_S9_PKT3_PKT4_S7_PT5_21rocsparse_index_base_b.num_agpr, 0
	.set _ZN9rocsparseL20bsrxmvn_17_32_kernelILj27E21rocsparse_complex_numIdElldS2_S2_EEvT2_20rocsparse_direction_NS_24const_host_device_scalarIT0_EES3_PKS3_PKT1_SC_S9_PKT3_PKT4_S7_PT5_21rocsparse_index_base_b.numbered_sgpr, 22
	.set _ZN9rocsparseL20bsrxmvn_17_32_kernelILj27E21rocsparse_complex_numIdElldS2_S2_EEvT2_20rocsparse_direction_NS_24const_host_device_scalarIT0_EES3_PKS3_PKT1_SC_S9_PKT3_PKT4_S7_PT5_21rocsparse_index_base_b.num_named_barrier, 0
	.set _ZN9rocsparseL20bsrxmvn_17_32_kernelILj27E21rocsparse_complex_numIdElldS2_S2_EEvT2_20rocsparse_direction_NS_24const_host_device_scalarIT0_EES3_PKS3_PKT1_SC_S9_PKT3_PKT4_S7_PT5_21rocsparse_index_base_b.private_seg_size, 0
	.set _ZN9rocsparseL20bsrxmvn_17_32_kernelILj27E21rocsparse_complex_numIdElldS2_S2_EEvT2_20rocsparse_direction_NS_24const_host_device_scalarIT0_EES3_PKS3_PKT1_SC_S9_PKT3_PKT4_S7_PT5_21rocsparse_index_base_b.uses_vcc, 1
	.set _ZN9rocsparseL20bsrxmvn_17_32_kernelILj27E21rocsparse_complex_numIdElldS2_S2_EEvT2_20rocsparse_direction_NS_24const_host_device_scalarIT0_EES3_PKS3_PKT1_SC_S9_PKT3_PKT4_S7_PT5_21rocsparse_index_base_b.uses_flat_scratch, 0
	.set _ZN9rocsparseL20bsrxmvn_17_32_kernelILj27E21rocsparse_complex_numIdElldS2_S2_EEvT2_20rocsparse_direction_NS_24const_host_device_scalarIT0_EES3_PKS3_PKT1_SC_S9_PKT3_PKT4_S7_PT5_21rocsparse_index_base_b.has_dyn_sized_stack, 0
	.set _ZN9rocsparseL20bsrxmvn_17_32_kernelILj27E21rocsparse_complex_numIdElldS2_S2_EEvT2_20rocsparse_direction_NS_24const_host_device_scalarIT0_EES3_PKS3_PKT1_SC_S9_PKT3_PKT4_S7_PT5_21rocsparse_index_base_b.has_recursion, 0
	.set _ZN9rocsparseL20bsrxmvn_17_32_kernelILj27E21rocsparse_complex_numIdElldS2_S2_EEvT2_20rocsparse_direction_NS_24const_host_device_scalarIT0_EES3_PKS3_PKT1_SC_S9_PKT3_PKT4_S7_PT5_21rocsparse_index_base_b.has_indirect_call, 0
	.section	.AMDGPU.csdata,"",@progbits
; Kernel info:
; codeLenInByte = 1732
; TotalNumSgprs: 26
; NumVgprs: 29
; ScratchSize: 0
; MemoryBound: 1
; FloatMode: 240
; IeeeMode: 1
; LDSByteSize: 11664 bytes/workgroup (compile time only)
; SGPRBlocks: 8
; VGPRBlocks: 7
; NumSGPRsForWavesPerEU: 65
; NumVGPRsForWavesPerEU: 29
; Occupancy: 8
; WaveLimiterHint : 1
; COMPUTE_PGM_RSRC2:SCRATCH_EN: 0
; COMPUTE_PGM_RSRC2:USER_SGPR: 6
; COMPUTE_PGM_RSRC2:TRAP_HANDLER: 0
; COMPUTE_PGM_RSRC2:TGID_X_EN: 1
; COMPUTE_PGM_RSRC2:TGID_Y_EN: 0
; COMPUTE_PGM_RSRC2:TGID_Z_EN: 0
; COMPUTE_PGM_RSRC2:TIDIG_COMP_CNT: 0
	.section	.text._ZN9rocsparseL20bsrxmvn_17_32_kernelILj28E21rocsparse_complex_numIdElldS2_S2_EEvT2_20rocsparse_direction_NS_24const_host_device_scalarIT0_EES3_PKS3_PKT1_SC_S9_PKT3_PKT4_S7_PT5_21rocsparse_index_base_b,"axG",@progbits,_ZN9rocsparseL20bsrxmvn_17_32_kernelILj28E21rocsparse_complex_numIdElldS2_S2_EEvT2_20rocsparse_direction_NS_24const_host_device_scalarIT0_EES3_PKS3_PKT1_SC_S9_PKT3_PKT4_S7_PT5_21rocsparse_index_base_b,comdat
	.globl	_ZN9rocsparseL20bsrxmvn_17_32_kernelILj28E21rocsparse_complex_numIdElldS2_S2_EEvT2_20rocsparse_direction_NS_24const_host_device_scalarIT0_EES3_PKS3_PKT1_SC_S9_PKT3_PKT4_S7_PT5_21rocsparse_index_base_b ; -- Begin function _ZN9rocsparseL20bsrxmvn_17_32_kernelILj28E21rocsparse_complex_numIdElldS2_S2_EEvT2_20rocsparse_direction_NS_24const_host_device_scalarIT0_EES3_PKS3_PKT1_SC_S9_PKT3_PKT4_S7_PT5_21rocsparse_index_base_b
	.p2align	8
	.type	_ZN9rocsparseL20bsrxmvn_17_32_kernelILj28E21rocsparse_complex_numIdElldS2_S2_EEvT2_20rocsparse_direction_NS_24const_host_device_scalarIT0_EES3_PKS3_PKT1_SC_S9_PKT3_PKT4_S7_PT5_21rocsparse_index_base_b,@function
_ZN9rocsparseL20bsrxmvn_17_32_kernelILj28E21rocsparse_complex_numIdElldS2_S2_EEvT2_20rocsparse_direction_NS_24const_host_device_scalarIT0_EES3_PKS3_PKT1_SC_S9_PKT3_PKT4_S7_PT5_21rocsparse_index_base_b: ; @_ZN9rocsparseL20bsrxmvn_17_32_kernelILj28E21rocsparse_complex_numIdElldS2_S2_EEvT2_20rocsparse_direction_NS_24const_host_device_scalarIT0_EES3_PKS3_PKT1_SC_S9_PKT3_PKT4_S7_PT5_21rocsparse_index_base_b
; %bb.0:
	s_load_dwordx2 s[0:1], s[4:5], 0x10
	s_load_dwordx2 s[14:15], s[4:5], 0x70
	s_add_u32 s7, s4, 16
	s_addc_u32 s8, s5, 0
	s_add_u32 s9, s4, 0x58
	s_addc_u32 s10, s5, 0
	s_waitcnt lgkmcnt(0)
	s_bitcmp1_b32 s15, 0
	s_cselect_b32 s1, s8, s1
	s_cselect_b32 s0, s7, s0
	v_mov_b32_e32 v1, s0
	v_mov_b32_e32 v2, s1
	flat_load_dwordx4 v[5:8], v[1:2]
	s_load_dwordx2 s[2:3], s[4:5], 0x58
	s_waitcnt lgkmcnt(0)
	s_cselect_b32 s0, s10, s3
	s_cselect_b32 s1, s9, s2
	v_mov_b32_e32 v1, s1
	v_mov_b32_e32 v2, s0
	flat_load_dwordx4 v[1:4], v[1:2]
	s_waitcnt vmcnt(0)
	v_cmp_eq_f64_e32 vcc, 0, v[5:6]
	v_cmp_eq_f64_e64 s[0:1], 0, v[7:8]
	s_and_b64 s[8:9], vcc, s[0:1]
	s_mov_b64 s[0:1], -1
	s_and_saveexec_b64 s[2:3], s[8:9]
	s_cbranch_execz .LBB475_2
; %bb.1:
	s_waitcnt lgkmcnt(0)
	v_cmp_neq_f64_e32 vcc, 1.0, v[1:2]
	v_cmp_neq_f64_e64 s[0:1], 0, v[3:4]
	s_or_b64 s[0:1], vcc, s[0:1]
	s_orn2_b64 s[0:1], s[0:1], exec
.LBB475_2:
	s_or_b64 exec, exec, s[2:3]
	s_and_saveexec_b64 s[2:3], s[0:1]
	s_cbranch_execz .LBB475_39
; %bb.3:
	s_load_dwordx4 s[0:3], s[4:5], 0x28
	s_load_dwordx2 s[8:9], s[4:5], 0x38
	s_mov_b32 s7, 0
	s_waitcnt lgkmcnt(0)
	s_cmp_eq_u64 s[0:1], 0
	s_cbranch_scc1 .LBB475_5
; %bb.4:
	s_lshl_b64 s[6:7], s[6:7], 3
	s_add_u32 s0, s0, s6
	s_addc_u32 s1, s1, s7
	s_load_dwordx2 s[0:1], s[0:1], 0x0
	s_waitcnt lgkmcnt(0)
	s_sub_u32 s6, s0, s14
	s_subb_u32 s7, s1, 0
.LBB475_5:
	s_load_dword s10, s[4:5], 0x8
	s_load_dwordx2 s[12:13], s[4:5], 0x68
	v_mul_u32_u24_e32 v14, 0x925, v0
	v_mov_b32_e32 v9, 28
	v_mul_lo_u16_sdwa v9, v14, v9 dst_sel:DWORD dst_unused:UNUSED_PAD src0_sel:WORD_1 src1_sel:DWORD
	s_waitcnt lgkmcnt(0)
	s_cmp_eq_u32 s10, 1
	s_cselect_b64 s[0:1], -1, 0
	s_cmp_lg_u32 s10, 1
	s_cselect_b64 s[16:17], -1, 0
	s_lshl_b64 s[10:11], s[6:7], 3
	s_add_u32 s20, s2, s10
	s_addc_u32 s21, s3, s11
	s_add_u32 s2, s20, 8
	s_addc_u32 s3, s21, 0
	;; [unrolled: 2-line block ×3, first 2 shown]
	s_cmp_eq_u64 s[8:9], 0
	s_cselect_b32 s9, s3, s11
	s_cselect_b32 s8, s2, s10
	s_load_dwordx2 s[2:3], s[8:9], 0x0
	s_load_dwordx2 s[18:19], s[20:21], 0x0
	v_sub_u16_e32 v21, v0, v9
	v_mov_b32_e32 v11, 0
	v_mov_b32_e32 v13, 0
	s_waitcnt lgkmcnt(0)
	v_mov_b32_e32 v10, s3
	v_mov_b32_e32 v9, s2
	v_cmp_ge_i64_e32 vcc, s[18:19], v[9:10]
	v_mov_b32_e32 v9, 0
	v_mov_b32_e32 v12, 0
	;; [unrolled: 1-line block ×3, first 2 shown]
	s_cbranch_vccnz .LBB475_10
; %bb.6:
	s_load_dwordx2 s[20:21], s[4:5], 0x50
	s_load_dwordx4 s[8:11], s[4:5], 0x40
	s_mov_b32 s4, 0xffff
	s_movk_i32 s5, 0x310
	v_and_b32_sdwa v9, s4, v14 dst_sel:DWORD dst_unused:UNUSED_PAD src0_sel:DWORD src1_sel:WORD_1
	s_sub_u32 s2, s2, s14
	v_subrev_u32_e32 v10, 28, v9
	v_cmp_gt_u32_e32 vcc, s5, v0
	s_subb_u32 s3, s3, 0
	v_cndmask_b32_e32 v9, v10, v9, vcc
	s_sub_u32 s4, s18, s14
	v_cndmask_b32_e64 v12, v21, v9, s[0:1]
	s_subb_u32 s5, s19, 0
	v_lshlrev_b64 v[9:10], 4, v[12:13]
	s_mul_i32 s0, s5, 0x1880
	s_mul_hi_u32 s1, s4, 0x1880
	s_add_i32 s1, s1, s0
	s_mul_i32 s0, s4, 0x1880
	s_waitcnt lgkmcnt(0)
	v_mov_b32_e32 v11, s21
	v_add_co_u32_e32 v13, vcc, s20, v9
	s_add_u32 s0, s10, s0
	v_addc_co_u32_e32 v14, vcc, v11, v10, vcc
	s_addc_u32 s1, s11, s1
	v_lshlrev_b32_e32 v9, 3, v0
	v_mov_b32_e32 v10, s1
	v_add_co_u32_e32 v15, vcc, s0, v9
	v_addc_co_u32_e32 v16, vcc, 0, v10, vcc
	s_movk_i32 s0, 0x30f
	v_cmp_lt_u32_e32 vcc, s0, v0
	v_cndmask_b32_e64 v22, 0, 1, vcc
	v_mov_b32_e32 v9, s19
	v_add_co_u32_e32 v10, vcc, s18, v22
	v_addc_co_u32_e32 v11, vcc, 0, v9, vcc
	v_subrev_co_u32_e32 v9, vcc, s14, v10
	v_subbrev_co_u32_e32 v10, vcc, 0, v11, vcc
	v_lshlrev_b64 v[9:10], 3, v[9:10]
	v_mov_b32_e32 v11, s9
	v_add_co_u32_e32 v17, vcc, s8, v9
	v_addc_co_u32_e32 v18, vcc, v11, v10, vcc
	v_mov_b32_e32 v11, 0
	v_mov_b32_e32 v12, 0
	s_mov_b32 s8, 0
	v_mov_b32_e32 v20, s3
	v_mov_b32_e32 v9, v11
	s_movk_i32 s10, 0x1c0
	s_brev_b32 s9, 1
	v_mov_b32_e32 v19, s2
	v_mov_b32_e32 v10, v12
	s_branch .LBB475_8
.LBB475_7:                              ;   in Loop: Header=BB475_8 Depth=1
	s_or_b64 exec, exec, s[0:1]
	s_add_u32 s4, s4, 1
	s_addc_u32 s5, s5, 0
	v_cmp_lt_i64_e32 vcc, s[4:5], v[19:20]
	v_add_co_u32_e64 v17, s[0:1], 8, v17
	v_addc_co_u32_e64 v18, s[0:1], 0, v18, s[0:1]
	s_cbranch_vccz .LBB475_10
.LBB475_8:                              ; =>This Inner Loop Header: Depth=1
	v_mov_b32_e32 v24, s5
	v_add_co_u32_e32 v23, vcc, s4, v22
	v_addc_co_u32_e32 v24, vcc, 0, v24, vcc
	v_cmp_gt_i64_e32 vcc, s[2:3], v[23:24]
	s_and_saveexec_b64 s[0:1], vcc
	s_cbranch_execz .LBB475_7
; %bb.9:                                ;   in Loop: Header=BB475_8 Depth=1
	global_load_dwordx2 v[23:24], v[17:18], off
	s_waitcnt vmcnt(0)
	v_subrev_co_u32_e32 v23, vcc, s14, v23
	v_subbrev_co_u32_e32 v25, vcc, 0, v24, vcc
	v_mad_u64_u32 v[23:24], s[18:19], v23, s10, v[13:14]
	v_mad_u64_u32 v[24:25], s[18:19], v25, s10, v[24:25]
	global_load_dwordx2 v[27:28], v[15:16], off
	s_nop 0
	global_load_dwordx4 v[23:26], v[23:24], off
	v_add_co_u32_e32 v15, vcc, 0x1880, v15
	v_addc_co_u32_e32 v16, vcc, 0, v16, vcc
	s_waitcnt vmcnt(0)
	v_fma_f64 v[9:10], v[27:28], v[23:24], v[9:10]
	v_fma_f64 v[11:12], v[23:24], 0, v[11:12]
	;; [unrolled: 1-line block ×4, first 2 shown]
	s_branch .LBB475_7
.LBB475_10:
	v_lshlrev_b32_e32 v17, 4, v0
	s_and_b64 vcc, exec, s[16:17]
	ds_write_b128 v17, v[9:12]
	s_waitcnt lgkmcnt(0)
	s_barrier
	s_cbranch_vccz .LBB475_22
; %bb.11:
	v_cmp_gt_u16_e32 vcc, 12, v21
	s_and_saveexec_b64 s[0:1], vcc
	s_cbranch_execz .LBB475_13
; %bb.12:
	ds_read_b128 v[13:16], v17 offset:256
	ds_read_b128 v[22:25], v17
	s_waitcnt lgkmcnt(0)
	v_add_f64 v[13:14], v[13:14], v[22:23]
	v_add_f64 v[15:16], v[15:16], v[24:25]
	ds_write_b128 v17, v[13:16]
.LBB475_13:
	s_or_b64 exec, exec, s[0:1]
	v_cmp_gt_u16_e32 vcc, 8, v21
	s_waitcnt lgkmcnt(0)
	s_barrier
	s_and_saveexec_b64 s[0:1], vcc
	s_cbranch_execz .LBB475_15
; %bb.14:
	ds_read_b128 v[13:16], v17 offset:128
	ds_read_b128 v[22:25], v17
	s_waitcnt lgkmcnt(0)
	v_add_f64 v[13:14], v[13:14], v[22:23]
	v_add_f64 v[15:16], v[15:16], v[24:25]
	ds_write_b128 v17, v[13:16]
.LBB475_15:
	s_or_b64 exec, exec, s[0:1]
	v_cmp_gt_u16_e32 vcc, 4, v21
	s_waitcnt lgkmcnt(0)
	s_barrier
	;; [unrolled: 14-line block ×3, first 2 shown]
	s_and_saveexec_b64 s[0:1], vcc
	s_cbranch_execz .LBB475_19
; %bb.18:
	ds_read_b128 v[13:16], v17
	ds_read_b128 v[18:21], v17 offset:32
	s_waitcnt lgkmcnt(0)
	v_add_f64 v[13:14], v[18:19], v[13:14]
	v_add_f64 v[15:16], v[20:21], v[15:16]
	ds_write_b128 v17, v[13:16]
.LBB475_19:
	s_or_b64 exec, exec, s[0:1]
	v_mov_b32_e32 v16, v12
	v_mov_b32_e32 v14, v10
	v_cmp_gt_u32_e32 vcc, 28, v0
	v_mov_b32_e32 v15, v11
	v_mov_b32_e32 v13, v9
	s_waitcnt lgkmcnt(0)
	s_barrier
	s_and_saveexec_b64 s[0:1], vcc
	s_cbranch_execz .LBB475_21
; %bb.20:
	s_movk_i32 s2, 0x1b0
	v_mad_u32_u24 v18, v0, s2, v17
	ds_read_b128 v[13:16], v18
	ds_read_b128 v[18:21], v18 offset:16
	s_waitcnt lgkmcnt(0)
	v_add_f64 v[13:14], v[18:19], v[13:14]
	v_add_f64 v[15:16], v[20:21], v[15:16]
.LBB475_21:
	s_or_b64 exec, exec, s[0:1]
	s_branch .LBB475_34
.LBB475_22:
                                        ; implicit-def: $vgpr15_vgpr16
                                        ; implicit-def: $vgpr13_vgpr14
	s_cbranch_execz .LBB475_34
; %bb.23:
	s_movk_i32 s0, 0x150
	v_cmp_gt_u32_e32 vcc, s0, v0
	s_and_saveexec_b64 s[0:1], vcc
	s_cbranch_execz .LBB475_25
; %bb.24:
	ds_read_b128 v[13:16], v17 offset:7168
	ds_read_b128 v[18:21], v17
	s_waitcnt lgkmcnt(0)
	v_add_f64 v[13:14], v[13:14], v[18:19]
	v_add_f64 v[15:16], v[15:16], v[20:21]
	ds_write_b128 v17, v[13:16]
.LBB475_25:
	s_or_b64 exec, exec, s[0:1]
	s_movk_i32 s0, 0xe0
	v_cmp_gt_u32_e32 vcc, s0, v0
	s_waitcnt lgkmcnt(0)
	s_barrier
	s_and_saveexec_b64 s[0:1], vcc
	s_cbranch_execz .LBB475_27
; %bb.26:
	ds_read_b128 v[13:16], v17 offset:3584
	ds_read_b128 v[18:21], v17
	s_waitcnt lgkmcnt(0)
	v_add_f64 v[13:14], v[13:14], v[18:19]
	v_add_f64 v[15:16], v[15:16], v[20:21]
	ds_write_b128 v17, v[13:16]
.LBB475_27:
	s_or_b64 exec, exec, s[0:1]
	s_movk_i32 s0, 0x70
	v_cmp_gt_u32_e32 vcc, s0, v0
	s_waitcnt lgkmcnt(0)
	s_barrier
	s_and_saveexec_b64 s[0:1], vcc
	s_cbranch_execz .LBB475_29
; %bb.28:
	ds_read_b128 v[13:16], v17 offset:1792
	ds_read_b128 v[18:21], v17
	s_waitcnt lgkmcnt(0)
	v_add_f64 v[13:14], v[13:14], v[18:19]
	v_add_f64 v[15:16], v[15:16], v[20:21]
	ds_write_b128 v17, v[13:16]
.LBB475_29:
	s_or_b64 exec, exec, s[0:1]
	v_cmp_gt_u32_e32 vcc, 56, v0
	s_waitcnt lgkmcnt(0)
	s_barrier
	s_and_saveexec_b64 s[0:1], vcc
	s_cbranch_execz .LBB475_31
; %bb.30:
	ds_read_b128 v[13:16], v17 offset:896
	ds_read_b128 v[18:21], v17
	s_waitcnt lgkmcnt(0)
	v_add_f64 v[13:14], v[13:14], v[18:19]
	v_add_f64 v[15:16], v[15:16], v[20:21]
	ds_write_b128 v17, v[13:16]
.LBB475_31:
	s_or_b64 exec, exec, s[0:1]
	v_cmp_gt_u32_e32 vcc, 28, v0
	s_waitcnt lgkmcnt(0)
	s_and_saveexec_b64 s[0:1], vcc
	s_cbranch_execz .LBB475_33
; %bb.32:
	ds_read_b128 v[9:12], v17 offset:448
	ds_read_b128 v[13:16], v17
	s_waitcnt lgkmcnt(0)
	v_add_f64 v[9:10], v[9:10], v[13:14]
	v_add_f64 v[11:12], v[11:12], v[15:16]
.LBB475_33:
	s_or_b64 exec, exec, s[0:1]
	v_mov_b32_e32 v16, v12
	v_mov_b32_e32 v14, v10
	;; [unrolled: 1-line block ×4, first 2 shown]
.LBB475_34:
	v_cmp_gt_u32_e32 vcc, 28, v0
	s_and_b64 exec, exec, vcc
	s_cbranch_execz .LBB475_39
; %bb.35:
	v_mul_f64 v[9:10], v[15:16], -v[7:8]
	v_mul_f64 v[11:12], v[5:6], v[15:16]
	v_cmp_eq_f64_e32 vcc, 0, v[1:2]
	v_cmp_eq_f64_e64 s[0:1], 0, v[3:4]
	s_mul_i32 s2, s7, 0x1c0
	s_mul_hi_u32 s3, s6, 0x1c0
	s_mul_i32 s4, s6, 0x1c0
	v_fma_f64 v[5:6], v[5:6], v[13:14], v[9:10]
	v_fma_f64 v[7:8], v[7:8], v[13:14], v[11:12]
	s_and_b64 s[0:1], vcc, s[0:1]
	s_and_saveexec_b64 s[6:7], s[0:1]
	s_xor_b64 s[0:1], exec, s[6:7]
	s_cbranch_execz .LBB475_37
; %bb.36:
	s_add_i32 s5, s3, s2
	s_add_u32 s6, s12, s4
	s_addc_u32 s7, s13, s5
	global_store_dwordx4 v17, v[5:8], s[6:7]
                                        ; implicit-def: $vgpr17
                                        ; implicit-def: $vgpr1_vgpr2
                                        ; implicit-def: $vgpr5_vgpr6
.LBB475_37:
	s_andn2_saveexec_b64 s[0:1], s[0:1]
	s_cbranch_execz .LBB475_39
; %bb.38:
	s_add_i32 s3, s3, s2
	s_add_u32 s0, s12, s4
	s_addc_u32 s1, s13, s3
	global_load_dwordx4 v[9:12], v17, s[0:1]
	s_waitcnt vmcnt(0)
	v_fma_f64 v[5:6], v[1:2], v[9:10], v[5:6]
	v_fma_f64 v[7:8], v[3:4], v[9:10], v[7:8]
	v_fma_f64 v[3:4], -v[3:4], v[11:12], v[5:6]
	v_fma_f64 v[5:6], v[1:2], v[11:12], v[7:8]
	global_store_dwordx4 v17, v[3:6], s[0:1]
.LBB475_39:
	s_endpgm
	.section	.rodata,"a",@progbits
	.p2align	6, 0x0
	.amdhsa_kernel _ZN9rocsparseL20bsrxmvn_17_32_kernelILj28E21rocsparse_complex_numIdElldS2_S2_EEvT2_20rocsparse_direction_NS_24const_host_device_scalarIT0_EES3_PKS3_PKT1_SC_S9_PKT3_PKT4_S7_PT5_21rocsparse_index_base_b
		.amdhsa_group_segment_fixed_size 12544
		.amdhsa_private_segment_fixed_size 0
		.amdhsa_kernarg_size 120
		.amdhsa_user_sgpr_count 6
		.amdhsa_user_sgpr_private_segment_buffer 1
		.amdhsa_user_sgpr_dispatch_ptr 0
		.amdhsa_user_sgpr_queue_ptr 0
		.amdhsa_user_sgpr_kernarg_segment_ptr 1
		.amdhsa_user_sgpr_dispatch_id 0
		.amdhsa_user_sgpr_flat_scratch_init 0
		.amdhsa_user_sgpr_private_segment_size 0
		.amdhsa_uses_dynamic_stack 0
		.amdhsa_system_sgpr_private_segment_wavefront_offset 0
		.amdhsa_system_sgpr_workgroup_id_x 1
		.amdhsa_system_sgpr_workgroup_id_y 0
		.amdhsa_system_sgpr_workgroup_id_z 0
		.amdhsa_system_sgpr_workgroup_info 0
		.amdhsa_system_vgpr_workitem_id 0
		.amdhsa_next_free_vgpr 29
		.amdhsa_next_free_sgpr 22
		.amdhsa_reserve_vcc 1
		.amdhsa_reserve_flat_scratch 0
		.amdhsa_float_round_mode_32 0
		.amdhsa_float_round_mode_16_64 0
		.amdhsa_float_denorm_mode_32 3
		.amdhsa_float_denorm_mode_16_64 3
		.amdhsa_dx10_clamp 1
		.amdhsa_ieee_mode 1
		.amdhsa_fp16_overflow 0
		.amdhsa_exception_fp_ieee_invalid_op 0
		.amdhsa_exception_fp_denorm_src 0
		.amdhsa_exception_fp_ieee_div_zero 0
		.amdhsa_exception_fp_ieee_overflow 0
		.amdhsa_exception_fp_ieee_underflow 0
		.amdhsa_exception_fp_ieee_inexact 0
		.amdhsa_exception_int_div_zero 0
	.end_amdhsa_kernel
	.section	.text._ZN9rocsparseL20bsrxmvn_17_32_kernelILj28E21rocsparse_complex_numIdElldS2_S2_EEvT2_20rocsparse_direction_NS_24const_host_device_scalarIT0_EES3_PKS3_PKT1_SC_S9_PKT3_PKT4_S7_PT5_21rocsparse_index_base_b,"axG",@progbits,_ZN9rocsparseL20bsrxmvn_17_32_kernelILj28E21rocsparse_complex_numIdElldS2_S2_EEvT2_20rocsparse_direction_NS_24const_host_device_scalarIT0_EES3_PKS3_PKT1_SC_S9_PKT3_PKT4_S7_PT5_21rocsparse_index_base_b,comdat
.Lfunc_end475:
	.size	_ZN9rocsparseL20bsrxmvn_17_32_kernelILj28E21rocsparse_complex_numIdElldS2_S2_EEvT2_20rocsparse_direction_NS_24const_host_device_scalarIT0_EES3_PKS3_PKT1_SC_S9_PKT3_PKT4_S7_PT5_21rocsparse_index_base_b, .Lfunc_end475-_ZN9rocsparseL20bsrxmvn_17_32_kernelILj28E21rocsparse_complex_numIdElldS2_S2_EEvT2_20rocsparse_direction_NS_24const_host_device_scalarIT0_EES3_PKS3_PKT1_SC_S9_PKT3_PKT4_S7_PT5_21rocsparse_index_base_b
                                        ; -- End function
	.set _ZN9rocsparseL20bsrxmvn_17_32_kernelILj28E21rocsparse_complex_numIdElldS2_S2_EEvT2_20rocsparse_direction_NS_24const_host_device_scalarIT0_EES3_PKS3_PKT1_SC_S9_PKT3_PKT4_S7_PT5_21rocsparse_index_base_b.num_vgpr, 29
	.set _ZN9rocsparseL20bsrxmvn_17_32_kernelILj28E21rocsparse_complex_numIdElldS2_S2_EEvT2_20rocsparse_direction_NS_24const_host_device_scalarIT0_EES3_PKS3_PKT1_SC_S9_PKT3_PKT4_S7_PT5_21rocsparse_index_base_b.num_agpr, 0
	.set _ZN9rocsparseL20bsrxmvn_17_32_kernelILj28E21rocsparse_complex_numIdElldS2_S2_EEvT2_20rocsparse_direction_NS_24const_host_device_scalarIT0_EES3_PKS3_PKT1_SC_S9_PKT3_PKT4_S7_PT5_21rocsparse_index_base_b.numbered_sgpr, 22
	.set _ZN9rocsparseL20bsrxmvn_17_32_kernelILj28E21rocsparse_complex_numIdElldS2_S2_EEvT2_20rocsparse_direction_NS_24const_host_device_scalarIT0_EES3_PKS3_PKT1_SC_S9_PKT3_PKT4_S7_PT5_21rocsparse_index_base_b.num_named_barrier, 0
	.set _ZN9rocsparseL20bsrxmvn_17_32_kernelILj28E21rocsparse_complex_numIdElldS2_S2_EEvT2_20rocsparse_direction_NS_24const_host_device_scalarIT0_EES3_PKS3_PKT1_SC_S9_PKT3_PKT4_S7_PT5_21rocsparse_index_base_b.private_seg_size, 0
	.set _ZN9rocsparseL20bsrxmvn_17_32_kernelILj28E21rocsparse_complex_numIdElldS2_S2_EEvT2_20rocsparse_direction_NS_24const_host_device_scalarIT0_EES3_PKS3_PKT1_SC_S9_PKT3_PKT4_S7_PT5_21rocsparse_index_base_b.uses_vcc, 1
	.set _ZN9rocsparseL20bsrxmvn_17_32_kernelILj28E21rocsparse_complex_numIdElldS2_S2_EEvT2_20rocsparse_direction_NS_24const_host_device_scalarIT0_EES3_PKS3_PKT1_SC_S9_PKT3_PKT4_S7_PT5_21rocsparse_index_base_b.uses_flat_scratch, 0
	.set _ZN9rocsparseL20bsrxmvn_17_32_kernelILj28E21rocsparse_complex_numIdElldS2_S2_EEvT2_20rocsparse_direction_NS_24const_host_device_scalarIT0_EES3_PKS3_PKT1_SC_S9_PKT3_PKT4_S7_PT5_21rocsparse_index_base_b.has_dyn_sized_stack, 0
	.set _ZN9rocsparseL20bsrxmvn_17_32_kernelILj28E21rocsparse_complex_numIdElldS2_S2_EEvT2_20rocsparse_direction_NS_24const_host_device_scalarIT0_EES3_PKS3_PKT1_SC_S9_PKT3_PKT4_S7_PT5_21rocsparse_index_base_b.has_recursion, 0
	.set _ZN9rocsparseL20bsrxmvn_17_32_kernelILj28E21rocsparse_complex_numIdElldS2_S2_EEvT2_20rocsparse_direction_NS_24const_host_device_scalarIT0_EES3_PKS3_PKT1_SC_S9_PKT3_PKT4_S7_PT5_21rocsparse_index_base_b.has_indirect_call, 0
	.section	.AMDGPU.csdata,"",@progbits
; Kernel info:
; codeLenInByte = 1732
; TotalNumSgprs: 26
; NumVgprs: 29
; ScratchSize: 0
; MemoryBound: 1
; FloatMode: 240
; IeeeMode: 1
; LDSByteSize: 12544 bytes/workgroup (compile time only)
; SGPRBlocks: 3
; VGPRBlocks: 7
; NumSGPRsForWavesPerEU: 26
; NumVGPRsForWavesPerEU: 29
; Occupancy: 8
; WaveLimiterHint : 1
; COMPUTE_PGM_RSRC2:SCRATCH_EN: 0
; COMPUTE_PGM_RSRC2:USER_SGPR: 6
; COMPUTE_PGM_RSRC2:TRAP_HANDLER: 0
; COMPUTE_PGM_RSRC2:TGID_X_EN: 1
; COMPUTE_PGM_RSRC2:TGID_Y_EN: 0
; COMPUTE_PGM_RSRC2:TGID_Z_EN: 0
; COMPUTE_PGM_RSRC2:TIDIG_COMP_CNT: 0
	.section	.text._ZN9rocsparseL20bsrxmvn_17_32_kernelILj29E21rocsparse_complex_numIdElldS2_S2_EEvT2_20rocsparse_direction_NS_24const_host_device_scalarIT0_EES3_PKS3_PKT1_SC_S9_PKT3_PKT4_S7_PT5_21rocsparse_index_base_b,"axG",@progbits,_ZN9rocsparseL20bsrxmvn_17_32_kernelILj29E21rocsparse_complex_numIdElldS2_S2_EEvT2_20rocsparse_direction_NS_24const_host_device_scalarIT0_EES3_PKS3_PKT1_SC_S9_PKT3_PKT4_S7_PT5_21rocsparse_index_base_b,comdat
	.globl	_ZN9rocsparseL20bsrxmvn_17_32_kernelILj29E21rocsparse_complex_numIdElldS2_S2_EEvT2_20rocsparse_direction_NS_24const_host_device_scalarIT0_EES3_PKS3_PKT1_SC_S9_PKT3_PKT4_S7_PT5_21rocsparse_index_base_b ; -- Begin function _ZN9rocsparseL20bsrxmvn_17_32_kernelILj29E21rocsparse_complex_numIdElldS2_S2_EEvT2_20rocsparse_direction_NS_24const_host_device_scalarIT0_EES3_PKS3_PKT1_SC_S9_PKT3_PKT4_S7_PT5_21rocsparse_index_base_b
	.p2align	8
	.type	_ZN9rocsparseL20bsrxmvn_17_32_kernelILj29E21rocsparse_complex_numIdElldS2_S2_EEvT2_20rocsparse_direction_NS_24const_host_device_scalarIT0_EES3_PKS3_PKT1_SC_S9_PKT3_PKT4_S7_PT5_21rocsparse_index_base_b,@function
_ZN9rocsparseL20bsrxmvn_17_32_kernelILj29E21rocsparse_complex_numIdElldS2_S2_EEvT2_20rocsparse_direction_NS_24const_host_device_scalarIT0_EES3_PKS3_PKT1_SC_S9_PKT3_PKT4_S7_PT5_21rocsparse_index_base_b: ; @_ZN9rocsparseL20bsrxmvn_17_32_kernelILj29E21rocsparse_complex_numIdElldS2_S2_EEvT2_20rocsparse_direction_NS_24const_host_device_scalarIT0_EES3_PKS3_PKT1_SC_S9_PKT3_PKT4_S7_PT5_21rocsparse_index_base_b
; %bb.0:
	s_load_dwordx2 s[0:1], s[4:5], 0x10
	s_load_dwordx2 s[14:15], s[4:5], 0x70
	s_add_u32 s7, s4, 16
	s_addc_u32 s8, s5, 0
	s_add_u32 s9, s4, 0x58
	s_addc_u32 s10, s5, 0
	s_waitcnt lgkmcnt(0)
	s_bitcmp1_b32 s15, 0
	s_cselect_b32 s1, s8, s1
	s_cselect_b32 s0, s7, s0
	v_mov_b32_e32 v1, s0
	v_mov_b32_e32 v2, s1
	flat_load_dwordx4 v[5:8], v[1:2]
	s_load_dwordx2 s[2:3], s[4:5], 0x58
	s_waitcnt lgkmcnt(0)
	s_cselect_b32 s0, s10, s3
	s_cselect_b32 s1, s9, s2
	v_mov_b32_e32 v1, s1
	v_mov_b32_e32 v2, s0
	flat_load_dwordx4 v[1:4], v[1:2]
	s_waitcnt vmcnt(0)
	v_cmp_eq_f64_e32 vcc, 0, v[5:6]
	v_cmp_eq_f64_e64 s[0:1], 0, v[7:8]
	s_and_b64 s[8:9], vcc, s[0:1]
	s_mov_b64 s[0:1], -1
	s_and_saveexec_b64 s[2:3], s[8:9]
	s_cbranch_execz .LBB476_2
; %bb.1:
	s_waitcnt lgkmcnt(0)
	v_cmp_neq_f64_e32 vcc, 1.0, v[1:2]
	v_cmp_neq_f64_e64 s[0:1], 0, v[3:4]
	s_or_b64 s[0:1], vcc, s[0:1]
	s_orn2_b64 s[0:1], s[0:1], exec
.LBB476_2:
	s_or_b64 exec, exec, s[2:3]
	s_and_saveexec_b64 s[2:3], s[0:1]
	s_cbranch_execz .LBB476_39
; %bb.3:
	s_load_dwordx4 s[0:3], s[4:5], 0x28
	s_load_dwordx2 s[8:9], s[4:5], 0x38
	s_mov_b32 s7, 0
	s_waitcnt lgkmcnt(0)
	s_cmp_eq_u64 s[0:1], 0
	s_cbranch_scc1 .LBB476_5
; %bb.4:
	s_lshl_b64 s[6:7], s[6:7], 3
	s_add_u32 s0, s0, s6
	s_addc_u32 s1, s1, s7
	s_load_dwordx2 s[0:1], s[0:1], 0x0
	s_waitcnt lgkmcnt(0)
	s_sub_u32 s6, s0, s14
	s_subb_u32 s7, s1, 0
.LBB476_5:
	s_load_dword s10, s[4:5], 0x8
	s_load_dwordx2 s[12:13], s[4:5], 0x68
	v_mul_u32_u24_e32 v14, 0x8d4, v0
	v_mov_b32_e32 v9, 29
	v_mul_lo_u16_sdwa v9, v14, v9 dst_sel:DWORD dst_unused:UNUSED_PAD src0_sel:WORD_1 src1_sel:DWORD
	s_waitcnt lgkmcnt(0)
	s_cmp_eq_u32 s10, 1
	s_cselect_b64 s[0:1], -1, 0
	s_cmp_lg_u32 s10, 1
	s_cselect_b64 s[16:17], -1, 0
	s_lshl_b64 s[10:11], s[6:7], 3
	s_add_u32 s20, s2, s10
	s_addc_u32 s21, s3, s11
	s_add_u32 s2, s20, 8
	s_addc_u32 s3, s21, 0
	;; [unrolled: 2-line block ×3, first 2 shown]
	s_cmp_eq_u64 s[8:9], 0
	s_cselect_b32 s9, s3, s11
	s_cselect_b32 s8, s2, s10
	s_load_dwordx2 s[2:3], s[8:9], 0x0
	s_load_dwordx2 s[18:19], s[20:21], 0x0
	v_sub_u16_e32 v21, v0, v9
	v_mov_b32_e32 v11, 0
	v_mov_b32_e32 v13, 0
	s_waitcnt lgkmcnt(0)
	v_mov_b32_e32 v10, s3
	v_mov_b32_e32 v9, s2
	v_cmp_ge_i64_e32 vcc, s[18:19], v[9:10]
	v_mov_b32_e32 v9, 0
	v_mov_b32_e32 v12, 0
	;; [unrolled: 1-line block ×3, first 2 shown]
	s_cbranch_vccnz .LBB476_10
; %bb.6:
	s_load_dwordx2 s[20:21], s[4:5], 0x50
	s_load_dwordx4 s[8:11], s[4:5], 0x40
	s_mov_b32 s4, 0xffff
	s_movk_i32 s5, 0x349
	v_and_b32_sdwa v9, s4, v14 dst_sel:DWORD dst_unused:UNUSED_PAD src0_sel:DWORD src1_sel:WORD_1
	s_sub_u32 s2, s2, s14
	v_subrev_u32_e32 v10, 29, v9
	v_cmp_gt_u32_e32 vcc, s5, v0
	s_subb_u32 s3, s3, 0
	v_cndmask_b32_e32 v9, v10, v9, vcc
	s_sub_u32 s4, s18, s14
	v_cndmask_b32_e64 v12, v21, v9, s[0:1]
	s_subb_u32 s5, s19, 0
	v_lshlrev_b64 v[9:10], 4, v[12:13]
	s_mul_i32 s0, s5, 0x1a48
	s_mul_hi_u32 s1, s4, 0x1a48
	s_add_i32 s1, s1, s0
	s_mul_i32 s0, s4, 0x1a48
	s_waitcnt lgkmcnt(0)
	v_mov_b32_e32 v11, s21
	v_add_co_u32_e32 v13, vcc, s20, v9
	s_add_u32 s0, s10, s0
	v_addc_co_u32_e32 v14, vcc, v11, v10, vcc
	s_addc_u32 s1, s11, s1
	v_lshlrev_b32_e32 v9, 3, v0
	v_mov_b32_e32 v10, s1
	v_add_co_u32_e32 v15, vcc, s0, v9
	v_addc_co_u32_e32 v16, vcc, 0, v10, vcc
	s_movk_i32 s0, 0x348
	v_cmp_lt_u32_e32 vcc, s0, v0
	v_cndmask_b32_e64 v22, 0, 1, vcc
	v_mov_b32_e32 v9, s19
	v_add_co_u32_e32 v10, vcc, s18, v22
	v_addc_co_u32_e32 v11, vcc, 0, v9, vcc
	v_subrev_co_u32_e32 v9, vcc, s14, v10
	v_subbrev_co_u32_e32 v10, vcc, 0, v11, vcc
	v_lshlrev_b64 v[9:10], 3, v[9:10]
	v_mov_b32_e32 v11, s9
	v_add_co_u32_e32 v17, vcc, s8, v9
	v_addc_co_u32_e32 v18, vcc, v11, v10, vcc
	v_mov_b32_e32 v11, 0
	v_mov_b32_e32 v12, 0
	s_mov_b32 s8, 0
	v_mov_b32_e32 v20, s3
	v_mov_b32_e32 v9, v11
	s_movk_i32 s10, 0x1d0
	s_brev_b32 s9, 1
	v_mov_b32_e32 v19, s2
	v_mov_b32_e32 v10, v12
	s_branch .LBB476_8
.LBB476_7:                              ;   in Loop: Header=BB476_8 Depth=1
	s_or_b64 exec, exec, s[0:1]
	s_add_u32 s4, s4, 1
	s_addc_u32 s5, s5, 0
	v_cmp_lt_i64_e32 vcc, s[4:5], v[19:20]
	v_add_co_u32_e64 v17, s[0:1], 8, v17
	v_addc_co_u32_e64 v18, s[0:1], 0, v18, s[0:1]
	s_cbranch_vccz .LBB476_10
.LBB476_8:                              ; =>This Inner Loop Header: Depth=1
	v_mov_b32_e32 v24, s5
	v_add_co_u32_e32 v23, vcc, s4, v22
	v_addc_co_u32_e32 v24, vcc, 0, v24, vcc
	v_cmp_gt_i64_e32 vcc, s[2:3], v[23:24]
	s_and_saveexec_b64 s[0:1], vcc
	s_cbranch_execz .LBB476_7
; %bb.9:                                ;   in Loop: Header=BB476_8 Depth=1
	global_load_dwordx2 v[23:24], v[17:18], off
	s_waitcnt vmcnt(0)
	v_subrev_co_u32_e32 v23, vcc, s14, v23
	v_subbrev_co_u32_e32 v25, vcc, 0, v24, vcc
	v_mad_u64_u32 v[23:24], s[18:19], v23, s10, v[13:14]
	v_mad_u64_u32 v[24:25], s[18:19], v25, s10, v[24:25]
	global_load_dwordx2 v[27:28], v[15:16], off
	s_nop 0
	global_load_dwordx4 v[23:26], v[23:24], off
	v_add_co_u32_e32 v15, vcc, 0x1a48, v15
	v_addc_co_u32_e32 v16, vcc, 0, v16, vcc
	s_waitcnt vmcnt(0)
	v_fma_f64 v[9:10], v[27:28], v[23:24], v[9:10]
	v_fma_f64 v[11:12], v[23:24], 0, v[11:12]
	;; [unrolled: 1-line block ×4, first 2 shown]
	s_branch .LBB476_7
.LBB476_10:
	v_lshlrev_b32_e32 v17, 4, v0
	s_and_b64 vcc, exec, s[16:17]
	ds_write_b128 v17, v[9:12]
	s_waitcnt lgkmcnt(0)
	s_barrier
	s_cbranch_vccz .LBB476_22
; %bb.11:
	v_cmp_gt_u16_e32 vcc, 13, v21
	s_and_saveexec_b64 s[0:1], vcc
	s_cbranch_execz .LBB476_13
; %bb.12:
	ds_read_b128 v[13:16], v17 offset:256
	ds_read_b128 v[22:25], v17
	s_waitcnt lgkmcnt(0)
	v_add_f64 v[13:14], v[13:14], v[22:23]
	v_add_f64 v[15:16], v[15:16], v[24:25]
	ds_write_b128 v17, v[13:16]
.LBB476_13:
	s_or_b64 exec, exec, s[0:1]
	v_cmp_gt_u16_e32 vcc, 8, v21
	s_waitcnt lgkmcnt(0)
	s_barrier
	s_and_saveexec_b64 s[0:1], vcc
	s_cbranch_execz .LBB476_15
; %bb.14:
	ds_read_b128 v[13:16], v17 offset:128
	ds_read_b128 v[22:25], v17
	s_waitcnt lgkmcnt(0)
	v_add_f64 v[13:14], v[13:14], v[22:23]
	v_add_f64 v[15:16], v[15:16], v[24:25]
	ds_write_b128 v17, v[13:16]
.LBB476_15:
	s_or_b64 exec, exec, s[0:1]
	v_cmp_gt_u16_e32 vcc, 4, v21
	s_waitcnt lgkmcnt(0)
	s_barrier
	;; [unrolled: 14-line block ×3, first 2 shown]
	s_and_saveexec_b64 s[0:1], vcc
	s_cbranch_execz .LBB476_19
; %bb.18:
	ds_read_b128 v[13:16], v17
	ds_read_b128 v[18:21], v17 offset:32
	s_waitcnt lgkmcnt(0)
	v_add_f64 v[13:14], v[18:19], v[13:14]
	v_add_f64 v[15:16], v[20:21], v[15:16]
	ds_write_b128 v17, v[13:16]
.LBB476_19:
	s_or_b64 exec, exec, s[0:1]
	v_mov_b32_e32 v16, v12
	v_mov_b32_e32 v14, v10
	v_cmp_gt_u32_e32 vcc, 29, v0
	v_mov_b32_e32 v15, v11
	v_mov_b32_e32 v13, v9
	s_waitcnt lgkmcnt(0)
	s_barrier
	s_and_saveexec_b64 s[0:1], vcc
	s_cbranch_execz .LBB476_21
; %bb.20:
	s_movk_i32 s2, 0x1c0
	v_mad_u32_u24 v18, v0, s2, v17
	ds_read_b128 v[13:16], v18
	ds_read_b128 v[18:21], v18 offset:16
	s_waitcnt lgkmcnt(0)
	v_add_f64 v[13:14], v[18:19], v[13:14]
	v_add_f64 v[15:16], v[20:21], v[15:16]
.LBB476_21:
	s_or_b64 exec, exec, s[0:1]
	s_branch .LBB476_34
.LBB476_22:
                                        ; implicit-def: $vgpr15_vgpr16
                                        ; implicit-def: $vgpr13_vgpr14
	s_cbranch_execz .LBB476_34
; %bb.23:
	s_movk_i32 s0, 0x179
	v_cmp_gt_u32_e32 vcc, s0, v0
	s_and_saveexec_b64 s[0:1], vcc
	s_cbranch_execz .LBB476_25
; %bb.24:
	ds_read_b128 v[13:16], v17 offset:7424
	ds_read_b128 v[18:21], v17
	s_waitcnt lgkmcnt(0)
	v_add_f64 v[13:14], v[13:14], v[18:19]
	v_add_f64 v[15:16], v[15:16], v[20:21]
	ds_write_b128 v17, v[13:16]
.LBB476_25:
	s_or_b64 exec, exec, s[0:1]
	s_movk_i32 s0, 0xe8
	v_cmp_gt_u32_e32 vcc, s0, v0
	s_waitcnt lgkmcnt(0)
	s_barrier
	s_and_saveexec_b64 s[0:1], vcc
	s_cbranch_execz .LBB476_27
; %bb.26:
	ds_read_b128 v[13:16], v17 offset:3712
	ds_read_b128 v[18:21], v17
	s_waitcnt lgkmcnt(0)
	v_add_f64 v[13:14], v[13:14], v[18:19]
	v_add_f64 v[15:16], v[15:16], v[20:21]
	ds_write_b128 v17, v[13:16]
.LBB476_27:
	s_or_b64 exec, exec, s[0:1]
	s_movk_i32 s0, 0x74
	v_cmp_gt_u32_e32 vcc, s0, v0
	s_waitcnt lgkmcnt(0)
	s_barrier
	s_and_saveexec_b64 s[0:1], vcc
	s_cbranch_execz .LBB476_29
; %bb.28:
	ds_read_b128 v[13:16], v17 offset:1856
	ds_read_b128 v[18:21], v17
	s_waitcnt lgkmcnt(0)
	v_add_f64 v[13:14], v[13:14], v[18:19]
	v_add_f64 v[15:16], v[15:16], v[20:21]
	ds_write_b128 v17, v[13:16]
.LBB476_29:
	s_or_b64 exec, exec, s[0:1]
	v_cmp_gt_u32_e32 vcc, 58, v0
	s_waitcnt lgkmcnt(0)
	s_barrier
	s_and_saveexec_b64 s[0:1], vcc
	s_cbranch_execz .LBB476_31
; %bb.30:
	ds_read_b128 v[13:16], v17 offset:928
	ds_read_b128 v[18:21], v17
	s_waitcnt lgkmcnt(0)
	v_add_f64 v[13:14], v[13:14], v[18:19]
	v_add_f64 v[15:16], v[15:16], v[20:21]
	ds_write_b128 v17, v[13:16]
.LBB476_31:
	s_or_b64 exec, exec, s[0:1]
	v_cmp_gt_u32_e32 vcc, 29, v0
	s_waitcnt lgkmcnt(0)
	s_and_saveexec_b64 s[0:1], vcc
	s_cbranch_execz .LBB476_33
; %bb.32:
	ds_read_b128 v[9:12], v17 offset:464
	ds_read_b128 v[13:16], v17
	s_waitcnt lgkmcnt(0)
	v_add_f64 v[9:10], v[9:10], v[13:14]
	v_add_f64 v[11:12], v[11:12], v[15:16]
.LBB476_33:
	s_or_b64 exec, exec, s[0:1]
	v_mov_b32_e32 v16, v12
	v_mov_b32_e32 v14, v10
	v_mov_b32_e32 v15, v11
	v_mov_b32_e32 v13, v9
.LBB476_34:
	v_cmp_gt_u32_e32 vcc, 29, v0
	s_and_b64 exec, exec, vcc
	s_cbranch_execz .LBB476_39
; %bb.35:
	v_mul_f64 v[9:10], v[15:16], -v[7:8]
	v_mul_f64 v[11:12], v[5:6], v[15:16]
	v_cmp_eq_f64_e32 vcc, 0, v[1:2]
	v_cmp_eq_f64_e64 s[0:1], 0, v[3:4]
	s_mul_i32 s2, s7, 0x1d0
	s_mul_hi_u32 s3, s6, 0x1d0
	s_mul_i32 s4, s6, 0x1d0
	v_fma_f64 v[5:6], v[5:6], v[13:14], v[9:10]
	v_fma_f64 v[7:8], v[7:8], v[13:14], v[11:12]
	s_and_b64 s[0:1], vcc, s[0:1]
	s_and_saveexec_b64 s[6:7], s[0:1]
	s_xor_b64 s[0:1], exec, s[6:7]
	s_cbranch_execz .LBB476_37
; %bb.36:
	s_add_i32 s5, s3, s2
	s_add_u32 s6, s12, s4
	s_addc_u32 s7, s13, s5
	global_store_dwordx4 v17, v[5:8], s[6:7]
                                        ; implicit-def: $vgpr17
                                        ; implicit-def: $vgpr1_vgpr2
                                        ; implicit-def: $vgpr5_vgpr6
.LBB476_37:
	s_andn2_saveexec_b64 s[0:1], s[0:1]
	s_cbranch_execz .LBB476_39
; %bb.38:
	s_add_i32 s3, s3, s2
	s_add_u32 s0, s12, s4
	s_addc_u32 s1, s13, s3
	global_load_dwordx4 v[9:12], v17, s[0:1]
	s_waitcnt vmcnt(0)
	v_fma_f64 v[5:6], v[1:2], v[9:10], v[5:6]
	v_fma_f64 v[7:8], v[3:4], v[9:10], v[7:8]
	v_fma_f64 v[3:4], -v[3:4], v[11:12], v[5:6]
	v_fma_f64 v[5:6], v[1:2], v[11:12], v[7:8]
	global_store_dwordx4 v17, v[3:6], s[0:1]
.LBB476_39:
	s_endpgm
	.section	.rodata,"a",@progbits
	.p2align	6, 0x0
	.amdhsa_kernel _ZN9rocsparseL20bsrxmvn_17_32_kernelILj29E21rocsparse_complex_numIdElldS2_S2_EEvT2_20rocsparse_direction_NS_24const_host_device_scalarIT0_EES3_PKS3_PKT1_SC_S9_PKT3_PKT4_S7_PT5_21rocsparse_index_base_b
		.amdhsa_group_segment_fixed_size 13456
		.amdhsa_private_segment_fixed_size 0
		.amdhsa_kernarg_size 120
		.amdhsa_user_sgpr_count 6
		.amdhsa_user_sgpr_private_segment_buffer 1
		.amdhsa_user_sgpr_dispatch_ptr 0
		.amdhsa_user_sgpr_queue_ptr 0
		.amdhsa_user_sgpr_kernarg_segment_ptr 1
		.amdhsa_user_sgpr_dispatch_id 0
		.amdhsa_user_sgpr_flat_scratch_init 0
		.amdhsa_user_sgpr_private_segment_size 0
		.amdhsa_uses_dynamic_stack 0
		.amdhsa_system_sgpr_private_segment_wavefront_offset 0
		.amdhsa_system_sgpr_workgroup_id_x 1
		.amdhsa_system_sgpr_workgroup_id_y 0
		.amdhsa_system_sgpr_workgroup_id_z 0
		.amdhsa_system_sgpr_workgroup_info 0
		.amdhsa_system_vgpr_workitem_id 0
		.amdhsa_next_free_vgpr 33
		.amdhsa_next_free_sgpr 77
		.amdhsa_reserve_vcc 1
		.amdhsa_reserve_flat_scratch 0
		.amdhsa_float_round_mode_32 0
		.amdhsa_float_round_mode_16_64 0
		.amdhsa_float_denorm_mode_32 3
		.amdhsa_float_denorm_mode_16_64 3
		.amdhsa_dx10_clamp 1
		.amdhsa_ieee_mode 1
		.amdhsa_fp16_overflow 0
		.amdhsa_exception_fp_ieee_invalid_op 0
		.amdhsa_exception_fp_denorm_src 0
		.amdhsa_exception_fp_ieee_div_zero 0
		.amdhsa_exception_fp_ieee_overflow 0
		.amdhsa_exception_fp_ieee_underflow 0
		.amdhsa_exception_fp_ieee_inexact 0
		.amdhsa_exception_int_div_zero 0
	.end_amdhsa_kernel
	.section	.text._ZN9rocsparseL20bsrxmvn_17_32_kernelILj29E21rocsparse_complex_numIdElldS2_S2_EEvT2_20rocsparse_direction_NS_24const_host_device_scalarIT0_EES3_PKS3_PKT1_SC_S9_PKT3_PKT4_S7_PT5_21rocsparse_index_base_b,"axG",@progbits,_ZN9rocsparseL20bsrxmvn_17_32_kernelILj29E21rocsparse_complex_numIdElldS2_S2_EEvT2_20rocsparse_direction_NS_24const_host_device_scalarIT0_EES3_PKS3_PKT1_SC_S9_PKT3_PKT4_S7_PT5_21rocsparse_index_base_b,comdat
.Lfunc_end476:
	.size	_ZN9rocsparseL20bsrxmvn_17_32_kernelILj29E21rocsparse_complex_numIdElldS2_S2_EEvT2_20rocsparse_direction_NS_24const_host_device_scalarIT0_EES3_PKS3_PKT1_SC_S9_PKT3_PKT4_S7_PT5_21rocsparse_index_base_b, .Lfunc_end476-_ZN9rocsparseL20bsrxmvn_17_32_kernelILj29E21rocsparse_complex_numIdElldS2_S2_EEvT2_20rocsparse_direction_NS_24const_host_device_scalarIT0_EES3_PKS3_PKT1_SC_S9_PKT3_PKT4_S7_PT5_21rocsparse_index_base_b
                                        ; -- End function
	.set _ZN9rocsparseL20bsrxmvn_17_32_kernelILj29E21rocsparse_complex_numIdElldS2_S2_EEvT2_20rocsparse_direction_NS_24const_host_device_scalarIT0_EES3_PKS3_PKT1_SC_S9_PKT3_PKT4_S7_PT5_21rocsparse_index_base_b.num_vgpr, 29
	.set _ZN9rocsparseL20bsrxmvn_17_32_kernelILj29E21rocsparse_complex_numIdElldS2_S2_EEvT2_20rocsparse_direction_NS_24const_host_device_scalarIT0_EES3_PKS3_PKT1_SC_S9_PKT3_PKT4_S7_PT5_21rocsparse_index_base_b.num_agpr, 0
	.set _ZN9rocsparseL20bsrxmvn_17_32_kernelILj29E21rocsparse_complex_numIdElldS2_S2_EEvT2_20rocsparse_direction_NS_24const_host_device_scalarIT0_EES3_PKS3_PKT1_SC_S9_PKT3_PKT4_S7_PT5_21rocsparse_index_base_b.numbered_sgpr, 22
	.set _ZN9rocsparseL20bsrxmvn_17_32_kernelILj29E21rocsparse_complex_numIdElldS2_S2_EEvT2_20rocsparse_direction_NS_24const_host_device_scalarIT0_EES3_PKS3_PKT1_SC_S9_PKT3_PKT4_S7_PT5_21rocsparse_index_base_b.num_named_barrier, 0
	.set _ZN9rocsparseL20bsrxmvn_17_32_kernelILj29E21rocsparse_complex_numIdElldS2_S2_EEvT2_20rocsparse_direction_NS_24const_host_device_scalarIT0_EES3_PKS3_PKT1_SC_S9_PKT3_PKT4_S7_PT5_21rocsparse_index_base_b.private_seg_size, 0
	.set _ZN9rocsparseL20bsrxmvn_17_32_kernelILj29E21rocsparse_complex_numIdElldS2_S2_EEvT2_20rocsparse_direction_NS_24const_host_device_scalarIT0_EES3_PKS3_PKT1_SC_S9_PKT3_PKT4_S7_PT5_21rocsparse_index_base_b.uses_vcc, 1
	.set _ZN9rocsparseL20bsrxmvn_17_32_kernelILj29E21rocsparse_complex_numIdElldS2_S2_EEvT2_20rocsparse_direction_NS_24const_host_device_scalarIT0_EES3_PKS3_PKT1_SC_S9_PKT3_PKT4_S7_PT5_21rocsparse_index_base_b.uses_flat_scratch, 0
	.set _ZN9rocsparseL20bsrxmvn_17_32_kernelILj29E21rocsparse_complex_numIdElldS2_S2_EEvT2_20rocsparse_direction_NS_24const_host_device_scalarIT0_EES3_PKS3_PKT1_SC_S9_PKT3_PKT4_S7_PT5_21rocsparse_index_base_b.has_dyn_sized_stack, 0
	.set _ZN9rocsparseL20bsrxmvn_17_32_kernelILj29E21rocsparse_complex_numIdElldS2_S2_EEvT2_20rocsparse_direction_NS_24const_host_device_scalarIT0_EES3_PKS3_PKT1_SC_S9_PKT3_PKT4_S7_PT5_21rocsparse_index_base_b.has_recursion, 0
	.set _ZN9rocsparseL20bsrxmvn_17_32_kernelILj29E21rocsparse_complex_numIdElldS2_S2_EEvT2_20rocsparse_direction_NS_24const_host_device_scalarIT0_EES3_PKS3_PKT1_SC_S9_PKT3_PKT4_S7_PT5_21rocsparse_index_base_b.has_indirect_call, 0
	.section	.AMDGPU.csdata,"",@progbits
; Kernel info:
; codeLenInByte = 1732
; TotalNumSgprs: 26
; NumVgprs: 29
; ScratchSize: 0
; MemoryBound: 1
; FloatMode: 240
; IeeeMode: 1
; LDSByteSize: 13456 bytes/workgroup (compile time only)
; SGPRBlocks: 10
; VGPRBlocks: 8
; NumSGPRsForWavesPerEU: 81
; NumVGPRsForWavesPerEU: 33
; Occupancy: 7
; WaveLimiterHint : 1
; COMPUTE_PGM_RSRC2:SCRATCH_EN: 0
; COMPUTE_PGM_RSRC2:USER_SGPR: 6
; COMPUTE_PGM_RSRC2:TRAP_HANDLER: 0
; COMPUTE_PGM_RSRC2:TGID_X_EN: 1
; COMPUTE_PGM_RSRC2:TGID_Y_EN: 0
; COMPUTE_PGM_RSRC2:TGID_Z_EN: 0
; COMPUTE_PGM_RSRC2:TIDIG_COMP_CNT: 0
	.section	.text._ZN9rocsparseL20bsrxmvn_17_32_kernelILj30E21rocsparse_complex_numIdElldS2_S2_EEvT2_20rocsparse_direction_NS_24const_host_device_scalarIT0_EES3_PKS3_PKT1_SC_S9_PKT3_PKT4_S7_PT5_21rocsparse_index_base_b,"axG",@progbits,_ZN9rocsparseL20bsrxmvn_17_32_kernelILj30E21rocsparse_complex_numIdElldS2_S2_EEvT2_20rocsparse_direction_NS_24const_host_device_scalarIT0_EES3_PKS3_PKT1_SC_S9_PKT3_PKT4_S7_PT5_21rocsparse_index_base_b,comdat
	.globl	_ZN9rocsparseL20bsrxmvn_17_32_kernelILj30E21rocsparse_complex_numIdElldS2_S2_EEvT2_20rocsparse_direction_NS_24const_host_device_scalarIT0_EES3_PKS3_PKT1_SC_S9_PKT3_PKT4_S7_PT5_21rocsparse_index_base_b ; -- Begin function _ZN9rocsparseL20bsrxmvn_17_32_kernelILj30E21rocsparse_complex_numIdElldS2_S2_EEvT2_20rocsparse_direction_NS_24const_host_device_scalarIT0_EES3_PKS3_PKT1_SC_S9_PKT3_PKT4_S7_PT5_21rocsparse_index_base_b
	.p2align	8
	.type	_ZN9rocsparseL20bsrxmvn_17_32_kernelILj30E21rocsparse_complex_numIdElldS2_S2_EEvT2_20rocsparse_direction_NS_24const_host_device_scalarIT0_EES3_PKS3_PKT1_SC_S9_PKT3_PKT4_S7_PT5_21rocsparse_index_base_b,@function
_ZN9rocsparseL20bsrxmvn_17_32_kernelILj30E21rocsparse_complex_numIdElldS2_S2_EEvT2_20rocsparse_direction_NS_24const_host_device_scalarIT0_EES3_PKS3_PKT1_SC_S9_PKT3_PKT4_S7_PT5_21rocsparse_index_base_b: ; @_ZN9rocsparseL20bsrxmvn_17_32_kernelILj30E21rocsparse_complex_numIdElldS2_S2_EEvT2_20rocsparse_direction_NS_24const_host_device_scalarIT0_EES3_PKS3_PKT1_SC_S9_PKT3_PKT4_S7_PT5_21rocsparse_index_base_b
; %bb.0:
	s_load_dwordx2 s[0:1], s[4:5], 0x10
	s_load_dwordx2 s[14:15], s[4:5], 0x70
	s_add_u32 s7, s4, 16
	s_addc_u32 s8, s5, 0
	s_add_u32 s9, s4, 0x58
	s_addc_u32 s10, s5, 0
	s_waitcnt lgkmcnt(0)
	s_bitcmp1_b32 s15, 0
	s_cselect_b32 s1, s8, s1
	s_cselect_b32 s0, s7, s0
	v_mov_b32_e32 v1, s0
	v_mov_b32_e32 v2, s1
	flat_load_dwordx4 v[5:8], v[1:2]
	s_load_dwordx2 s[2:3], s[4:5], 0x58
	s_waitcnt lgkmcnt(0)
	s_cselect_b32 s0, s10, s3
	s_cselect_b32 s1, s9, s2
	v_mov_b32_e32 v1, s1
	v_mov_b32_e32 v2, s0
	flat_load_dwordx4 v[1:4], v[1:2]
	s_waitcnt vmcnt(0)
	v_cmp_eq_f64_e32 vcc, 0, v[5:6]
	v_cmp_eq_f64_e64 s[0:1], 0, v[7:8]
	s_and_b64 s[8:9], vcc, s[0:1]
	s_mov_b64 s[0:1], -1
	s_and_saveexec_b64 s[2:3], s[8:9]
	s_cbranch_execz .LBB477_2
; %bb.1:
	s_waitcnt lgkmcnt(0)
	v_cmp_neq_f64_e32 vcc, 1.0, v[1:2]
	v_cmp_neq_f64_e64 s[0:1], 0, v[3:4]
	s_or_b64 s[0:1], vcc, s[0:1]
	s_orn2_b64 s[0:1], s[0:1], exec
.LBB477_2:
	s_or_b64 exec, exec, s[2:3]
	s_and_saveexec_b64 s[2:3], s[0:1]
	s_cbranch_execz .LBB477_39
; %bb.3:
	s_load_dwordx4 s[0:3], s[4:5], 0x28
	s_load_dwordx2 s[8:9], s[4:5], 0x38
	s_mov_b32 s7, 0
	s_waitcnt lgkmcnt(0)
	s_cmp_eq_u64 s[0:1], 0
	s_cbranch_scc1 .LBB477_5
; %bb.4:
	s_lshl_b64 s[6:7], s[6:7], 3
	s_add_u32 s0, s0, s6
	s_addc_u32 s1, s1, s7
	s_load_dwordx2 s[0:1], s[0:1], 0x0
	s_waitcnt lgkmcnt(0)
	s_sub_u32 s6, s0, s14
	s_subb_u32 s7, s1, 0
.LBB477_5:
	s_load_dword s10, s[4:5], 0x8
	s_load_dwordx2 s[12:13], s[4:5], 0x68
	v_mul_u32_u24_e32 v14, 0x889, v0
	v_mov_b32_e32 v9, 30
	v_mul_lo_u16_sdwa v9, v14, v9 dst_sel:DWORD dst_unused:UNUSED_PAD src0_sel:WORD_1 src1_sel:DWORD
	s_waitcnt lgkmcnt(0)
	s_cmp_eq_u32 s10, 1
	s_cselect_b64 s[0:1], -1, 0
	s_cmp_lg_u32 s10, 1
	s_cselect_b64 s[16:17], -1, 0
	s_lshl_b64 s[10:11], s[6:7], 3
	s_add_u32 s20, s2, s10
	s_addc_u32 s21, s3, s11
	s_add_u32 s2, s20, 8
	s_addc_u32 s3, s21, 0
	;; [unrolled: 2-line block ×3, first 2 shown]
	s_cmp_eq_u64 s[8:9], 0
	s_cselect_b32 s9, s3, s11
	s_cselect_b32 s8, s2, s10
	s_load_dwordx2 s[2:3], s[8:9], 0x0
	s_load_dwordx2 s[18:19], s[20:21], 0x0
	v_sub_u16_e32 v21, v0, v9
	v_mov_b32_e32 v11, 0
	v_mov_b32_e32 v13, 0
	s_waitcnt lgkmcnt(0)
	v_mov_b32_e32 v10, s3
	v_mov_b32_e32 v9, s2
	v_cmp_ge_i64_e32 vcc, s[18:19], v[9:10]
	v_mov_b32_e32 v9, 0
	v_mov_b32_e32 v12, 0
	;; [unrolled: 1-line block ×3, first 2 shown]
	s_cbranch_vccnz .LBB477_10
; %bb.6:
	s_load_dwordx2 s[20:21], s[4:5], 0x50
	s_load_dwordx4 s[8:11], s[4:5], 0x40
	s_mov_b32 s4, 0xffff
	s_movk_i32 s5, 0x384
	v_and_b32_sdwa v9, s4, v14 dst_sel:DWORD dst_unused:UNUSED_PAD src0_sel:DWORD src1_sel:WORD_1
	s_sub_u32 s2, s2, s14
	v_subrev_u32_e32 v10, 30, v9
	v_cmp_gt_u32_e32 vcc, s5, v0
	s_subb_u32 s3, s3, 0
	v_cndmask_b32_e32 v9, v10, v9, vcc
	s_sub_u32 s4, s18, s14
	v_cndmask_b32_e64 v12, v21, v9, s[0:1]
	s_subb_u32 s5, s19, 0
	v_lshlrev_b64 v[9:10], 4, v[12:13]
	s_mul_i32 s0, s5, 0x1c20
	s_mul_hi_u32 s1, s4, 0x1c20
	s_add_i32 s1, s1, s0
	s_mul_i32 s0, s4, 0x1c20
	s_waitcnt lgkmcnt(0)
	v_mov_b32_e32 v11, s21
	v_add_co_u32_e32 v13, vcc, s20, v9
	s_add_u32 s0, s10, s0
	v_addc_co_u32_e32 v14, vcc, v11, v10, vcc
	s_addc_u32 s1, s11, s1
	v_lshlrev_b32_e32 v9, 3, v0
	v_mov_b32_e32 v10, s1
	v_add_co_u32_e32 v15, vcc, s0, v9
	v_addc_co_u32_e32 v16, vcc, 0, v10, vcc
	s_movk_i32 s0, 0x383
	v_cmp_lt_u32_e32 vcc, s0, v0
	v_cndmask_b32_e64 v22, 0, 1, vcc
	v_mov_b32_e32 v9, s19
	v_add_co_u32_e32 v10, vcc, s18, v22
	v_addc_co_u32_e32 v11, vcc, 0, v9, vcc
	v_subrev_co_u32_e32 v9, vcc, s14, v10
	v_subbrev_co_u32_e32 v10, vcc, 0, v11, vcc
	v_lshlrev_b64 v[9:10], 3, v[9:10]
	v_mov_b32_e32 v11, s9
	v_add_co_u32_e32 v17, vcc, s8, v9
	v_addc_co_u32_e32 v18, vcc, v11, v10, vcc
	v_mov_b32_e32 v11, 0
	v_mov_b32_e32 v12, 0
	s_mov_b32 s8, 0
	v_mov_b32_e32 v20, s3
	v_mov_b32_e32 v9, v11
	s_movk_i32 s10, 0x1e0
	s_brev_b32 s9, 1
	v_mov_b32_e32 v19, s2
	v_mov_b32_e32 v10, v12
	s_branch .LBB477_8
.LBB477_7:                              ;   in Loop: Header=BB477_8 Depth=1
	s_or_b64 exec, exec, s[0:1]
	s_add_u32 s4, s4, 1
	s_addc_u32 s5, s5, 0
	v_cmp_lt_i64_e32 vcc, s[4:5], v[19:20]
	v_add_co_u32_e64 v17, s[0:1], 8, v17
	v_addc_co_u32_e64 v18, s[0:1], 0, v18, s[0:1]
	s_cbranch_vccz .LBB477_10
.LBB477_8:                              ; =>This Inner Loop Header: Depth=1
	v_mov_b32_e32 v24, s5
	v_add_co_u32_e32 v23, vcc, s4, v22
	v_addc_co_u32_e32 v24, vcc, 0, v24, vcc
	v_cmp_gt_i64_e32 vcc, s[2:3], v[23:24]
	s_and_saveexec_b64 s[0:1], vcc
	s_cbranch_execz .LBB477_7
; %bb.9:                                ;   in Loop: Header=BB477_8 Depth=1
	global_load_dwordx2 v[23:24], v[17:18], off
	s_waitcnt vmcnt(0)
	v_subrev_co_u32_e32 v23, vcc, s14, v23
	v_subbrev_co_u32_e32 v25, vcc, 0, v24, vcc
	v_mad_u64_u32 v[23:24], s[18:19], v23, s10, v[13:14]
	v_mad_u64_u32 v[24:25], s[18:19], v25, s10, v[24:25]
	global_load_dwordx2 v[27:28], v[15:16], off
	s_nop 0
	global_load_dwordx4 v[23:26], v[23:24], off
	v_add_co_u32_e32 v15, vcc, 0x1c20, v15
	v_addc_co_u32_e32 v16, vcc, 0, v16, vcc
	s_waitcnt vmcnt(0)
	v_fma_f64 v[9:10], v[27:28], v[23:24], v[9:10]
	v_fma_f64 v[11:12], v[23:24], 0, v[11:12]
	;; [unrolled: 1-line block ×4, first 2 shown]
	s_branch .LBB477_7
.LBB477_10:
	v_lshlrev_b32_e32 v17, 4, v0
	s_and_b64 vcc, exec, s[16:17]
	ds_write_b128 v17, v[9:12]
	s_waitcnt lgkmcnt(0)
	s_barrier
	s_cbranch_vccz .LBB477_22
; %bb.11:
	v_cmp_gt_u16_e32 vcc, 14, v21
	s_and_saveexec_b64 s[0:1], vcc
	s_cbranch_execz .LBB477_13
; %bb.12:
	ds_read_b128 v[13:16], v17 offset:256
	ds_read_b128 v[22:25], v17
	s_waitcnt lgkmcnt(0)
	v_add_f64 v[13:14], v[13:14], v[22:23]
	v_add_f64 v[15:16], v[15:16], v[24:25]
	ds_write_b128 v17, v[13:16]
.LBB477_13:
	s_or_b64 exec, exec, s[0:1]
	v_cmp_gt_u16_e32 vcc, 8, v21
	s_waitcnt lgkmcnt(0)
	s_barrier
	s_and_saveexec_b64 s[0:1], vcc
	s_cbranch_execz .LBB477_15
; %bb.14:
	ds_read_b128 v[13:16], v17 offset:128
	ds_read_b128 v[22:25], v17
	s_waitcnt lgkmcnt(0)
	v_add_f64 v[13:14], v[13:14], v[22:23]
	v_add_f64 v[15:16], v[15:16], v[24:25]
	ds_write_b128 v17, v[13:16]
.LBB477_15:
	s_or_b64 exec, exec, s[0:1]
	v_cmp_gt_u16_e32 vcc, 4, v21
	s_waitcnt lgkmcnt(0)
	s_barrier
	;; [unrolled: 14-line block ×3, first 2 shown]
	s_and_saveexec_b64 s[0:1], vcc
	s_cbranch_execz .LBB477_19
; %bb.18:
	ds_read_b128 v[13:16], v17
	ds_read_b128 v[18:21], v17 offset:32
	s_waitcnt lgkmcnt(0)
	v_add_f64 v[13:14], v[18:19], v[13:14]
	v_add_f64 v[15:16], v[20:21], v[15:16]
	ds_write_b128 v17, v[13:16]
.LBB477_19:
	s_or_b64 exec, exec, s[0:1]
	v_mov_b32_e32 v16, v12
	v_mov_b32_e32 v14, v10
	v_cmp_gt_u32_e32 vcc, 30, v0
	v_mov_b32_e32 v15, v11
	v_mov_b32_e32 v13, v9
	s_waitcnt lgkmcnt(0)
	s_barrier
	s_and_saveexec_b64 s[0:1], vcc
	s_cbranch_execz .LBB477_21
; %bb.20:
	s_movk_i32 s2, 0x1d0
	v_mad_u32_u24 v18, v0, s2, v17
	ds_read_b128 v[13:16], v18
	ds_read_b128 v[18:21], v18 offset:16
	s_waitcnt lgkmcnt(0)
	v_add_f64 v[13:14], v[18:19], v[13:14]
	v_add_f64 v[15:16], v[20:21], v[15:16]
.LBB477_21:
	s_or_b64 exec, exec, s[0:1]
	s_branch .LBB477_34
.LBB477_22:
                                        ; implicit-def: $vgpr15_vgpr16
                                        ; implicit-def: $vgpr13_vgpr14
	s_cbranch_execz .LBB477_34
; %bb.23:
	s_movk_i32 s0, 0x1a4
	v_cmp_gt_u32_e32 vcc, s0, v0
	s_and_saveexec_b64 s[0:1], vcc
	s_cbranch_execz .LBB477_25
; %bb.24:
	ds_read_b128 v[13:16], v17 offset:7680
	ds_read_b128 v[18:21], v17
	s_waitcnt lgkmcnt(0)
	v_add_f64 v[13:14], v[13:14], v[18:19]
	v_add_f64 v[15:16], v[15:16], v[20:21]
	ds_write_b128 v17, v[13:16]
.LBB477_25:
	s_or_b64 exec, exec, s[0:1]
	s_movk_i32 s0, 0xf0
	v_cmp_gt_u32_e32 vcc, s0, v0
	s_waitcnt lgkmcnt(0)
	s_barrier
	s_and_saveexec_b64 s[0:1], vcc
	s_cbranch_execz .LBB477_27
; %bb.26:
	ds_read_b128 v[13:16], v17 offset:3840
	ds_read_b128 v[18:21], v17
	s_waitcnt lgkmcnt(0)
	v_add_f64 v[13:14], v[13:14], v[18:19]
	v_add_f64 v[15:16], v[15:16], v[20:21]
	ds_write_b128 v17, v[13:16]
.LBB477_27:
	s_or_b64 exec, exec, s[0:1]
	s_movk_i32 s0, 0x78
	v_cmp_gt_u32_e32 vcc, s0, v0
	s_waitcnt lgkmcnt(0)
	s_barrier
	s_and_saveexec_b64 s[0:1], vcc
	s_cbranch_execz .LBB477_29
; %bb.28:
	ds_read_b128 v[13:16], v17 offset:1920
	ds_read_b128 v[18:21], v17
	s_waitcnt lgkmcnt(0)
	v_add_f64 v[13:14], v[13:14], v[18:19]
	v_add_f64 v[15:16], v[15:16], v[20:21]
	ds_write_b128 v17, v[13:16]
.LBB477_29:
	s_or_b64 exec, exec, s[0:1]
	v_cmp_gt_u32_e32 vcc, 60, v0
	s_waitcnt lgkmcnt(0)
	s_barrier
	s_and_saveexec_b64 s[0:1], vcc
	s_cbranch_execz .LBB477_31
; %bb.30:
	ds_read_b128 v[13:16], v17 offset:960
	ds_read_b128 v[18:21], v17
	s_waitcnt lgkmcnt(0)
	v_add_f64 v[13:14], v[13:14], v[18:19]
	v_add_f64 v[15:16], v[15:16], v[20:21]
	ds_write_b128 v17, v[13:16]
.LBB477_31:
	s_or_b64 exec, exec, s[0:1]
	v_cmp_gt_u32_e32 vcc, 30, v0
	s_waitcnt lgkmcnt(0)
	s_and_saveexec_b64 s[0:1], vcc
	s_cbranch_execz .LBB477_33
; %bb.32:
	ds_read_b128 v[9:12], v17 offset:480
	ds_read_b128 v[13:16], v17
	s_waitcnt lgkmcnt(0)
	v_add_f64 v[9:10], v[9:10], v[13:14]
	v_add_f64 v[11:12], v[11:12], v[15:16]
.LBB477_33:
	s_or_b64 exec, exec, s[0:1]
	v_mov_b32_e32 v16, v12
	v_mov_b32_e32 v14, v10
	;; [unrolled: 1-line block ×4, first 2 shown]
.LBB477_34:
	v_cmp_gt_u32_e32 vcc, 30, v0
	s_and_b64 exec, exec, vcc
	s_cbranch_execz .LBB477_39
; %bb.35:
	v_mul_f64 v[9:10], v[15:16], -v[7:8]
	v_mul_f64 v[11:12], v[5:6], v[15:16]
	v_cmp_eq_f64_e32 vcc, 0, v[1:2]
	v_cmp_eq_f64_e64 s[0:1], 0, v[3:4]
	s_mul_i32 s2, s7, 0x1e0
	s_mul_hi_u32 s3, s6, 0x1e0
	s_mul_i32 s4, s6, 0x1e0
	v_fma_f64 v[5:6], v[5:6], v[13:14], v[9:10]
	v_fma_f64 v[7:8], v[7:8], v[13:14], v[11:12]
	s_and_b64 s[0:1], vcc, s[0:1]
	s_and_saveexec_b64 s[6:7], s[0:1]
	s_xor_b64 s[0:1], exec, s[6:7]
	s_cbranch_execz .LBB477_37
; %bb.36:
	s_add_i32 s5, s3, s2
	s_add_u32 s6, s12, s4
	s_addc_u32 s7, s13, s5
	global_store_dwordx4 v17, v[5:8], s[6:7]
                                        ; implicit-def: $vgpr17
                                        ; implicit-def: $vgpr1_vgpr2
                                        ; implicit-def: $vgpr5_vgpr6
.LBB477_37:
	s_andn2_saveexec_b64 s[0:1], s[0:1]
	s_cbranch_execz .LBB477_39
; %bb.38:
	s_add_i32 s3, s3, s2
	s_add_u32 s0, s12, s4
	s_addc_u32 s1, s13, s3
	global_load_dwordx4 v[9:12], v17, s[0:1]
	s_waitcnt vmcnt(0)
	v_fma_f64 v[5:6], v[1:2], v[9:10], v[5:6]
	v_fma_f64 v[7:8], v[3:4], v[9:10], v[7:8]
	v_fma_f64 v[3:4], -v[3:4], v[11:12], v[5:6]
	v_fma_f64 v[5:6], v[1:2], v[11:12], v[7:8]
	global_store_dwordx4 v17, v[3:6], s[0:1]
.LBB477_39:
	s_endpgm
	.section	.rodata,"a",@progbits
	.p2align	6, 0x0
	.amdhsa_kernel _ZN9rocsparseL20bsrxmvn_17_32_kernelILj30E21rocsparse_complex_numIdElldS2_S2_EEvT2_20rocsparse_direction_NS_24const_host_device_scalarIT0_EES3_PKS3_PKT1_SC_S9_PKT3_PKT4_S7_PT5_21rocsparse_index_base_b
		.amdhsa_group_segment_fixed_size 14400
		.amdhsa_private_segment_fixed_size 0
		.amdhsa_kernarg_size 120
		.amdhsa_user_sgpr_count 6
		.amdhsa_user_sgpr_private_segment_buffer 1
		.amdhsa_user_sgpr_dispatch_ptr 0
		.amdhsa_user_sgpr_queue_ptr 0
		.amdhsa_user_sgpr_kernarg_segment_ptr 1
		.amdhsa_user_sgpr_dispatch_id 0
		.amdhsa_user_sgpr_flat_scratch_init 0
		.amdhsa_user_sgpr_private_segment_size 0
		.amdhsa_uses_dynamic_stack 0
		.amdhsa_system_sgpr_private_segment_wavefront_offset 0
		.amdhsa_system_sgpr_workgroup_id_x 1
		.amdhsa_system_sgpr_workgroup_id_y 0
		.amdhsa_system_sgpr_workgroup_id_z 0
		.amdhsa_system_sgpr_workgroup_info 0
		.amdhsa_system_vgpr_workitem_id 0
		.amdhsa_next_free_vgpr 29
		.amdhsa_next_free_sgpr 61
		.amdhsa_reserve_vcc 1
		.amdhsa_reserve_flat_scratch 0
		.amdhsa_float_round_mode_32 0
		.amdhsa_float_round_mode_16_64 0
		.amdhsa_float_denorm_mode_32 3
		.amdhsa_float_denorm_mode_16_64 3
		.amdhsa_dx10_clamp 1
		.amdhsa_ieee_mode 1
		.amdhsa_fp16_overflow 0
		.amdhsa_exception_fp_ieee_invalid_op 0
		.amdhsa_exception_fp_denorm_src 0
		.amdhsa_exception_fp_ieee_div_zero 0
		.amdhsa_exception_fp_ieee_overflow 0
		.amdhsa_exception_fp_ieee_underflow 0
		.amdhsa_exception_fp_ieee_inexact 0
		.amdhsa_exception_int_div_zero 0
	.end_amdhsa_kernel
	.section	.text._ZN9rocsparseL20bsrxmvn_17_32_kernelILj30E21rocsparse_complex_numIdElldS2_S2_EEvT2_20rocsparse_direction_NS_24const_host_device_scalarIT0_EES3_PKS3_PKT1_SC_S9_PKT3_PKT4_S7_PT5_21rocsparse_index_base_b,"axG",@progbits,_ZN9rocsparseL20bsrxmvn_17_32_kernelILj30E21rocsparse_complex_numIdElldS2_S2_EEvT2_20rocsparse_direction_NS_24const_host_device_scalarIT0_EES3_PKS3_PKT1_SC_S9_PKT3_PKT4_S7_PT5_21rocsparse_index_base_b,comdat
.Lfunc_end477:
	.size	_ZN9rocsparseL20bsrxmvn_17_32_kernelILj30E21rocsparse_complex_numIdElldS2_S2_EEvT2_20rocsparse_direction_NS_24const_host_device_scalarIT0_EES3_PKS3_PKT1_SC_S9_PKT3_PKT4_S7_PT5_21rocsparse_index_base_b, .Lfunc_end477-_ZN9rocsparseL20bsrxmvn_17_32_kernelILj30E21rocsparse_complex_numIdElldS2_S2_EEvT2_20rocsparse_direction_NS_24const_host_device_scalarIT0_EES3_PKS3_PKT1_SC_S9_PKT3_PKT4_S7_PT5_21rocsparse_index_base_b
                                        ; -- End function
	.set _ZN9rocsparseL20bsrxmvn_17_32_kernelILj30E21rocsparse_complex_numIdElldS2_S2_EEvT2_20rocsparse_direction_NS_24const_host_device_scalarIT0_EES3_PKS3_PKT1_SC_S9_PKT3_PKT4_S7_PT5_21rocsparse_index_base_b.num_vgpr, 29
	.set _ZN9rocsparseL20bsrxmvn_17_32_kernelILj30E21rocsparse_complex_numIdElldS2_S2_EEvT2_20rocsparse_direction_NS_24const_host_device_scalarIT0_EES3_PKS3_PKT1_SC_S9_PKT3_PKT4_S7_PT5_21rocsparse_index_base_b.num_agpr, 0
	.set _ZN9rocsparseL20bsrxmvn_17_32_kernelILj30E21rocsparse_complex_numIdElldS2_S2_EEvT2_20rocsparse_direction_NS_24const_host_device_scalarIT0_EES3_PKS3_PKT1_SC_S9_PKT3_PKT4_S7_PT5_21rocsparse_index_base_b.numbered_sgpr, 22
	.set _ZN9rocsparseL20bsrxmvn_17_32_kernelILj30E21rocsparse_complex_numIdElldS2_S2_EEvT2_20rocsparse_direction_NS_24const_host_device_scalarIT0_EES3_PKS3_PKT1_SC_S9_PKT3_PKT4_S7_PT5_21rocsparse_index_base_b.num_named_barrier, 0
	.set _ZN9rocsparseL20bsrxmvn_17_32_kernelILj30E21rocsparse_complex_numIdElldS2_S2_EEvT2_20rocsparse_direction_NS_24const_host_device_scalarIT0_EES3_PKS3_PKT1_SC_S9_PKT3_PKT4_S7_PT5_21rocsparse_index_base_b.private_seg_size, 0
	.set _ZN9rocsparseL20bsrxmvn_17_32_kernelILj30E21rocsparse_complex_numIdElldS2_S2_EEvT2_20rocsparse_direction_NS_24const_host_device_scalarIT0_EES3_PKS3_PKT1_SC_S9_PKT3_PKT4_S7_PT5_21rocsparse_index_base_b.uses_vcc, 1
	.set _ZN9rocsparseL20bsrxmvn_17_32_kernelILj30E21rocsparse_complex_numIdElldS2_S2_EEvT2_20rocsparse_direction_NS_24const_host_device_scalarIT0_EES3_PKS3_PKT1_SC_S9_PKT3_PKT4_S7_PT5_21rocsparse_index_base_b.uses_flat_scratch, 0
	.set _ZN9rocsparseL20bsrxmvn_17_32_kernelILj30E21rocsparse_complex_numIdElldS2_S2_EEvT2_20rocsparse_direction_NS_24const_host_device_scalarIT0_EES3_PKS3_PKT1_SC_S9_PKT3_PKT4_S7_PT5_21rocsparse_index_base_b.has_dyn_sized_stack, 0
	.set _ZN9rocsparseL20bsrxmvn_17_32_kernelILj30E21rocsparse_complex_numIdElldS2_S2_EEvT2_20rocsparse_direction_NS_24const_host_device_scalarIT0_EES3_PKS3_PKT1_SC_S9_PKT3_PKT4_S7_PT5_21rocsparse_index_base_b.has_recursion, 0
	.set _ZN9rocsparseL20bsrxmvn_17_32_kernelILj30E21rocsparse_complex_numIdElldS2_S2_EEvT2_20rocsparse_direction_NS_24const_host_device_scalarIT0_EES3_PKS3_PKT1_SC_S9_PKT3_PKT4_S7_PT5_21rocsparse_index_base_b.has_indirect_call, 0
	.section	.AMDGPU.csdata,"",@progbits
; Kernel info:
; codeLenInByte = 1732
; TotalNumSgprs: 26
; NumVgprs: 29
; ScratchSize: 0
; MemoryBound: 1
; FloatMode: 240
; IeeeMode: 1
; LDSByteSize: 14400 bytes/workgroup (compile time only)
; SGPRBlocks: 8
; VGPRBlocks: 7
; NumSGPRsForWavesPerEU: 65
; NumVGPRsForWavesPerEU: 29
; Occupancy: 8
; WaveLimiterHint : 1
; COMPUTE_PGM_RSRC2:SCRATCH_EN: 0
; COMPUTE_PGM_RSRC2:USER_SGPR: 6
; COMPUTE_PGM_RSRC2:TRAP_HANDLER: 0
; COMPUTE_PGM_RSRC2:TGID_X_EN: 1
; COMPUTE_PGM_RSRC2:TGID_Y_EN: 0
; COMPUTE_PGM_RSRC2:TGID_Z_EN: 0
; COMPUTE_PGM_RSRC2:TIDIG_COMP_CNT: 0
	.section	.text._ZN9rocsparseL20bsrxmvn_17_32_kernelILj31E21rocsparse_complex_numIdElldS2_S2_EEvT2_20rocsparse_direction_NS_24const_host_device_scalarIT0_EES3_PKS3_PKT1_SC_S9_PKT3_PKT4_S7_PT5_21rocsparse_index_base_b,"axG",@progbits,_ZN9rocsparseL20bsrxmvn_17_32_kernelILj31E21rocsparse_complex_numIdElldS2_S2_EEvT2_20rocsparse_direction_NS_24const_host_device_scalarIT0_EES3_PKS3_PKT1_SC_S9_PKT3_PKT4_S7_PT5_21rocsparse_index_base_b,comdat
	.globl	_ZN9rocsparseL20bsrxmvn_17_32_kernelILj31E21rocsparse_complex_numIdElldS2_S2_EEvT2_20rocsparse_direction_NS_24const_host_device_scalarIT0_EES3_PKS3_PKT1_SC_S9_PKT3_PKT4_S7_PT5_21rocsparse_index_base_b ; -- Begin function _ZN9rocsparseL20bsrxmvn_17_32_kernelILj31E21rocsparse_complex_numIdElldS2_S2_EEvT2_20rocsparse_direction_NS_24const_host_device_scalarIT0_EES3_PKS3_PKT1_SC_S9_PKT3_PKT4_S7_PT5_21rocsparse_index_base_b
	.p2align	8
	.type	_ZN9rocsparseL20bsrxmvn_17_32_kernelILj31E21rocsparse_complex_numIdElldS2_S2_EEvT2_20rocsparse_direction_NS_24const_host_device_scalarIT0_EES3_PKS3_PKT1_SC_S9_PKT3_PKT4_S7_PT5_21rocsparse_index_base_b,@function
_ZN9rocsparseL20bsrxmvn_17_32_kernelILj31E21rocsparse_complex_numIdElldS2_S2_EEvT2_20rocsparse_direction_NS_24const_host_device_scalarIT0_EES3_PKS3_PKT1_SC_S9_PKT3_PKT4_S7_PT5_21rocsparse_index_base_b: ; @_ZN9rocsparseL20bsrxmvn_17_32_kernelILj31E21rocsparse_complex_numIdElldS2_S2_EEvT2_20rocsparse_direction_NS_24const_host_device_scalarIT0_EES3_PKS3_PKT1_SC_S9_PKT3_PKT4_S7_PT5_21rocsparse_index_base_b
; %bb.0:
	s_load_dwordx2 s[0:1], s[4:5], 0x10
	s_load_dwordx2 s[14:15], s[4:5], 0x70
	s_add_u32 s7, s4, 16
	s_addc_u32 s8, s5, 0
	s_add_u32 s9, s4, 0x58
	s_addc_u32 s10, s5, 0
	s_waitcnt lgkmcnt(0)
	s_bitcmp1_b32 s15, 0
	s_cselect_b32 s1, s8, s1
	s_cselect_b32 s0, s7, s0
	v_mov_b32_e32 v1, s0
	v_mov_b32_e32 v2, s1
	flat_load_dwordx4 v[5:8], v[1:2]
	s_load_dwordx2 s[2:3], s[4:5], 0x58
	s_waitcnt lgkmcnt(0)
	s_cselect_b32 s0, s10, s3
	s_cselect_b32 s1, s9, s2
	v_mov_b32_e32 v1, s1
	v_mov_b32_e32 v2, s0
	flat_load_dwordx4 v[1:4], v[1:2]
	s_waitcnt vmcnt(0)
	v_cmp_eq_f64_e32 vcc, 0, v[5:6]
	v_cmp_eq_f64_e64 s[0:1], 0, v[7:8]
	s_and_b64 s[8:9], vcc, s[0:1]
	s_mov_b64 s[0:1], -1
	s_and_saveexec_b64 s[2:3], s[8:9]
	s_cbranch_execz .LBB478_2
; %bb.1:
	s_waitcnt lgkmcnt(0)
	v_cmp_neq_f64_e32 vcc, 1.0, v[1:2]
	v_cmp_neq_f64_e64 s[0:1], 0, v[3:4]
	s_or_b64 s[0:1], vcc, s[0:1]
	s_orn2_b64 s[0:1], s[0:1], exec
.LBB478_2:
	s_or_b64 exec, exec, s[2:3]
	s_and_saveexec_b64 s[2:3], s[0:1]
	s_cbranch_execz .LBB478_39
; %bb.3:
	s_load_dwordx4 s[0:3], s[4:5], 0x28
	s_load_dwordx2 s[8:9], s[4:5], 0x38
	s_mov_b32 s7, 0
	s_waitcnt lgkmcnt(0)
	s_cmp_eq_u64 s[0:1], 0
	s_cbranch_scc1 .LBB478_5
; %bb.4:
	s_lshl_b64 s[6:7], s[6:7], 3
	s_add_u32 s0, s0, s6
	s_addc_u32 s1, s1, s7
	s_load_dwordx2 s[0:1], s[0:1], 0x0
	s_waitcnt lgkmcnt(0)
	s_sub_u32 s6, s0, s14
	s_subb_u32 s7, s1, 0
.LBB478_5:
	s_load_dword s10, s[4:5], 0x8
	s_load_dwordx2 s[12:13], s[4:5], 0x68
	v_mul_u32_u24_e32 v14, 0x843, v0
	v_mov_b32_e32 v9, 31
	v_mul_lo_u16_sdwa v9, v14, v9 dst_sel:DWORD dst_unused:UNUSED_PAD src0_sel:WORD_1 src1_sel:DWORD
	s_waitcnt lgkmcnt(0)
	s_cmp_eq_u32 s10, 1
	s_cselect_b64 s[0:1], -1, 0
	s_cmp_lg_u32 s10, 1
	s_cselect_b64 s[16:17], -1, 0
	s_lshl_b64 s[10:11], s[6:7], 3
	s_add_u32 s20, s2, s10
	s_addc_u32 s21, s3, s11
	s_add_u32 s2, s20, 8
	s_addc_u32 s3, s21, 0
	;; [unrolled: 2-line block ×3, first 2 shown]
	s_cmp_eq_u64 s[8:9], 0
	s_cselect_b32 s9, s3, s11
	s_cselect_b32 s8, s2, s10
	s_load_dwordx2 s[2:3], s[8:9], 0x0
	s_load_dwordx2 s[18:19], s[20:21], 0x0
	v_sub_u16_e32 v21, v0, v9
	v_mov_b32_e32 v11, 0
	v_mov_b32_e32 v13, 0
	s_waitcnt lgkmcnt(0)
	v_mov_b32_e32 v10, s3
	v_mov_b32_e32 v9, s2
	v_cmp_ge_i64_e32 vcc, s[18:19], v[9:10]
	v_mov_b32_e32 v9, 0
	v_mov_b32_e32 v12, 0
	;; [unrolled: 1-line block ×3, first 2 shown]
	s_cbranch_vccnz .LBB478_10
; %bb.6:
	s_load_dwordx2 s[20:21], s[4:5], 0x50
	s_load_dwordx4 s[8:11], s[4:5], 0x40
	s_mov_b32 s4, 0xffff
	s_movk_i32 s5, 0x3c1
	v_and_b32_sdwa v9, s4, v14 dst_sel:DWORD dst_unused:UNUSED_PAD src0_sel:DWORD src1_sel:WORD_1
	s_sub_u32 s2, s2, s14
	v_subrev_u32_e32 v10, 31, v9
	v_cmp_gt_u32_e32 vcc, s5, v0
	s_subb_u32 s3, s3, 0
	v_cndmask_b32_e32 v9, v10, v9, vcc
	s_sub_u32 s4, s18, s14
	v_cndmask_b32_e64 v12, v21, v9, s[0:1]
	s_subb_u32 s5, s19, 0
	v_lshlrev_b64 v[9:10], 4, v[12:13]
	s_mul_i32 s0, s5, 0x1e08
	s_mul_hi_u32 s1, s4, 0x1e08
	s_add_i32 s1, s1, s0
	s_mul_i32 s0, s4, 0x1e08
	s_waitcnt lgkmcnt(0)
	v_mov_b32_e32 v11, s21
	v_add_co_u32_e32 v13, vcc, s20, v9
	s_add_u32 s0, s10, s0
	v_addc_co_u32_e32 v14, vcc, v11, v10, vcc
	s_addc_u32 s1, s11, s1
	v_lshlrev_b32_e32 v9, 3, v0
	v_mov_b32_e32 v10, s1
	v_add_co_u32_e32 v15, vcc, s0, v9
	v_addc_co_u32_e32 v16, vcc, 0, v10, vcc
	s_movk_i32 s0, 0x3c0
	v_cmp_lt_u32_e32 vcc, s0, v0
	v_cndmask_b32_e64 v22, 0, 1, vcc
	v_mov_b32_e32 v9, s19
	v_add_co_u32_e32 v10, vcc, s18, v22
	v_addc_co_u32_e32 v11, vcc, 0, v9, vcc
	v_subrev_co_u32_e32 v9, vcc, s14, v10
	v_subbrev_co_u32_e32 v10, vcc, 0, v11, vcc
	v_lshlrev_b64 v[9:10], 3, v[9:10]
	v_mov_b32_e32 v11, s9
	v_add_co_u32_e32 v17, vcc, s8, v9
	v_addc_co_u32_e32 v18, vcc, v11, v10, vcc
	v_mov_b32_e32 v11, 0
	v_mov_b32_e32 v12, 0
	s_mov_b32 s8, 0
	v_mov_b32_e32 v20, s3
	v_mov_b32_e32 v9, v11
	s_movk_i32 s10, 0x1f0
	s_brev_b32 s9, 1
	v_mov_b32_e32 v19, s2
	v_mov_b32_e32 v10, v12
	s_branch .LBB478_8
.LBB478_7:                              ;   in Loop: Header=BB478_8 Depth=1
	s_or_b64 exec, exec, s[0:1]
	s_add_u32 s4, s4, 1
	s_addc_u32 s5, s5, 0
	v_cmp_lt_i64_e32 vcc, s[4:5], v[19:20]
	v_add_co_u32_e64 v17, s[0:1], 8, v17
	v_addc_co_u32_e64 v18, s[0:1], 0, v18, s[0:1]
	s_cbranch_vccz .LBB478_10
.LBB478_8:                              ; =>This Inner Loop Header: Depth=1
	v_mov_b32_e32 v24, s5
	v_add_co_u32_e32 v23, vcc, s4, v22
	v_addc_co_u32_e32 v24, vcc, 0, v24, vcc
	v_cmp_gt_i64_e32 vcc, s[2:3], v[23:24]
	s_and_saveexec_b64 s[0:1], vcc
	s_cbranch_execz .LBB478_7
; %bb.9:                                ;   in Loop: Header=BB478_8 Depth=1
	global_load_dwordx2 v[23:24], v[17:18], off
	s_waitcnt vmcnt(0)
	v_subrev_co_u32_e32 v23, vcc, s14, v23
	v_subbrev_co_u32_e32 v25, vcc, 0, v24, vcc
	v_mad_u64_u32 v[23:24], s[18:19], v23, s10, v[13:14]
	v_mad_u64_u32 v[24:25], s[18:19], v25, s10, v[24:25]
	global_load_dwordx2 v[27:28], v[15:16], off
	s_nop 0
	global_load_dwordx4 v[23:26], v[23:24], off
	v_add_co_u32_e32 v15, vcc, 0x1e08, v15
	v_addc_co_u32_e32 v16, vcc, 0, v16, vcc
	s_waitcnt vmcnt(0)
	v_fma_f64 v[9:10], v[27:28], v[23:24], v[9:10]
	v_fma_f64 v[11:12], v[23:24], 0, v[11:12]
	;; [unrolled: 1-line block ×4, first 2 shown]
	s_branch .LBB478_7
.LBB478_10:
	v_lshlrev_b32_e32 v17, 4, v0
	s_and_b64 vcc, exec, s[16:17]
	ds_write_b128 v17, v[9:12]
	s_waitcnt lgkmcnt(0)
	s_barrier
	s_cbranch_vccz .LBB478_22
; %bb.11:
	v_cmp_gt_u16_e32 vcc, 15, v21
	s_and_saveexec_b64 s[0:1], vcc
	s_cbranch_execz .LBB478_13
; %bb.12:
	ds_read_b128 v[13:16], v17 offset:256
	ds_read_b128 v[22:25], v17
	s_waitcnt lgkmcnt(0)
	v_add_f64 v[13:14], v[13:14], v[22:23]
	v_add_f64 v[15:16], v[15:16], v[24:25]
	ds_write_b128 v17, v[13:16]
.LBB478_13:
	s_or_b64 exec, exec, s[0:1]
	v_cmp_gt_u16_e32 vcc, 8, v21
	s_waitcnt lgkmcnt(0)
	s_barrier
	s_and_saveexec_b64 s[0:1], vcc
	s_cbranch_execz .LBB478_15
; %bb.14:
	ds_read_b128 v[13:16], v17 offset:128
	ds_read_b128 v[22:25], v17
	s_waitcnt lgkmcnt(0)
	v_add_f64 v[13:14], v[13:14], v[22:23]
	v_add_f64 v[15:16], v[15:16], v[24:25]
	ds_write_b128 v17, v[13:16]
.LBB478_15:
	s_or_b64 exec, exec, s[0:1]
	v_cmp_gt_u16_e32 vcc, 4, v21
	s_waitcnt lgkmcnt(0)
	s_barrier
	;; [unrolled: 14-line block ×3, first 2 shown]
	s_and_saveexec_b64 s[0:1], vcc
	s_cbranch_execz .LBB478_19
; %bb.18:
	ds_read_b128 v[13:16], v17
	ds_read_b128 v[18:21], v17 offset:32
	s_waitcnt lgkmcnt(0)
	v_add_f64 v[13:14], v[18:19], v[13:14]
	v_add_f64 v[15:16], v[20:21], v[15:16]
	ds_write_b128 v17, v[13:16]
.LBB478_19:
	s_or_b64 exec, exec, s[0:1]
	v_mov_b32_e32 v16, v12
	v_mov_b32_e32 v14, v10
	v_cmp_gt_u32_e32 vcc, 31, v0
	v_mov_b32_e32 v15, v11
	v_mov_b32_e32 v13, v9
	s_waitcnt lgkmcnt(0)
	s_barrier
	s_and_saveexec_b64 s[0:1], vcc
	s_cbranch_execz .LBB478_21
; %bb.20:
	s_movk_i32 s2, 0x1e0
	v_mad_u32_u24 v18, v0, s2, v17
	ds_read_b128 v[13:16], v18
	ds_read_b128 v[18:21], v18 offset:16
	s_waitcnt lgkmcnt(0)
	v_add_f64 v[13:14], v[18:19], v[13:14]
	v_add_f64 v[15:16], v[20:21], v[15:16]
.LBB478_21:
	s_or_b64 exec, exec, s[0:1]
	s_branch .LBB478_34
.LBB478_22:
                                        ; implicit-def: $vgpr15_vgpr16
                                        ; implicit-def: $vgpr13_vgpr14
	s_cbranch_execz .LBB478_34
; %bb.23:
	s_movk_i32 s0, 0x1d1
	v_cmp_gt_u32_e32 vcc, s0, v0
	s_and_saveexec_b64 s[0:1], vcc
	s_cbranch_execz .LBB478_25
; %bb.24:
	ds_read_b128 v[13:16], v17 offset:7936
	ds_read_b128 v[18:21], v17
	s_waitcnt lgkmcnt(0)
	v_add_f64 v[13:14], v[13:14], v[18:19]
	v_add_f64 v[15:16], v[15:16], v[20:21]
	ds_write_b128 v17, v[13:16]
.LBB478_25:
	s_or_b64 exec, exec, s[0:1]
	s_movk_i32 s0, 0xf8
	v_cmp_gt_u32_e32 vcc, s0, v0
	s_waitcnt lgkmcnt(0)
	s_barrier
	s_and_saveexec_b64 s[0:1], vcc
	s_cbranch_execz .LBB478_27
; %bb.26:
	ds_read_b128 v[13:16], v17 offset:3968
	ds_read_b128 v[18:21], v17
	s_waitcnt lgkmcnt(0)
	v_add_f64 v[13:14], v[13:14], v[18:19]
	v_add_f64 v[15:16], v[15:16], v[20:21]
	ds_write_b128 v17, v[13:16]
.LBB478_27:
	s_or_b64 exec, exec, s[0:1]
	s_movk_i32 s0, 0x7c
	v_cmp_gt_u32_e32 vcc, s0, v0
	s_waitcnt lgkmcnt(0)
	s_barrier
	s_and_saveexec_b64 s[0:1], vcc
	s_cbranch_execz .LBB478_29
; %bb.28:
	ds_read_b128 v[13:16], v17 offset:1984
	ds_read_b128 v[18:21], v17
	s_waitcnt lgkmcnt(0)
	v_add_f64 v[13:14], v[13:14], v[18:19]
	v_add_f64 v[15:16], v[15:16], v[20:21]
	ds_write_b128 v17, v[13:16]
.LBB478_29:
	s_or_b64 exec, exec, s[0:1]
	v_cmp_gt_u32_e32 vcc, 62, v0
	s_waitcnt lgkmcnt(0)
	s_barrier
	s_and_saveexec_b64 s[0:1], vcc
	s_cbranch_execz .LBB478_31
; %bb.30:
	ds_read_b128 v[13:16], v17 offset:992
	ds_read_b128 v[18:21], v17
	s_waitcnt lgkmcnt(0)
	v_add_f64 v[13:14], v[13:14], v[18:19]
	v_add_f64 v[15:16], v[15:16], v[20:21]
	ds_write_b128 v17, v[13:16]
.LBB478_31:
	s_or_b64 exec, exec, s[0:1]
	v_cmp_gt_u32_e32 vcc, 31, v0
	s_waitcnt lgkmcnt(0)
	s_and_saveexec_b64 s[0:1], vcc
	s_cbranch_execz .LBB478_33
; %bb.32:
	ds_read_b128 v[9:12], v17 offset:496
	ds_read_b128 v[13:16], v17
	s_waitcnt lgkmcnt(0)
	v_add_f64 v[9:10], v[9:10], v[13:14]
	v_add_f64 v[11:12], v[11:12], v[15:16]
.LBB478_33:
	s_or_b64 exec, exec, s[0:1]
	v_mov_b32_e32 v16, v12
	v_mov_b32_e32 v14, v10
	;; [unrolled: 1-line block ×4, first 2 shown]
.LBB478_34:
	v_cmp_gt_u32_e32 vcc, 31, v0
	s_and_b64 exec, exec, vcc
	s_cbranch_execz .LBB478_39
; %bb.35:
	v_mul_f64 v[9:10], v[15:16], -v[7:8]
	v_mul_f64 v[11:12], v[5:6], v[15:16]
	v_cmp_eq_f64_e32 vcc, 0, v[1:2]
	v_cmp_eq_f64_e64 s[0:1], 0, v[3:4]
	s_mul_i32 s2, s7, 0x1f0
	s_mul_hi_u32 s3, s6, 0x1f0
	s_mul_i32 s4, s6, 0x1f0
	v_fma_f64 v[5:6], v[5:6], v[13:14], v[9:10]
	v_fma_f64 v[7:8], v[7:8], v[13:14], v[11:12]
	s_and_b64 s[0:1], vcc, s[0:1]
	s_and_saveexec_b64 s[6:7], s[0:1]
	s_xor_b64 s[0:1], exec, s[6:7]
	s_cbranch_execz .LBB478_37
; %bb.36:
	s_add_i32 s5, s3, s2
	s_add_u32 s6, s12, s4
	s_addc_u32 s7, s13, s5
	global_store_dwordx4 v17, v[5:8], s[6:7]
                                        ; implicit-def: $vgpr17
                                        ; implicit-def: $vgpr1_vgpr2
                                        ; implicit-def: $vgpr5_vgpr6
.LBB478_37:
	s_andn2_saveexec_b64 s[0:1], s[0:1]
	s_cbranch_execz .LBB478_39
; %bb.38:
	s_add_i32 s3, s3, s2
	s_add_u32 s0, s12, s4
	s_addc_u32 s1, s13, s3
	global_load_dwordx4 v[9:12], v17, s[0:1]
	s_waitcnt vmcnt(0)
	v_fma_f64 v[5:6], v[1:2], v[9:10], v[5:6]
	v_fma_f64 v[7:8], v[3:4], v[9:10], v[7:8]
	v_fma_f64 v[3:4], -v[3:4], v[11:12], v[5:6]
	v_fma_f64 v[5:6], v[1:2], v[11:12], v[7:8]
	global_store_dwordx4 v17, v[3:6], s[0:1]
.LBB478_39:
	s_endpgm
	.section	.rodata,"a",@progbits
	.p2align	6, 0x0
	.amdhsa_kernel _ZN9rocsparseL20bsrxmvn_17_32_kernelILj31E21rocsparse_complex_numIdElldS2_S2_EEvT2_20rocsparse_direction_NS_24const_host_device_scalarIT0_EES3_PKS3_PKT1_SC_S9_PKT3_PKT4_S7_PT5_21rocsparse_index_base_b
		.amdhsa_group_segment_fixed_size 15376
		.amdhsa_private_segment_fixed_size 0
		.amdhsa_kernarg_size 120
		.amdhsa_user_sgpr_count 6
		.amdhsa_user_sgpr_private_segment_buffer 1
		.amdhsa_user_sgpr_dispatch_ptr 0
		.amdhsa_user_sgpr_queue_ptr 0
		.amdhsa_user_sgpr_kernarg_segment_ptr 1
		.amdhsa_user_sgpr_dispatch_id 0
		.amdhsa_user_sgpr_flat_scratch_init 0
		.amdhsa_user_sgpr_private_segment_size 0
		.amdhsa_uses_dynamic_stack 0
		.amdhsa_system_sgpr_private_segment_wavefront_offset 0
		.amdhsa_system_sgpr_workgroup_id_x 1
		.amdhsa_system_sgpr_workgroup_id_y 0
		.amdhsa_system_sgpr_workgroup_id_z 0
		.amdhsa_system_sgpr_workgroup_info 0
		.amdhsa_system_vgpr_workitem_id 0
		.amdhsa_next_free_vgpr 29
		.amdhsa_next_free_sgpr 61
		.amdhsa_reserve_vcc 1
		.amdhsa_reserve_flat_scratch 0
		.amdhsa_float_round_mode_32 0
		.amdhsa_float_round_mode_16_64 0
		.amdhsa_float_denorm_mode_32 3
		.amdhsa_float_denorm_mode_16_64 3
		.amdhsa_dx10_clamp 1
		.amdhsa_ieee_mode 1
		.amdhsa_fp16_overflow 0
		.amdhsa_exception_fp_ieee_invalid_op 0
		.amdhsa_exception_fp_denorm_src 0
		.amdhsa_exception_fp_ieee_div_zero 0
		.amdhsa_exception_fp_ieee_overflow 0
		.amdhsa_exception_fp_ieee_underflow 0
		.amdhsa_exception_fp_ieee_inexact 0
		.amdhsa_exception_int_div_zero 0
	.end_amdhsa_kernel
	.section	.text._ZN9rocsparseL20bsrxmvn_17_32_kernelILj31E21rocsparse_complex_numIdElldS2_S2_EEvT2_20rocsparse_direction_NS_24const_host_device_scalarIT0_EES3_PKS3_PKT1_SC_S9_PKT3_PKT4_S7_PT5_21rocsparse_index_base_b,"axG",@progbits,_ZN9rocsparseL20bsrxmvn_17_32_kernelILj31E21rocsparse_complex_numIdElldS2_S2_EEvT2_20rocsparse_direction_NS_24const_host_device_scalarIT0_EES3_PKS3_PKT1_SC_S9_PKT3_PKT4_S7_PT5_21rocsparse_index_base_b,comdat
.Lfunc_end478:
	.size	_ZN9rocsparseL20bsrxmvn_17_32_kernelILj31E21rocsparse_complex_numIdElldS2_S2_EEvT2_20rocsparse_direction_NS_24const_host_device_scalarIT0_EES3_PKS3_PKT1_SC_S9_PKT3_PKT4_S7_PT5_21rocsparse_index_base_b, .Lfunc_end478-_ZN9rocsparseL20bsrxmvn_17_32_kernelILj31E21rocsparse_complex_numIdElldS2_S2_EEvT2_20rocsparse_direction_NS_24const_host_device_scalarIT0_EES3_PKS3_PKT1_SC_S9_PKT3_PKT4_S7_PT5_21rocsparse_index_base_b
                                        ; -- End function
	.set _ZN9rocsparseL20bsrxmvn_17_32_kernelILj31E21rocsparse_complex_numIdElldS2_S2_EEvT2_20rocsparse_direction_NS_24const_host_device_scalarIT0_EES3_PKS3_PKT1_SC_S9_PKT3_PKT4_S7_PT5_21rocsparse_index_base_b.num_vgpr, 29
	.set _ZN9rocsparseL20bsrxmvn_17_32_kernelILj31E21rocsparse_complex_numIdElldS2_S2_EEvT2_20rocsparse_direction_NS_24const_host_device_scalarIT0_EES3_PKS3_PKT1_SC_S9_PKT3_PKT4_S7_PT5_21rocsparse_index_base_b.num_agpr, 0
	.set _ZN9rocsparseL20bsrxmvn_17_32_kernelILj31E21rocsparse_complex_numIdElldS2_S2_EEvT2_20rocsparse_direction_NS_24const_host_device_scalarIT0_EES3_PKS3_PKT1_SC_S9_PKT3_PKT4_S7_PT5_21rocsparse_index_base_b.numbered_sgpr, 22
	.set _ZN9rocsparseL20bsrxmvn_17_32_kernelILj31E21rocsparse_complex_numIdElldS2_S2_EEvT2_20rocsparse_direction_NS_24const_host_device_scalarIT0_EES3_PKS3_PKT1_SC_S9_PKT3_PKT4_S7_PT5_21rocsparse_index_base_b.num_named_barrier, 0
	.set _ZN9rocsparseL20bsrxmvn_17_32_kernelILj31E21rocsparse_complex_numIdElldS2_S2_EEvT2_20rocsparse_direction_NS_24const_host_device_scalarIT0_EES3_PKS3_PKT1_SC_S9_PKT3_PKT4_S7_PT5_21rocsparse_index_base_b.private_seg_size, 0
	.set _ZN9rocsparseL20bsrxmvn_17_32_kernelILj31E21rocsparse_complex_numIdElldS2_S2_EEvT2_20rocsparse_direction_NS_24const_host_device_scalarIT0_EES3_PKS3_PKT1_SC_S9_PKT3_PKT4_S7_PT5_21rocsparse_index_base_b.uses_vcc, 1
	.set _ZN9rocsparseL20bsrxmvn_17_32_kernelILj31E21rocsparse_complex_numIdElldS2_S2_EEvT2_20rocsparse_direction_NS_24const_host_device_scalarIT0_EES3_PKS3_PKT1_SC_S9_PKT3_PKT4_S7_PT5_21rocsparse_index_base_b.uses_flat_scratch, 0
	.set _ZN9rocsparseL20bsrxmvn_17_32_kernelILj31E21rocsparse_complex_numIdElldS2_S2_EEvT2_20rocsparse_direction_NS_24const_host_device_scalarIT0_EES3_PKS3_PKT1_SC_S9_PKT3_PKT4_S7_PT5_21rocsparse_index_base_b.has_dyn_sized_stack, 0
	.set _ZN9rocsparseL20bsrxmvn_17_32_kernelILj31E21rocsparse_complex_numIdElldS2_S2_EEvT2_20rocsparse_direction_NS_24const_host_device_scalarIT0_EES3_PKS3_PKT1_SC_S9_PKT3_PKT4_S7_PT5_21rocsparse_index_base_b.has_recursion, 0
	.set _ZN9rocsparseL20bsrxmvn_17_32_kernelILj31E21rocsparse_complex_numIdElldS2_S2_EEvT2_20rocsparse_direction_NS_24const_host_device_scalarIT0_EES3_PKS3_PKT1_SC_S9_PKT3_PKT4_S7_PT5_21rocsparse_index_base_b.has_indirect_call, 0
	.section	.AMDGPU.csdata,"",@progbits
; Kernel info:
; codeLenInByte = 1732
; TotalNumSgprs: 26
; NumVgprs: 29
; ScratchSize: 0
; MemoryBound: 1
; FloatMode: 240
; IeeeMode: 1
; LDSByteSize: 15376 bytes/workgroup (compile time only)
; SGPRBlocks: 8
; VGPRBlocks: 7
; NumSGPRsForWavesPerEU: 65
; NumVGPRsForWavesPerEU: 29
; Occupancy: 8
; WaveLimiterHint : 1
; COMPUTE_PGM_RSRC2:SCRATCH_EN: 0
; COMPUTE_PGM_RSRC2:USER_SGPR: 6
; COMPUTE_PGM_RSRC2:TRAP_HANDLER: 0
; COMPUTE_PGM_RSRC2:TGID_X_EN: 1
; COMPUTE_PGM_RSRC2:TGID_Y_EN: 0
; COMPUTE_PGM_RSRC2:TGID_Z_EN: 0
; COMPUTE_PGM_RSRC2:TIDIG_COMP_CNT: 0
	.section	.text._ZN9rocsparseL20bsrxmvn_17_32_kernelILj32E21rocsparse_complex_numIdElldS2_S2_EEvT2_20rocsparse_direction_NS_24const_host_device_scalarIT0_EES3_PKS3_PKT1_SC_S9_PKT3_PKT4_S7_PT5_21rocsparse_index_base_b,"axG",@progbits,_ZN9rocsparseL20bsrxmvn_17_32_kernelILj32E21rocsparse_complex_numIdElldS2_S2_EEvT2_20rocsparse_direction_NS_24const_host_device_scalarIT0_EES3_PKS3_PKT1_SC_S9_PKT3_PKT4_S7_PT5_21rocsparse_index_base_b,comdat
	.globl	_ZN9rocsparseL20bsrxmvn_17_32_kernelILj32E21rocsparse_complex_numIdElldS2_S2_EEvT2_20rocsparse_direction_NS_24const_host_device_scalarIT0_EES3_PKS3_PKT1_SC_S9_PKT3_PKT4_S7_PT5_21rocsparse_index_base_b ; -- Begin function _ZN9rocsparseL20bsrxmvn_17_32_kernelILj32E21rocsparse_complex_numIdElldS2_S2_EEvT2_20rocsparse_direction_NS_24const_host_device_scalarIT0_EES3_PKS3_PKT1_SC_S9_PKT3_PKT4_S7_PT5_21rocsparse_index_base_b
	.p2align	8
	.type	_ZN9rocsparseL20bsrxmvn_17_32_kernelILj32E21rocsparse_complex_numIdElldS2_S2_EEvT2_20rocsparse_direction_NS_24const_host_device_scalarIT0_EES3_PKS3_PKT1_SC_S9_PKT3_PKT4_S7_PT5_21rocsparse_index_base_b,@function
_ZN9rocsparseL20bsrxmvn_17_32_kernelILj32E21rocsparse_complex_numIdElldS2_S2_EEvT2_20rocsparse_direction_NS_24const_host_device_scalarIT0_EES3_PKS3_PKT1_SC_S9_PKT3_PKT4_S7_PT5_21rocsparse_index_base_b: ; @_ZN9rocsparseL20bsrxmvn_17_32_kernelILj32E21rocsparse_complex_numIdElldS2_S2_EEvT2_20rocsparse_direction_NS_24const_host_device_scalarIT0_EES3_PKS3_PKT1_SC_S9_PKT3_PKT4_S7_PT5_21rocsparse_index_base_b
; %bb.0:
	s_load_dwordx2 s[0:1], s[4:5], 0x10
	s_load_dwordx2 s[8:9], s[4:5], 0x70
	s_add_u32 s7, s4, 16
	s_addc_u32 s10, s5, 0
	s_add_u32 s11, s4, 0x58
	s_addc_u32 s12, s5, 0
	s_waitcnt lgkmcnt(0)
	s_bitcmp1_b32 s9, 0
	s_cselect_b32 s1, s10, s1
	s_cselect_b32 s0, s7, s0
	v_mov_b32_e32 v1, s0
	v_mov_b32_e32 v2, s1
	flat_load_dwordx4 v[5:8], v[1:2]
	s_load_dwordx2 s[2:3], s[4:5], 0x58
	s_waitcnt lgkmcnt(0)
	s_cselect_b32 s0, s12, s3
	s_cselect_b32 s1, s11, s2
	v_mov_b32_e32 v1, s1
	v_mov_b32_e32 v2, s0
	flat_load_dwordx4 v[1:4], v[1:2]
	s_waitcnt vmcnt(0)
	v_cmp_eq_f64_e32 vcc, 0, v[5:6]
	v_cmp_eq_f64_e64 s[0:1], 0, v[7:8]
	s_and_b64 s[10:11], vcc, s[0:1]
	s_mov_b64 s[0:1], -1
	s_and_saveexec_b64 s[2:3], s[10:11]
	s_cbranch_execz .LBB479_2
; %bb.1:
	s_waitcnt lgkmcnt(0)
	v_cmp_neq_f64_e32 vcc, 1.0, v[1:2]
	v_cmp_neq_f64_e64 s[0:1], 0, v[3:4]
	s_or_b64 s[0:1], vcc, s[0:1]
	s_orn2_b64 s[0:1], s[0:1], exec
.LBB479_2:
	s_or_b64 exec, exec, s[2:3]
	s_and_saveexec_b64 s[2:3], s[0:1]
	s_cbranch_execz .LBB479_37
; %bb.3:
	s_load_dwordx4 s[0:3], s[4:5], 0x28
	s_load_dwordx2 s[12:13], s[4:5], 0x38
	s_mov_b32 s7, 0
	s_mov_b32 s9, s7
	s_waitcnt lgkmcnt(0)
	s_cmp_eq_u64 s[0:1], 0
	s_cbranch_scc1 .LBB479_5
; %bb.4:
	s_lshl_b64 s[6:7], s[6:7], 3
	s_add_u32 s0, s0, s6
	s_addc_u32 s1, s1, s7
	s_load_dwordx2 s[0:1], s[0:1], 0x0
	s_waitcnt lgkmcnt(0)
	s_sub_u32 s6, s0, s8
	s_subb_u32 s7, s1, 0
.LBB479_5:
	s_load_dword s10, s[4:5], 0x8
	v_mov_b32_e32 v11, 0
	v_and_b32_e32 v18, 31, v0
	v_mov_b32_e32 v12, 0
	s_waitcnt lgkmcnt(0)
	s_cmp_eq_u32 s10, 1
	s_cselect_b64 s[0:1], -1, 0
	s_cmp_lg_u32 s10, 1
	s_cselect_b64 s[10:11], -1, 0
	s_lshl_b64 s[14:15], s[6:7], 3
	s_add_u32 s16, s2, s14
	s_addc_u32 s17, s3, s15
	s_add_u32 s2, s16, 8
	s_addc_u32 s3, s17, 0
	;; [unrolled: 2-line block ×3, first 2 shown]
	s_cmp_eq_u64 s[12:13], 0
	s_cselect_b32 s19, s3, s15
	s_cselect_b32 s18, s2, s14
	s_load_dwordx2 s[14:15], s[18:19], 0x0
	s_load_dwordx2 s[12:13], s[16:17], 0x0
	;; [unrolled: 1-line block ×3, first 2 shown]
	s_waitcnt lgkmcnt(0)
	v_mov_b32_e32 v9, s14
	v_mov_b32_e32 v10, s15
	v_cmp_ge_i64_e32 vcc, s[12:13], v[9:10]
	v_mov_b32_e32 v9, 0
	v_mov_b32_e32 v10, 0
	s_cbranch_vccnz .LBB479_8
; %bb.6:
	s_load_dwordx2 s[20:21], s[4:5], 0x50
	s_load_dwordx4 s[16:19], s[4:5], 0x40
	s_sub_u32 s14, s14, s8
	v_lshrrev_b32_e32 v9, 5, v0
	s_subb_u32 s15, s15, 0
	v_cndmask_b32_e64 v9, v18, v9, s[0:1]
	s_sub_u32 s0, s12, s8
	s_subb_u32 s1, s13, 0
	v_lshlrev_b32_e32 v9, 4, v9
	s_lshl_b64 s[4:5], s[0:1], 13
	s_waitcnt lgkmcnt(0)
	v_mov_b32_e32 v10, s21
	v_add_co_u32_e32 v17, vcc, s20, v9
	s_add_u32 s4, s18, s4
	v_addc_co_u32_e32 v19, vcc, 0, v10, vcc
	s_addc_u32 s5, s19, s5
	v_lshlrev_b32_e32 v9, 3, v0
	v_mov_b32_e32 v10, s5
	v_add_co_u32_e32 v13, vcc, s4, v9
	s_lshl_b64 s[4:5], s[12:13], 3
	s_lshl_b64 s[12:13], s[8:9], 3
	s_sub_u32 s4, s4, s12
	s_subb_u32 s5, s5, s13
	v_mov_b32_e32 v11, 0
	v_addc_co_u32_e32 v14, vcc, 0, v10, vcc
	s_add_u32 s4, s16, s4
	v_mov_b32_e32 v12, 0
	s_mov_b32 s12, 0
	v_mov_b32_e32 v16, s15
	v_mov_b32_e32 v9, v11
	s_addc_u32 s5, s17, s5
	s_brev_b32 s13, 1
	v_mov_b32_e32 v15, s14
	v_mov_b32_e32 v10, v12
.LBB479_7:                              ; =>This Inner Loop Header: Depth=1
	s_load_dwordx2 s[14:15], s[4:5], 0x0
	global_load_dwordx2 v[24:25], v[13:14], off
	s_waitcnt lgkmcnt(0)
	s_sub_u32 s14, s14, s8
	s_subb_u32 s15, s15, 0
	s_lshl_b64 s[14:15], s[14:15], 9
	v_mov_b32_e32 v21, s15
	v_add_co_u32_e32 v20, vcc, s14, v17
	v_addc_co_u32_e32 v21, vcc, v19, v21, vcc
	global_load_dwordx4 v[20:23], v[20:21], off
	v_add_co_u32_e32 v13, vcc, 0x2000, v13
	s_add_u32 s0, s0, 1
	v_addc_co_u32_e32 v14, vcc, 0, v14, vcc
	s_addc_u32 s1, s1, 0
	v_cmp_lt_i64_e32 vcc, s[0:1], v[15:16]
	s_add_u32 s4, s4, 8
	s_addc_u32 s5, s5, 0
	s_and_b64 vcc, exec, vcc
	s_waitcnt vmcnt(0)
	v_fma_f64 v[9:10], v[24:25], v[20:21], v[9:10]
	v_fma_f64 v[11:12], v[20:21], 0, v[11:12]
	;; [unrolled: 1-line block ×4, first 2 shown]
	s_cbranch_vccnz .LBB479_7
.LBB479_8:
	v_lshlrev_b32_e32 v17, 4, v0
	s_and_b64 vcc, exec, s[10:11]
	ds_write_b128 v17, v[9:12]
	s_waitcnt lgkmcnt(0)
	s_barrier
	s_cbranch_vccz .LBB479_20
; %bb.9:
	v_cmp_gt_u32_e32 vcc, 16, v18
	s_and_saveexec_b64 s[0:1], vcc
	s_cbranch_execz .LBB479_11
; %bb.10:
	ds_read_b128 v[13:16], v17 offset:256
	ds_read_b128 v[19:22], v17
	s_waitcnt lgkmcnt(0)
	v_add_f64 v[13:14], v[13:14], v[19:20]
	v_add_f64 v[15:16], v[15:16], v[21:22]
	ds_write_b128 v17, v[13:16]
.LBB479_11:
	s_or_b64 exec, exec, s[0:1]
	v_cmp_gt_u32_e32 vcc, 8, v18
	s_waitcnt lgkmcnt(0)
	s_barrier
	s_and_saveexec_b64 s[0:1], vcc
	s_cbranch_execz .LBB479_13
; %bb.12:
	ds_read_b128 v[13:16], v17 offset:128
	ds_read_b128 v[19:22], v17
	s_waitcnt lgkmcnt(0)
	v_add_f64 v[13:14], v[13:14], v[19:20]
	v_add_f64 v[15:16], v[15:16], v[21:22]
	ds_write_b128 v17, v[13:16]
.LBB479_13:
	s_or_b64 exec, exec, s[0:1]
	v_cmp_gt_u32_e32 vcc, 4, v18
	s_waitcnt lgkmcnt(0)
	s_barrier
	;; [unrolled: 14-line block ×3, first 2 shown]
	s_and_saveexec_b64 s[0:1], vcc
	s_cbranch_execz .LBB479_17
; %bb.16:
	ds_read_b128 v[13:16], v17
	ds_read_b128 v[18:21], v17 offset:32
	s_waitcnt lgkmcnt(0)
	v_add_f64 v[13:14], v[18:19], v[13:14]
	v_add_f64 v[15:16], v[20:21], v[15:16]
	ds_write_b128 v17, v[13:16]
.LBB479_17:
	s_or_b64 exec, exec, s[0:1]
	v_mov_b32_e32 v16, v12
	v_mov_b32_e32 v14, v10
	v_cmp_gt_u32_e32 vcc, 32, v0
	v_mov_b32_e32 v15, v11
	v_mov_b32_e32 v13, v9
	s_waitcnt lgkmcnt(0)
	s_barrier
	s_and_saveexec_b64 s[0:1], vcc
	s_cbranch_execz .LBB479_19
; %bb.18:
	s_movk_i32 s4, 0x1f0
	v_mad_u32_u24 v18, v0, s4, v17
	ds_read_b128 v[13:16], v18
	ds_read_b128 v[18:21], v18 offset:16
	s_waitcnt lgkmcnt(0)
	v_add_f64 v[13:14], v[18:19], v[13:14]
	v_add_f64 v[15:16], v[20:21], v[15:16]
.LBB479_19:
	s_or_b64 exec, exec, s[0:1]
	s_branch .LBB479_32
.LBB479_20:
                                        ; implicit-def: $vgpr15_vgpr16
                                        ; implicit-def: $vgpr13_vgpr14
	s_cbranch_execz .LBB479_32
; %bb.21:
	s_movk_i32 s0, 0x200
	v_cmp_gt_u32_e32 vcc, s0, v0
	s_and_saveexec_b64 s[0:1], vcc
	s_cbranch_execz .LBB479_23
; %bb.22:
	ds_read_b128 v[13:16], v17 offset:8192
	ds_read_b128 v[18:21], v17
	s_waitcnt lgkmcnt(0)
	v_add_f64 v[13:14], v[13:14], v[18:19]
	v_add_f64 v[15:16], v[15:16], v[20:21]
	ds_write_b128 v17, v[13:16]
.LBB479_23:
	s_or_b64 exec, exec, s[0:1]
	s_movk_i32 s0, 0x100
	v_cmp_gt_u32_e32 vcc, s0, v0
	s_waitcnt lgkmcnt(0)
	s_barrier
	s_and_saveexec_b64 s[0:1], vcc
	s_cbranch_execz .LBB479_25
; %bb.24:
	ds_read_b128 v[13:16], v17 offset:4096
	ds_read_b128 v[18:21], v17
	s_waitcnt lgkmcnt(0)
	v_add_f64 v[13:14], v[13:14], v[18:19]
	v_add_f64 v[15:16], v[15:16], v[20:21]
	ds_write_b128 v17, v[13:16]
.LBB479_25:
	s_or_b64 exec, exec, s[0:1]
	s_movk_i32 s0, 0x80
	v_cmp_gt_u32_e32 vcc, s0, v0
	s_waitcnt lgkmcnt(0)
	s_barrier
	s_and_saveexec_b64 s[0:1], vcc
	s_cbranch_execz .LBB479_27
; %bb.26:
	ds_read_b128 v[13:16], v17 offset:2048
	ds_read_b128 v[18:21], v17
	s_waitcnt lgkmcnt(0)
	v_add_f64 v[13:14], v[13:14], v[18:19]
	v_add_f64 v[15:16], v[15:16], v[20:21]
	ds_write_b128 v17, v[13:16]
.LBB479_27:
	s_or_b64 exec, exec, s[0:1]
	v_cmp_gt_u32_e32 vcc, 64, v0
	s_waitcnt lgkmcnt(0)
	s_barrier
	s_and_saveexec_b64 s[0:1], vcc
	s_cbranch_execz .LBB479_29
; %bb.28:
	ds_read_b128 v[13:16], v17 offset:1024
	ds_read_b128 v[18:21], v17
	s_waitcnt lgkmcnt(0)
	v_add_f64 v[13:14], v[13:14], v[18:19]
	v_add_f64 v[15:16], v[15:16], v[20:21]
	ds_write_b128 v17, v[13:16]
.LBB479_29:
	s_or_b64 exec, exec, s[0:1]
	v_cmp_gt_u32_e32 vcc, 32, v0
	s_waitcnt lgkmcnt(0)
	s_and_saveexec_b64 s[0:1], vcc
	s_cbranch_execz .LBB479_31
; %bb.30:
	ds_read_b128 v[9:12], v17 offset:512
	ds_read_b128 v[13:16], v17
	s_waitcnt lgkmcnt(0)
	v_add_f64 v[9:10], v[9:10], v[13:14]
	v_add_f64 v[11:12], v[11:12], v[15:16]
.LBB479_31:
	s_or_b64 exec, exec, s[0:1]
	v_mov_b32_e32 v16, v12
	v_mov_b32_e32 v14, v10
	;; [unrolled: 1-line block ×4, first 2 shown]
.LBB479_32:
	v_cmp_gt_u32_e32 vcc, 32, v0
	s_and_b64 exec, exec, vcc
	s_cbranch_execz .LBB479_37
; %bb.33:
	v_mul_f64 v[9:10], v[15:16], -v[7:8]
	v_mul_f64 v[11:12], v[5:6], v[15:16]
	v_cmp_eq_f64_e32 vcc, 0, v[1:2]
	v_cmp_eq_f64_e64 s[0:1], 0, v[3:4]
	v_fma_f64 v[5:6], v[5:6], v[13:14], v[9:10]
	v_fma_f64 v[7:8], v[7:8], v[13:14], v[11:12]
	s_and_b64 s[0:1], vcc, s[0:1]
	s_and_saveexec_b64 s[4:5], s[0:1]
	s_xor_b64 s[0:1], exec, s[4:5]
	s_cbranch_execz .LBB479_35
; %bb.34:
	s_lshl_b64 s[4:5], s[6:7], 9
	s_add_u32 s4, s2, s4
	s_addc_u32 s5, s3, s5
	global_store_dwordx4 v17, v[5:8], s[4:5]
                                        ; implicit-def: $vgpr17
                                        ; implicit-def: $vgpr1_vgpr2
                                        ; implicit-def: $vgpr5_vgpr6
.LBB479_35:
	s_andn2_saveexec_b64 s[0:1], s[0:1]
	s_cbranch_execz .LBB479_37
; %bb.36:
	s_lshl_b64 s[0:1], s[6:7], 9
	s_add_u32 s0, s2, s0
	s_addc_u32 s1, s3, s1
	global_load_dwordx4 v[9:12], v17, s[0:1]
	s_waitcnt vmcnt(0)
	v_fma_f64 v[5:6], v[1:2], v[9:10], v[5:6]
	v_fma_f64 v[7:8], v[3:4], v[9:10], v[7:8]
	v_fma_f64 v[3:4], -v[3:4], v[11:12], v[5:6]
	v_fma_f64 v[5:6], v[1:2], v[11:12], v[7:8]
	global_store_dwordx4 v17, v[3:6], s[0:1]
.LBB479_37:
	s_endpgm
	.section	.rodata,"a",@progbits
	.p2align	6, 0x0
	.amdhsa_kernel _ZN9rocsparseL20bsrxmvn_17_32_kernelILj32E21rocsparse_complex_numIdElldS2_S2_EEvT2_20rocsparse_direction_NS_24const_host_device_scalarIT0_EES3_PKS3_PKT1_SC_S9_PKT3_PKT4_S7_PT5_21rocsparse_index_base_b
		.amdhsa_group_segment_fixed_size 16384
		.amdhsa_private_segment_fixed_size 0
		.amdhsa_kernarg_size 120
		.amdhsa_user_sgpr_count 6
		.amdhsa_user_sgpr_private_segment_buffer 1
		.amdhsa_user_sgpr_dispatch_ptr 0
		.amdhsa_user_sgpr_queue_ptr 0
		.amdhsa_user_sgpr_kernarg_segment_ptr 1
		.amdhsa_user_sgpr_dispatch_id 0
		.amdhsa_user_sgpr_flat_scratch_init 0
		.amdhsa_user_sgpr_private_segment_size 0
		.amdhsa_uses_dynamic_stack 0
		.amdhsa_system_sgpr_private_segment_wavefront_offset 0
		.amdhsa_system_sgpr_workgroup_id_x 1
		.amdhsa_system_sgpr_workgroup_id_y 0
		.amdhsa_system_sgpr_workgroup_id_z 0
		.amdhsa_system_sgpr_workgroup_info 0
		.amdhsa_system_vgpr_workitem_id 0
		.amdhsa_next_free_vgpr 29
		.amdhsa_next_free_sgpr 61
		.amdhsa_reserve_vcc 1
		.amdhsa_reserve_flat_scratch 0
		.amdhsa_float_round_mode_32 0
		.amdhsa_float_round_mode_16_64 0
		.amdhsa_float_denorm_mode_32 3
		.amdhsa_float_denorm_mode_16_64 3
		.amdhsa_dx10_clamp 1
		.amdhsa_ieee_mode 1
		.amdhsa_fp16_overflow 0
		.amdhsa_exception_fp_ieee_invalid_op 0
		.amdhsa_exception_fp_denorm_src 0
		.amdhsa_exception_fp_ieee_div_zero 0
		.amdhsa_exception_fp_ieee_overflow 0
		.amdhsa_exception_fp_ieee_underflow 0
		.amdhsa_exception_fp_ieee_inexact 0
		.amdhsa_exception_int_div_zero 0
	.end_amdhsa_kernel
	.section	.text._ZN9rocsparseL20bsrxmvn_17_32_kernelILj32E21rocsparse_complex_numIdElldS2_S2_EEvT2_20rocsparse_direction_NS_24const_host_device_scalarIT0_EES3_PKS3_PKT1_SC_S9_PKT3_PKT4_S7_PT5_21rocsparse_index_base_b,"axG",@progbits,_ZN9rocsparseL20bsrxmvn_17_32_kernelILj32E21rocsparse_complex_numIdElldS2_S2_EEvT2_20rocsparse_direction_NS_24const_host_device_scalarIT0_EES3_PKS3_PKT1_SC_S9_PKT3_PKT4_S7_PT5_21rocsparse_index_base_b,comdat
.Lfunc_end479:
	.size	_ZN9rocsparseL20bsrxmvn_17_32_kernelILj32E21rocsparse_complex_numIdElldS2_S2_EEvT2_20rocsparse_direction_NS_24const_host_device_scalarIT0_EES3_PKS3_PKT1_SC_S9_PKT3_PKT4_S7_PT5_21rocsparse_index_base_b, .Lfunc_end479-_ZN9rocsparseL20bsrxmvn_17_32_kernelILj32E21rocsparse_complex_numIdElldS2_S2_EEvT2_20rocsparse_direction_NS_24const_host_device_scalarIT0_EES3_PKS3_PKT1_SC_S9_PKT3_PKT4_S7_PT5_21rocsparse_index_base_b
                                        ; -- End function
	.set _ZN9rocsparseL20bsrxmvn_17_32_kernelILj32E21rocsparse_complex_numIdElldS2_S2_EEvT2_20rocsparse_direction_NS_24const_host_device_scalarIT0_EES3_PKS3_PKT1_SC_S9_PKT3_PKT4_S7_PT5_21rocsparse_index_base_b.num_vgpr, 26
	.set _ZN9rocsparseL20bsrxmvn_17_32_kernelILj32E21rocsparse_complex_numIdElldS2_S2_EEvT2_20rocsparse_direction_NS_24const_host_device_scalarIT0_EES3_PKS3_PKT1_SC_S9_PKT3_PKT4_S7_PT5_21rocsparse_index_base_b.num_agpr, 0
	.set _ZN9rocsparseL20bsrxmvn_17_32_kernelILj32E21rocsparse_complex_numIdElldS2_S2_EEvT2_20rocsparse_direction_NS_24const_host_device_scalarIT0_EES3_PKS3_PKT1_SC_S9_PKT3_PKT4_S7_PT5_21rocsparse_index_base_b.numbered_sgpr, 22
	.set _ZN9rocsparseL20bsrxmvn_17_32_kernelILj32E21rocsparse_complex_numIdElldS2_S2_EEvT2_20rocsparse_direction_NS_24const_host_device_scalarIT0_EES3_PKS3_PKT1_SC_S9_PKT3_PKT4_S7_PT5_21rocsparse_index_base_b.num_named_barrier, 0
	.set _ZN9rocsparseL20bsrxmvn_17_32_kernelILj32E21rocsparse_complex_numIdElldS2_S2_EEvT2_20rocsparse_direction_NS_24const_host_device_scalarIT0_EES3_PKS3_PKT1_SC_S9_PKT3_PKT4_S7_PT5_21rocsparse_index_base_b.private_seg_size, 0
	.set _ZN9rocsparseL20bsrxmvn_17_32_kernelILj32E21rocsparse_complex_numIdElldS2_S2_EEvT2_20rocsparse_direction_NS_24const_host_device_scalarIT0_EES3_PKS3_PKT1_SC_S9_PKT3_PKT4_S7_PT5_21rocsparse_index_base_b.uses_vcc, 1
	.set _ZN9rocsparseL20bsrxmvn_17_32_kernelILj32E21rocsparse_complex_numIdElldS2_S2_EEvT2_20rocsparse_direction_NS_24const_host_device_scalarIT0_EES3_PKS3_PKT1_SC_S9_PKT3_PKT4_S7_PT5_21rocsparse_index_base_b.uses_flat_scratch, 0
	.set _ZN9rocsparseL20bsrxmvn_17_32_kernelILj32E21rocsparse_complex_numIdElldS2_S2_EEvT2_20rocsparse_direction_NS_24const_host_device_scalarIT0_EES3_PKS3_PKT1_SC_S9_PKT3_PKT4_S7_PT5_21rocsparse_index_base_b.has_dyn_sized_stack, 0
	.set _ZN9rocsparseL20bsrxmvn_17_32_kernelILj32E21rocsparse_complex_numIdElldS2_S2_EEvT2_20rocsparse_direction_NS_24const_host_device_scalarIT0_EES3_PKS3_PKT1_SC_S9_PKT3_PKT4_S7_PT5_21rocsparse_index_base_b.has_recursion, 0
	.set _ZN9rocsparseL20bsrxmvn_17_32_kernelILj32E21rocsparse_complex_numIdElldS2_S2_EEvT2_20rocsparse_direction_NS_24const_host_device_scalarIT0_EES3_PKS3_PKT1_SC_S9_PKT3_PKT4_S7_PT5_21rocsparse_index_base_b.has_indirect_call, 0
	.section	.AMDGPU.csdata,"",@progbits
; Kernel info:
; codeLenInByte = 1552
; TotalNumSgprs: 26
; NumVgprs: 26
; ScratchSize: 0
; MemoryBound: 0
; FloatMode: 240
; IeeeMode: 1
; LDSByteSize: 16384 bytes/workgroup (compile time only)
; SGPRBlocks: 8
; VGPRBlocks: 7
; NumSGPRsForWavesPerEU: 65
; NumVGPRsForWavesPerEU: 29
; Occupancy: 8
; WaveLimiterHint : 1
; COMPUTE_PGM_RSRC2:SCRATCH_EN: 0
; COMPUTE_PGM_RSRC2:USER_SGPR: 6
; COMPUTE_PGM_RSRC2:TRAP_HANDLER: 0
; COMPUTE_PGM_RSRC2:TGID_X_EN: 1
; COMPUTE_PGM_RSRC2:TGID_Y_EN: 0
; COMPUTE_PGM_RSRC2:TGID_Z_EN: 0
; COMPUTE_PGM_RSRC2:TIDIG_COMP_CNT: 0
	.section	.text._ZN9rocsparseL20bsrxmvn_17_32_kernelILj17EdiifddEEvT2_20rocsparse_direction_NS_24const_host_device_scalarIT0_EES1_PKS1_PKT1_SA_S7_PKT3_PKT4_S5_PT5_21rocsparse_index_base_b,"axG",@progbits,_ZN9rocsparseL20bsrxmvn_17_32_kernelILj17EdiifddEEvT2_20rocsparse_direction_NS_24const_host_device_scalarIT0_EES1_PKS1_PKT1_SA_S7_PKT3_PKT4_S5_PT5_21rocsparse_index_base_b,comdat
	.globl	_ZN9rocsparseL20bsrxmvn_17_32_kernelILj17EdiifddEEvT2_20rocsparse_direction_NS_24const_host_device_scalarIT0_EES1_PKS1_PKT1_SA_S7_PKT3_PKT4_S5_PT5_21rocsparse_index_base_b ; -- Begin function _ZN9rocsparseL20bsrxmvn_17_32_kernelILj17EdiifddEEvT2_20rocsparse_direction_NS_24const_host_device_scalarIT0_EES1_PKS1_PKT1_SA_S7_PKT3_PKT4_S5_PT5_21rocsparse_index_base_b
	.p2align	8
	.type	_ZN9rocsparseL20bsrxmvn_17_32_kernelILj17EdiifddEEvT2_20rocsparse_direction_NS_24const_host_device_scalarIT0_EES1_PKS1_PKT1_SA_S7_PKT3_PKT4_S5_PT5_21rocsparse_index_base_b,@function
_ZN9rocsparseL20bsrxmvn_17_32_kernelILj17EdiifddEEvT2_20rocsparse_direction_NS_24const_host_device_scalarIT0_EES1_PKS1_PKT1_SA_S7_PKT3_PKT4_S5_PT5_21rocsparse_index_base_b: ; @_ZN9rocsparseL20bsrxmvn_17_32_kernelILj17EdiifddEEvT2_20rocsparse_direction_NS_24const_host_device_scalarIT0_EES1_PKS1_PKT1_SA_S7_PKT3_PKT4_S5_PT5_21rocsparse_index_base_b
; %bb.0:
	s_load_dwordx2 s[10:11], s[4:5], 0x58
	s_load_dwordx2 s[8:9], s[4:5], 0x8
	;; [unrolled: 1-line block ×3, first 2 shown]
	s_waitcnt lgkmcnt(0)
	s_bitcmp1_b32 s11, 0
	s_cselect_b64 s[12:13], -1, 0
	v_mov_b32_e32 v3, s8
	s_xor_b64 s[2:3], s[12:13], -1
	s_and_b64 vcc, exec, s[12:13]
	v_mov_b32_e32 v4, s9
	s_cbranch_vccnz .LBB480_2
; %bb.1:
	v_mov_b32_e32 v1, s8
	v_mov_b32_e32 v2, s9
	flat_load_dwordx2 v[3:4], v[1:2]
.LBB480_2:
	v_mov_b32_e32 v2, s1
	s_andn2_b64 vcc, exec, s[2:3]
	v_mov_b32_e32 v1, s0
	s_cbranch_vccnz .LBB480_4
; %bb.3:
	v_mov_b32_e32 v2, s1
	v_mov_b32_e32 v1, s0
	flat_load_dwordx2 v[1:2], v[1:2]
.LBB480_4:
	s_waitcnt vmcnt(0) lgkmcnt(0)
	v_cmp_neq_f64_e32 vcc, 0, v[3:4]
	v_cmp_neq_f64_e64 s[0:1], 1.0, v[1:2]
	s_or_b64 s[0:1], vcc, s[0:1]
	s_and_saveexec_b64 s[2:3], s[0:1]
	s_cbranch_execz .LBB480_41
; %bb.5:
	s_load_dwordx4 s[0:3], s[4:5], 0x18
	s_load_dwordx2 s[14:15], s[4:5], 0x28
	s_waitcnt lgkmcnt(0)
	s_cmp_eq_u64 s[0:1], 0
	s_cbranch_scc1 .LBB480_7
; %bb.6:
	s_ashr_i32 s7, s6, 31
	s_lshl_b64 s[6:7], s[6:7], 2
	s_add_u32 s0, s0, s6
	s_addc_u32 s1, s1, s7
	s_load_dword s0, s[0:1], 0x0
	s_waitcnt lgkmcnt(0)
	s_sub_i32 s6, s0, s10
.LBB480_7:
	s_load_dword s0, s[4:5], 0x4
	s_load_dwordx2 s[8:9], s[4:5], 0x50
	v_mul_u32_u24_e32 v7, 0xf10, v0
	v_mov_b32_e32 v5, 17
	v_mul_lo_u16_sdwa v8, v7, v5 dst_sel:DWORD dst_unused:UNUSED_PAD src0_sel:WORD_1 src1_sel:DWORD
	s_waitcnt lgkmcnt(0)
	s_cmp_eq_u32 s0, 1
	s_cselect_b64 vcc, -1, 0
	s_cmp_lg_u32 s0, 1
	s_cselect_b64 s[12:13], -1, 0
	s_ashr_i32 s7, s6, 31
	s_lshl_b64 s[0:1], s[6:7], 2
	s_add_u32 s2, s2, s0
	s_addc_u32 s3, s3, s1
	s_load_dword s7, s[2:3], 0x0
	s_add_u32 s2, s2, 4
	s_addc_u32 s3, s3, 0
	s_add_u32 s0, s14, s0
	s_addc_u32 s1, s15, s1
	s_cmp_eq_u64 s[14:15], 0
	s_cselect_b32 s1, s3, s1
	s_cselect_b32 s0, s2, s0
	s_load_dword s11, s[0:1], 0x0
	v_mov_b32_e32 v5, 0
	v_mov_b32_e32 v6, 0
	v_sub_u16_e32 v12, v0, v8
	s_waitcnt lgkmcnt(0)
	s_cmp_ge_i32 s7, s11
	s_cbranch_scc1 .LBB480_12
; %bb.8:
	v_mov_b32_e32 v5, 31
	s_load_dwordx4 s[0:3], s[4:5], 0x30
	s_load_dwordx2 s[14:15], s[4:5], 0x40
	v_mul_lo_u16_sdwa v5, v7, v5 dst_sel:DWORD dst_unused:UNUSED_PAD src0_sel:WORD_1 src1_sel:DWORD
	v_lshrrev_b16_e32 v5, 9, v5
	v_mul_lo_u16_e32 v5, 17, v5
	s_sub_i32 s5, s7, s10
	s_sub_i32 s4, s11, s10
	v_sub_u16_sdwa v5, v7, v5 dst_sel:DWORD dst_unused:UNUSED_PAD src0_sel:WORD_1 src1_sel:DWORD
	s_mul_i32 s11, s5, 0x484
	v_and_b32_e32 v5, 0xff, v5
	s_mul_hi_i32 s7, s5, 0x484
	s_waitcnt lgkmcnt(0)
	s_add_u32 s2, s2, s11
	v_cndmask_b32_e32 v7, v12, v5, vcc
	s_addc_u32 s3, s3, s7
	v_lshlrev_b32_e32 v5, 2, v0
	v_mov_b32_e32 v6, s3
	v_add_co_u32_e32 v8, vcc, s2, v5
	v_addc_co_u32_e32 v9, vcc, 0, v6, vcc
	s_movk_i32 s2, 0xe3
	v_mov_b32_e32 v5, 0
	v_mov_b32_e32 v6, 0
	v_mul_u32_u24_sdwa v13, v0, s2 dst_sel:DWORD dst_unused:UNUSED_PAD src0_sel:WORD_0 src1_sel:DWORD
	s_branch .LBB480_10
.LBB480_9:                              ;   in Loop: Header=BB480_10 Depth=1
	s_or_b64 exec, exec, s[2:3]
	s_add_i32 s5, s5, 1
	s_cmp_lt_i32 s5, s4
	s_cbranch_scc0 .LBB480_12
.LBB480_10:                             ; =>This Inner Loop Header: Depth=1
	v_add_u32_sdwa v10, v13, s5 dst_sel:DWORD dst_unused:UNUSED_PAD src0_sel:WORD_1 src1_sel:DWORD
	v_cmp_gt_i32_e32 vcc, s4, v10
	s_and_saveexec_b64 s[2:3], vcc
	s_cbranch_execz .LBB480_9
; %bb.11:                               ;   in Loop: Header=BB480_10 Depth=1
	v_ashrrev_i32_e32 v11, 31, v10
	v_lshlrev_b64 v[10:11], 2, v[10:11]
	v_mov_b32_e32 v14, s1
	v_add_co_u32_e32 v10, vcc, s0, v10
	v_addc_co_u32_e32 v11, vcc, v14, v11, vcc
	global_load_dword v10, v[10:11], off
	v_mov_b32_e32 v15, s15
	global_load_dword v14, v[8:9], off
	s_waitcnt vmcnt(1)
	v_subrev_u32_e32 v10, s10, v10
	v_mad_u64_u32 v[10:11], s[16:17], v10, 17, v[7:8]
	v_ashrrev_i32_e32 v11, 31, v10
	v_lshlrev_b64 v[10:11], 3, v[10:11]
	v_add_co_u32_e32 v10, vcc, s14, v10
	v_addc_co_u32_e32 v11, vcc, v15, v11, vcc
	global_load_dwordx2 v[10:11], v[10:11], off
	s_waitcnt vmcnt(1)
	v_cvt_f64_f32_e32 v[14:15], v14
	v_add_co_u32_e32 v8, vcc, 0x484, v8
	v_addc_co_u32_e32 v9, vcc, 0, v9, vcc
	s_waitcnt vmcnt(0)
	v_fma_f64 v[5:6], v[14:15], v[10:11], v[5:6]
	s_branch .LBB480_9
.LBB480_12:
	v_lshlrev_b32_e32 v9, 3, v0
	s_and_b64 vcc, exec, s[12:13]
	ds_write_b64 v9, v[5:6]
	s_waitcnt lgkmcnt(0)
	s_barrier
	s_cbranch_vccz .LBB480_24
; %bb.13:
	v_cmp_eq_u16_e32 vcc, 0, v12
	s_and_saveexec_b64 s[0:1], vcc
	s_cbranch_execz .LBB480_15
; %bb.14:
	ds_read2_b64 v[13:16], v9 offset1:16
	s_waitcnt lgkmcnt(0)
	v_add_f64 v[7:8], v[15:16], v[13:14]
	ds_write_b64 v9, v[7:8]
.LBB480_15:
	s_or_b64 exec, exec, s[0:1]
	v_cmp_gt_u16_e32 vcc, 8, v12
	s_waitcnt lgkmcnt(0)
	s_barrier
	s_and_saveexec_b64 s[0:1], vcc
	s_cbranch_execz .LBB480_17
; %bb.16:
	ds_read2_b64 v[13:16], v9 offset1:8
	s_waitcnt lgkmcnt(0)
	v_add_f64 v[7:8], v[15:16], v[13:14]
	ds_write_b64 v9, v[7:8]
.LBB480_17:
	s_or_b64 exec, exec, s[0:1]
	v_cmp_gt_u16_e32 vcc, 4, v12
	s_waitcnt lgkmcnt(0)
	s_barrier
	s_and_saveexec_b64 s[0:1], vcc
	s_cbranch_execz .LBB480_19
; %bb.18:
	ds_read2_b64 v[13:16], v9 offset1:4
	s_waitcnt lgkmcnt(0)
	v_add_f64 v[7:8], v[15:16], v[13:14]
	ds_write_b64 v9, v[7:8]
.LBB480_19:
	s_or_b64 exec, exec, s[0:1]
	v_cmp_gt_u16_e32 vcc, 2, v12
	s_waitcnt lgkmcnt(0)
	s_barrier
	s_and_saveexec_b64 s[0:1], vcc
	s_cbranch_execz .LBB480_21
; %bb.20:
	ds_read2_b64 v[10:13], v9 offset1:2
	s_waitcnt lgkmcnt(0)
	v_add_f64 v[7:8], v[12:13], v[10:11]
	ds_write_b64 v9, v[7:8]
.LBB480_21:
	s_or_b64 exec, exec, s[0:1]
	v_mov_b32_e32 v8, v6
	v_cmp_gt_u32_e32 vcc, 17, v0
	v_mov_b32_e32 v7, v5
	s_waitcnt lgkmcnt(0)
	s_barrier
	s_and_saveexec_b64 s[0:1], vcc
	s_cbranch_execz .LBB480_23
; %bb.22:
	v_lshl_add_u32 v7, v0, 7, v9
	ds_read2_b64 v[10:13], v7 offset1:1
	s_waitcnt lgkmcnt(0)
	v_add_f64 v[7:8], v[10:11], v[12:13]
.LBB480_23:
	s_or_b64 exec, exec, s[0:1]
	v_cmp_gt_u32_e64 s[0:1], 17, v0
	s_branch .LBB480_36
.LBB480_24:
                                        ; implicit-def: $vgpr7_vgpr8
	v_cmp_gt_u32_e64 s[0:1], 17, v0
	s_cbranch_execz .LBB480_36
; %bb.25:
	s_and_saveexec_b64 s[2:3], s[0:1]
	s_cbranch_execz .LBB480_27
; %bb.26:
	ds_read_b64 v[7:8], v9 offset:2176
	ds_read_b64 v[10:11], v9
	s_waitcnt lgkmcnt(0)
	v_add_f64 v[7:8], v[7:8], v[10:11]
	ds_write_b64 v9, v[7:8]
.LBB480_27:
	s_or_b64 exec, exec, s[2:3]
	s_movk_i32 s2, 0x88
	v_cmp_gt_u32_e32 vcc, s2, v0
	s_waitcnt lgkmcnt(0)
	s_barrier
	s_and_saveexec_b64 s[2:3], vcc
	s_cbranch_execz .LBB480_29
; %bb.28:
	ds_read2_b64 v[10:13], v9 offset1:136
	s_waitcnt lgkmcnt(0)
	v_add_f64 v[7:8], v[12:13], v[10:11]
	ds_write_b64 v9, v[7:8]
.LBB480_29:
	s_or_b64 exec, exec, s[2:3]
	s_movk_i32 s2, 0x44
	v_cmp_gt_u32_e32 vcc, s2, v0
	s_waitcnt lgkmcnt(0)
	s_barrier
	s_and_saveexec_b64 s[2:3], vcc
	s_cbranch_execz .LBB480_31
; %bb.30:
	ds_read2_b64 v[10:13], v9 offset1:68
	s_waitcnt lgkmcnt(0)
	v_add_f64 v[7:8], v[12:13], v[10:11]
	ds_write_b64 v9, v[7:8]
.LBB480_31:
	s_or_b64 exec, exec, s[2:3]
	v_cmp_gt_u32_e32 vcc, 34, v0
	s_waitcnt lgkmcnt(0)
	s_barrier
	s_and_saveexec_b64 s[2:3], vcc
	s_cbranch_execz .LBB480_33
; %bb.32:
	ds_read2_b64 v[10:13], v9 offset1:34
	s_waitcnt lgkmcnt(0)
	v_add_f64 v[7:8], v[12:13], v[10:11]
	ds_write_b64 v9, v[7:8]
.LBB480_33:
	s_or_b64 exec, exec, s[2:3]
	s_waitcnt lgkmcnt(0)
	s_and_saveexec_b64 s[2:3], s[0:1]
	s_cbranch_execz .LBB480_35
; %bb.34:
	ds_read2_b64 v[5:8], v9 offset1:17
	s_waitcnt lgkmcnt(0)
	v_add_f64 v[5:6], v[5:6], v[7:8]
.LBB480_35:
	s_or_b64 exec, exec, s[2:3]
	v_mov_b32_e32 v8, v6
	v_mov_b32_e32 v7, v5
.LBB480_36:
	v_cmp_gt_u32_e32 vcc, 17, v0
	s_and_b64 exec, exec, vcc
	s_cbranch_execz .LBB480_41
; %bb.37:
	v_cmp_eq_f64_e32 vcc, 0, v[1:2]
	v_mul_f64 v[3:4], v[3:4], v[7:8]
	s_and_saveexec_b64 s[0:1], vcc
	s_xor_b64 s[0:1], exec, s[0:1]
	s_cbranch_execz .LBB480_39
; %bb.38:
	v_mad_u64_u32 v[0:1], s[2:3], s6, 17, v[0:1]
	v_mov_b32_e32 v1, 0
	v_mov_b32_e32 v2, s9
	v_lshlrev_b64 v[0:1], 3, v[0:1]
	v_add_co_u32_e32 v0, vcc, s8, v0
	v_addc_co_u32_e32 v1, vcc, v2, v1, vcc
	global_store_dwordx2 v[0:1], v[3:4], off
                                        ; implicit-def: $vgpr0
                                        ; implicit-def: $vgpr1_vgpr2
                                        ; implicit-def: $vgpr3_vgpr4
.LBB480_39:
	s_andn2_saveexec_b64 s[0:1], s[0:1]
	s_cbranch_execz .LBB480_41
; %bb.40:
	v_mad_u64_u32 v[5:6], s[0:1], s6, 17, v[0:1]
	v_mov_b32_e32 v6, 0
	v_mov_b32_e32 v0, s9
	v_lshlrev_b64 v[5:6], 3, v[5:6]
	v_add_co_u32_e32 v5, vcc, s8, v5
	v_addc_co_u32_e32 v6, vcc, v0, v6, vcc
	global_load_dwordx2 v[7:8], v[5:6], off
	s_waitcnt vmcnt(0)
	v_fma_f64 v[0:1], v[1:2], v[7:8], v[3:4]
	global_store_dwordx2 v[5:6], v[0:1], off
.LBB480_41:
	s_endpgm
	.section	.rodata,"a",@progbits
	.p2align	6, 0x0
	.amdhsa_kernel _ZN9rocsparseL20bsrxmvn_17_32_kernelILj17EdiifddEEvT2_20rocsparse_direction_NS_24const_host_device_scalarIT0_EES1_PKS1_PKT1_SA_S7_PKT3_PKT4_S5_PT5_21rocsparse_index_base_b
		.amdhsa_group_segment_fixed_size 2312
		.amdhsa_private_segment_fixed_size 0
		.amdhsa_kernarg_size 96
		.amdhsa_user_sgpr_count 6
		.amdhsa_user_sgpr_private_segment_buffer 1
		.amdhsa_user_sgpr_dispatch_ptr 0
		.amdhsa_user_sgpr_queue_ptr 0
		.amdhsa_user_sgpr_kernarg_segment_ptr 1
		.amdhsa_user_sgpr_dispatch_id 0
		.amdhsa_user_sgpr_flat_scratch_init 0
		.amdhsa_user_sgpr_private_segment_size 0
		.amdhsa_uses_dynamic_stack 0
		.amdhsa_system_sgpr_private_segment_wavefront_offset 0
		.amdhsa_system_sgpr_workgroup_id_x 1
		.amdhsa_system_sgpr_workgroup_id_y 0
		.amdhsa_system_sgpr_workgroup_id_z 0
		.amdhsa_system_sgpr_workgroup_info 0
		.amdhsa_system_vgpr_workitem_id 0
		.amdhsa_next_free_vgpr 17
		.amdhsa_next_free_sgpr 18
		.amdhsa_reserve_vcc 1
		.amdhsa_reserve_flat_scratch 0
		.amdhsa_float_round_mode_32 0
		.amdhsa_float_round_mode_16_64 0
		.amdhsa_float_denorm_mode_32 3
		.amdhsa_float_denorm_mode_16_64 3
		.amdhsa_dx10_clamp 1
		.amdhsa_ieee_mode 1
		.amdhsa_fp16_overflow 0
		.amdhsa_exception_fp_ieee_invalid_op 0
		.amdhsa_exception_fp_denorm_src 0
		.amdhsa_exception_fp_ieee_div_zero 0
		.amdhsa_exception_fp_ieee_overflow 0
		.amdhsa_exception_fp_ieee_underflow 0
		.amdhsa_exception_fp_ieee_inexact 0
		.amdhsa_exception_int_div_zero 0
	.end_amdhsa_kernel
	.section	.text._ZN9rocsparseL20bsrxmvn_17_32_kernelILj17EdiifddEEvT2_20rocsparse_direction_NS_24const_host_device_scalarIT0_EES1_PKS1_PKT1_SA_S7_PKT3_PKT4_S5_PT5_21rocsparse_index_base_b,"axG",@progbits,_ZN9rocsparseL20bsrxmvn_17_32_kernelILj17EdiifddEEvT2_20rocsparse_direction_NS_24const_host_device_scalarIT0_EES1_PKS1_PKT1_SA_S7_PKT3_PKT4_S5_PT5_21rocsparse_index_base_b,comdat
.Lfunc_end480:
	.size	_ZN9rocsparseL20bsrxmvn_17_32_kernelILj17EdiifddEEvT2_20rocsparse_direction_NS_24const_host_device_scalarIT0_EES1_PKS1_PKT1_SA_S7_PKT3_PKT4_S5_PT5_21rocsparse_index_base_b, .Lfunc_end480-_ZN9rocsparseL20bsrxmvn_17_32_kernelILj17EdiifddEEvT2_20rocsparse_direction_NS_24const_host_device_scalarIT0_EES1_PKS1_PKT1_SA_S7_PKT3_PKT4_S5_PT5_21rocsparse_index_base_b
                                        ; -- End function
	.set _ZN9rocsparseL20bsrxmvn_17_32_kernelILj17EdiifddEEvT2_20rocsparse_direction_NS_24const_host_device_scalarIT0_EES1_PKS1_PKT1_SA_S7_PKT3_PKT4_S5_PT5_21rocsparse_index_base_b.num_vgpr, 17
	.set _ZN9rocsparseL20bsrxmvn_17_32_kernelILj17EdiifddEEvT2_20rocsparse_direction_NS_24const_host_device_scalarIT0_EES1_PKS1_PKT1_SA_S7_PKT3_PKT4_S5_PT5_21rocsparse_index_base_b.num_agpr, 0
	.set _ZN9rocsparseL20bsrxmvn_17_32_kernelILj17EdiifddEEvT2_20rocsparse_direction_NS_24const_host_device_scalarIT0_EES1_PKS1_PKT1_SA_S7_PKT3_PKT4_S5_PT5_21rocsparse_index_base_b.numbered_sgpr, 18
	.set _ZN9rocsparseL20bsrxmvn_17_32_kernelILj17EdiifddEEvT2_20rocsparse_direction_NS_24const_host_device_scalarIT0_EES1_PKS1_PKT1_SA_S7_PKT3_PKT4_S5_PT5_21rocsparse_index_base_b.num_named_barrier, 0
	.set _ZN9rocsparseL20bsrxmvn_17_32_kernelILj17EdiifddEEvT2_20rocsparse_direction_NS_24const_host_device_scalarIT0_EES1_PKS1_PKT1_SA_S7_PKT3_PKT4_S5_PT5_21rocsparse_index_base_b.private_seg_size, 0
	.set _ZN9rocsparseL20bsrxmvn_17_32_kernelILj17EdiifddEEvT2_20rocsparse_direction_NS_24const_host_device_scalarIT0_EES1_PKS1_PKT1_SA_S7_PKT3_PKT4_S5_PT5_21rocsparse_index_base_b.uses_vcc, 1
	.set _ZN9rocsparseL20bsrxmvn_17_32_kernelILj17EdiifddEEvT2_20rocsparse_direction_NS_24const_host_device_scalarIT0_EES1_PKS1_PKT1_SA_S7_PKT3_PKT4_S5_PT5_21rocsparse_index_base_b.uses_flat_scratch, 0
	.set _ZN9rocsparseL20bsrxmvn_17_32_kernelILj17EdiifddEEvT2_20rocsparse_direction_NS_24const_host_device_scalarIT0_EES1_PKS1_PKT1_SA_S7_PKT3_PKT4_S5_PT5_21rocsparse_index_base_b.has_dyn_sized_stack, 0
	.set _ZN9rocsparseL20bsrxmvn_17_32_kernelILj17EdiifddEEvT2_20rocsparse_direction_NS_24const_host_device_scalarIT0_EES1_PKS1_PKT1_SA_S7_PKT3_PKT4_S5_PT5_21rocsparse_index_base_b.has_recursion, 0
	.set _ZN9rocsparseL20bsrxmvn_17_32_kernelILj17EdiifddEEvT2_20rocsparse_direction_NS_24const_host_device_scalarIT0_EES1_PKS1_PKT1_SA_S7_PKT3_PKT4_S5_PT5_21rocsparse_index_base_b.has_indirect_call, 0
	.section	.AMDGPU.csdata,"",@progbits
; Kernel info:
; codeLenInByte = 1340
; TotalNumSgprs: 22
; NumVgprs: 17
; ScratchSize: 0
; MemoryBound: 0
; FloatMode: 240
; IeeeMode: 1
; LDSByteSize: 2312 bytes/workgroup (compile time only)
; SGPRBlocks: 2
; VGPRBlocks: 4
; NumSGPRsForWavesPerEU: 22
; NumVGPRsForWavesPerEU: 17
; Occupancy: 10
; WaveLimiterHint : 1
; COMPUTE_PGM_RSRC2:SCRATCH_EN: 0
; COMPUTE_PGM_RSRC2:USER_SGPR: 6
; COMPUTE_PGM_RSRC2:TRAP_HANDLER: 0
; COMPUTE_PGM_RSRC2:TGID_X_EN: 1
; COMPUTE_PGM_RSRC2:TGID_Y_EN: 0
; COMPUTE_PGM_RSRC2:TGID_Z_EN: 0
; COMPUTE_PGM_RSRC2:TIDIG_COMP_CNT: 0
	.section	.text._ZN9rocsparseL20bsrxmvn_17_32_kernelILj18EdiifddEEvT2_20rocsparse_direction_NS_24const_host_device_scalarIT0_EES1_PKS1_PKT1_SA_S7_PKT3_PKT4_S5_PT5_21rocsparse_index_base_b,"axG",@progbits,_ZN9rocsparseL20bsrxmvn_17_32_kernelILj18EdiifddEEvT2_20rocsparse_direction_NS_24const_host_device_scalarIT0_EES1_PKS1_PKT1_SA_S7_PKT3_PKT4_S5_PT5_21rocsparse_index_base_b,comdat
	.globl	_ZN9rocsparseL20bsrxmvn_17_32_kernelILj18EdiifddEEvT2_20rocsparse_direction_NS_24const_host_device_scalarIT0_EES1_PKS1_PKT1_SA_S7_PKT3_PKT4_S5_PT5_21rocsparse_index_base_b ; -- Begin function _ZN9rocsparseL20bsrxmvn_17_32_kernelILj18EdiifddEEvT2_20rocsparse_direction_NS_24const_host_device_scalarIT0_EES1_PKS1_PKT1_SA_S7_PKT3_PKT4_S5_PT5_21rocsparse_index_base_b
	.p2align	8
	.type	_ZN9rocsparseL20bsrxmvn_17_32_kernelILj18EdiifddEEvT2_20rocsparse_direction_NS_24const_host_device_scalarIT0_EES1_PKS1_PKT1_SA_S7_PKT3_PKT4_S5_PT5_21rocsparse_index_base_b,@function
_ZN9rocsparseL20bsrxmvn_17_32_kernelILj18EdiifddEEvT2_20rocsparse_direction_NS_24const_host_device_scalarIT0_EES1_PKS1_PKT1_SA_S7_PKT3_PKT4_S5_PT5_21rocsparse_index_base_b: ; @_ZN9rocsparseL20bsrxmvn_17_32_kernelILj18EdiifddEEvT2_20rocsparse_direction_NS_24const_host_device_scalarIT0_EES1_PKS1_PKT1_SA_S7_PKT3_PKT4_S5_PT5_21rocsparse_index_base_b
; %bb.0:
	s_load_dwordx2 s[10:11], s[4:5], 0x58
	s_load_dwordx2 s[8:9], s[4:5], 0x8
	;; [unrolled: 1-line block ×3, first 2 shown]
	s_waitcnt lgkmcnt(0)
	s_bitcmp1_b32 s11, 0
	s_cselect_b64 s[12:13], -1, 0
	v_mov_b32_e32 v3, s8
	s_xor_b64 s[2:3], s[12:13], -1
	s_and_b64 vcc, exec, s[12:13]
	v_mov_b32_e32 v4, s9
	s_cbranch_vccnz .LBB481_2
; %bb.1:
	v_mov_b32_e32 v1, s8
	v_mov_b32_e32 v2, s9
	flat_load_dwordx2 v[3:4], v[1:2]
.LBB481_2:
	v_mov_b32_e32 v2, s1
	s_andn2_b64 vcc, exec, s[2:3]
	v_mov_b32_e32 v1, s0
	s_cbranch_vccnz .LBB481_4
; %bb.3:
	v_mov_b32_e32 v2, s1
	v_mov_b32_e32 v1, s0
	flat_load_dwordx2 v[1:2], v[1:2]
.LBB481_4:
	s_waitcnt vmcnt(0) lgkmcnt(0)
	v_cmp_neq_f64_e32 vcc, 0, v[3:4]
	v_cmp_neq_f64_e64 s[0:1], 1.0, v[1:2]
	s_or_b64 s[0:1], vcc, s[0:1]
	s_and_saveexec_b64 s[2:3], s[0:1]
	s_cbranch_execz .LBB481_41
; %bb.5:
	s_load_dwordx4 s[0:3], s[4:5], 0x18
	s_load_dwordx2 s[14:15], s[4:5], 0x28
	s_waitcnt lgkmcnt(0)
	s_cmp_eq_u64 s[0:1], 0
	s_cbranch_scc1 .LBB481_7
; %bb.6:
	s_ashr_i32 s7, s6, 31
	s_lshl_b64 s[6:7], s[6:7], 2
	s_add_u32 s0, s0, s6
	s_addc_u32 s1, s1, s7
	s_load_dword s0, s[0:1], 0x0
	s_waitcnt lgkmcnt(0)
	s_sub_i32 s6, s0, s10
.LBB481_7:
	s_load_dword s0, s[4:5], 0x4
	s_load_dwordx2 s[8:9], s[4:5], 0x50
	v_mul_u32_u24_e32 v7, 0xe39, v0
	v_mov_b32_e32 v8, 18
	v_mul_lo_u16_sdwa v9, v7, v8 dst_sel:DWORD dst_unused:UNUSED_PAD src0_sel:WORD_1 src1_sel:DWORD
	s_waitcnt lgkmcnt(0)
	s_cmp_eq_u32 s0, 1
	s_cselect_b64 vcc, -1, 0
	s_cmp_lg_u32 s0, 1
	s_cselect_b64 s[12:13], -1, 0
	s_ashr_i32 s7, s6, 31
	s_lshl_b64 s[0:1], s[6:7], 2
	s_add_u32 s2, s2, s0
	s_addc_u32 s3, s3, s1
	s_load_dword s7, s[2:3], 0x0
	s_add_u32 s2, s2, 4
	s_addc_u32 s3, s3, 0
	s_add_u32 s0, s14, s0
	s_addc_u32 s1, s15, s1
	s_cmp_eq_u64 s[14:15], 0
	s_cselect_b32 s1, s3, s1
	s_cselect_b32 s0, s2, s0
	s_load_dword s11, s[0:1], 0x0
	v_mov_b32_e32 v5, 0
	v_mov_b32_e32 v6, 0
	v_sub_u16_e32 v12, v0, v9
	s_waitcnt lgkmcnt(0)
	s_cmp_ge_i32 s7, s11
	s_cbranch_scc1 .LBB481_12
; %bb.8:
	s_load_dwordx4 s[0:3], s[4:5], 0x30
	s_load_dwordx2 s[14:15], s[4:5], 0x40
	v_mov_b32_e32 v5, 15
	v_mul_lo_u16_sdwa v5, v7, v5 dst_sel:DWORD dst_unused:UNUSED_PAD src0_sel:WORD_1 src1_sel:DWORD
	v_mul_lo_u16_sdwa v5, v5, v8 dst_sel:DWORD dst_unused:UNUSED_PAD src0_sel:BYTE_1 src1_sel:DWORD
	s_sub_i32 s5, s7, s10
	s_sub_i32 s4, s11, s10
	v_sub_u16_sdwa v5, v7, v5 dst_sel:DWORD dst_unused:UNUSED_PAD src0_sel:WORD_1 src1_sel:DWORD
	s_mul_i32 s11, s5, 0x510
	v_and_b32_e32 v5, 0xff, v5
	s_mul_hi_i32 s7, s5, 0x510
	s_waitcnt lgkmcnt(0)
	s_add_u32 s2, s2, s11
	v_cndmask_b32_e32 v7, v12, v5, vcc
	s_addc_u32 s3, s3, s7
	v_lshlrev_b32_e32 v5, 2, v0
	v_mov_b32_e32 v6, s3
	v_add_co_u32_e32 v8, vcc, s2, v5
	s_movk_i32 s2, 0x195
	v_addc_co_u32_e32 v9, vcc, 0, v6, vcc
	v_mul_u32_u24_sdwa v10, v0, s2 dst_sel:DWORD dst_unused:UNUSED_PAD src0_sel:WORD_0 src1_sel:DWORD
	v_mov_b32_e32 v5, 0
	v_mov_b32_e32 v6, 0
	v_lshrrev_b32_e32 v13, 17, v10
	s_branch .LBB481_10
.LBB481_9:                              ;   in Loop: Header=BB481_10 Depth=1
	s_or_b64 exec, exec, s[2:3]
	s_add_i32 s5, s5, 1
	s_cmp_lt_i32 s5, s4
	s_cbranch_scc0 .LBB481_12
.LBB481_10:                             ; =>This Inner Loop Header: Depth=1
	v_add_u32_e32 v10, s5, v13
	v_cmp_gt_i32_e32 vcc, s4, v10
	s_and_saveexec_b64 s[2:3], vcc
	s_cbranch_execz .LBB481_9
; %bb.11:                               ;   in Loop: Header=BB481_10 Depth=1
	v_ashrrev_i32_e32 v11, 31, v10
	v_lshlrev_b64 v[10:11], 2, v[10:11]
	v_mov_b32_e32 v14, s1
	v_add_co_u32_e32 v10, vcc, s0, v10
	v_addc_co_u32_e32 v11, vcc, v14, v11, vcc
	global_load_dword v10, v[10:11], off
	v_mov_b32_e32 v15, s15
	global_load_dword v14, v[8:9], off
	s_waitcnt vmcnt(1)
	v_subrev_u32_e32 v10, s10, v10
	v_mad_u64_u32 v[10:11], s[16:17], v10, 18, v[7:8]
	v_ashrrev_i32_e32 v11, 31, v10
	v_lshlrev_b64 v[10:11], 3, v[10:11]
	v_add_co_u32_e32 v10, vcc, s14, v10
	v_addc_co_u32_e32 v11, vcc, v15, v11, vcc
	global_load_dwordx2 v[10:11], v[10:11], off
	s_waitcnt vmcnt(1)
	v_cvt_f64_f32_e32 v[14:15], v14
	v_add_co_u32_e32 v8, vcc, 0x510, v8
	v_addc_co_u32_e32 v9, vcc, 0, v9, vcc
	s_waitcnt vmcnt(0)
	v_fma_f64 v[5:6], v[14:15], v[10:11], v[5:6]
	s_branch .LBB481_9
.LBB481_12:
	v_lshlrev_b32_e32 v9, 3, v0
	s_and_b64 vcc, exec, s[12:13]
	ds_write_b64 v9, v[5:6]
	s_waitcnt lgkmcnt(0)
	s_barrier
	s_cbranch_vccz .LBB481_24
; %bb.13:
	v_cmp_gt_u16_e32 vcc, 2, v12
	s_and_saveexec_b64 s[0:1], vcc
	s_cbranch_execz .LBB481_15
; %bb.14:
	ds_read2_b64 v[13:16], v9 offset1:16
	s_waitcnt lgkmcnt(0)
	v_add_f64 v[7:8], v[15:16], v[13:14]
	ds_write_b64 v9, v[7:8]
.LBB481_15:
	s_or_b64 exec, exec, s[0:1]
	v_cmp_gt_u16_e64 s[0:1], 8, v12
	s_waitcnt lgkmcnt(0)
	s_barrier
	s_and_saveexec_b64 s[2:3], s[0:1]
	s_cbranch_execz .LBB481_17
; %bb.16:
	ds_read2_b64 v[13:16], v9 offset1:8
	s_waitcnt lgkmcnt(0)
	v_add_f64 v[7:8], v[15:16], v[13:14]
	ds_write_b64 v9, v[7:8]
.LBB481_17:
	s_or_b64 exec, exec, s[2:3]
	v_cmp_gt_u16_e64 s[0:1], 4, v12
	s_waitcnt lgkmcnt(0)
	s_barrier
	s_and_saveexec_b64 s[2:3], s[0:1]
	s_cbranch_execz .LBB481_19
; %bb.18:
	ds_read2_b64 v[10:13], v9 offset1:4
	s_waitcnt lgkmcnt(0)
	v_add_f64 v[7:8], v[12:13], v[10:11]
	ds_write_b64 v9, v[7:8]
.LBB481_19:
	s_or_b64 exec, exec, s[2:3]
	s_waitcnt lgkmcnt(0)
	s_barrier
	s_and_saveexec_b64 s[0:1], vcc
	s_cbranch_execz .LBB481_21
; %bb.20:
	ds_read2_b64 v[10:13], v9 offset1:2
	s_waitcnt lgkmcnt(0)
	v_add_f64 v[7:8], v[12:13], v[10:11]
	ds_write_b64 v9, v[7:8]
.LBB481_21:
	s_or_b64 exec, exec, s[0:1]
	v_mov_b32_e32 v8, v6
	v_cmp_gt_u32_e32 vcc, 18, v0
	v_mov_b32_e32 v7, v5
	s_waitcnt lgkmcnt(0)
	s_barrier
	s_and_saveexec_b64 s[0:1], vcc
	s_cbranch_execz .LBB481_23
; %bb.22:
	s_movk_i32 s2, 0x88
	v_mad_u32_u24 v7, v0, s2, v9
	ds_read_b128 v[10:13], v7
	s_waitcnt lgkmcnt(0)
	v_add_f64 v[7:8], v[10:11], v[12:13]
.LBB481_23:
	s_or_b64 exec, exec, s[0:1]
	s_branch .LBB481_36
.LBB481_24:
                                        ; implicit-def: $vgpr7_vgpr8
	s_cbranch_execz .LBB481_36
; %bb.25:
	v_cmp_gt_u32_e32 vcc, 36, v0
	s_and_saveexec_b64 s[0:1], vcc
	s_cbranch_execz .LBB481_27
; %bb.26:
	ds_read_b64 v[7:8], v9 offset:2304
	ds_read_b64 v[10:11], v9
	s_waitcnt lgkmcnt(0)
	v_add_f64 v[7:8], v[7:8], v[10:11]
	ds_write_b64 v9, v[7:8]
.LBB481_27:
	s_or_b64 exec, exec, s[0:1]
	s_movk_i32 s0, 0x90
	v_cmp_gt_u32_e64 s[0:1], s0, v0
	s_waitcnt lgkmcnt(0)
	s_barrier
	s_and_saveexec_b64 s[2:3], s[0:1]
	s_cbranch_execz .LBB481_29
; %bb.28:
	ds_read2_b64 v[10:13], v9 offset1:144
	s_waitcnt lgkmcnt(0)
	v_add_f64 v[7:8], v[12:13], v[10:11]
	ds_write_b64 v9, v[7:8]
.LBB481_29:
	s_or_b64 exec, exec, s[2:3]
	s_movk_i32 s0, 0x48
	v_cmp_gt_u32_e64 s[0:1], s0, v0
	s_waitcnt lgkmcnt(0)
	s_barrier
	s_and_saveexec_b64 s[2:3], s[0:1]
	s_cbranch_execz .LBB481_31
; %bb.30:
	ds_read2_b64 v[10:13], v9 offset1:72
	s_waitcnt lgkmcnt(0)
	v_add_f64 v[7:8], v[12:13], v[10:11]
	ds_write_b64 v9, v[7:8]
.LBB481_31:
	s_or_b64 exec, exec, s[2:3]
	s_waitcnt lgkmcnt(0)
	s_barrier
	s_and_saveexec_b64 s[0:1], vcc
	s_cbranch_execz .LBB481_33
; %bb.32:
	ds_read2_b64 v[10:13], v9 offset1:36
	s_waitcnt lgkmcnt(0)
	v_add_f64 v[7:8], v[12:13], v[10:11]
	ds_write_b64 v9, v[7:8]
.LBB481_33:
	s_or_b64 exec, exec, s[0:1]
	v_cmp_gt_u32_e32 vcc, 18, v0
	s_waitcnt lgkmcnt(0)
	s_and_saveexec_b64 s[0:1], vcc
	s_cbranch_execz .LBB481_35
; %bb.34:
	ds_read2_b64 v[5:8], v9 offset1:18
	s_waitcnt lgkmcnt(0)
	v_add_f64 v[5:6], v[5:6], v[7:8]
.LBB481_35:
	s_or_b64 exec, exec, s[0:1]
	v_mov_b32_e32 v8, v6
	v_mov_b32_e32 v7, v5
.LBB481_36:
	v_cmp_gt_u32_e32 vcc, 18, v0
	s_and_b64 exec, exec, vcc
	s_cbranch_execz .LBB481_41
; %bb.37:
	v_cmp_eq_f64_e32 vcc, 0, v[1:2]
	v_mul_f64 v[3:4], v[3:4], v[7:8]
	s_and_saveexec_b64 s[0:1], vcc
	s_xor_b64 s[0:1], exec, s[0:1]
	s_cbranch_execz .LBB481_39
; %bb.38:
	v_mad_u64_u32 v[0:1], s[2:3], s6, 18, v[0:1]
	v_mov_b32_e32 v1, 0
	v_mov_b32_e32 v2, s9
	v_lshlrev_b64 v[0:1], 3, v[0:1]
	v_add_co_u32_e32 v0, vcc, s8, v0
	v_addc_co_u32_e32 v1, vcc, v2, v1, vcc
	global_store_dwordx2 v[0:1], v[3:4], off
                                        ; implicit-def: $vgpr0
                                        ; implicit-def: $vgpr1_vgpr2
                                        ; implicit-def: $vgpr3_vgpr4
.LBB481_39:
	s_andn2_saveexec_b64 s[0:1], s[0:1]
	s_cbranch_execz .LBB481_41
; %bb.40:
	v_mad_u64_u32 v[5:6], s[0:1], s6, 18, v[0:1]
	v_mov_b32_e32 v6, 0
	v_mov_b32_e32 v0, s9
	v_lshlrev_b64 v[5:6], 3, v[5:6]
	v_add_co_u32_e32 v5, vcc, s8, v5
	v_addc_co_u32_e32 v6, vcc, v0, v6, vcc
	global_load_dwordx2 v[7:8], v[5:6], off
	s_waitcnt vmcnt(0)
	v_fma_f64 v[0:1], v[1:2], v[7:8], v[3:4]
	global_store_dwordx2 v[5:6], v[0:1], off
.LBB481_41:
	s_endpgm
	.section	.rodata,"a",@progbits
	.p2align	6, 0x0
	.amdhsa_kernel _ZN9rocsparseL20bsrxmvn_17_32_kernelILj18EdiifddEEvT2_20rocsparse_direction_NS_24const_host_device_scalarIT0_EES1_PKS1_PKT1_SA_S7_PKT3_PKT4_S5_PT5_21rocsparse_index_base_b
		.amdhsa_group_segment_fixed_size 2592
		.amdhsa_private_segment_fixed_size 0
		.amdhsa_kernarg_size 96
		.amdhsa_user_sgpr_count 6
		.amdhsa_user_sgpr_private_segment_buffer 1
		.amdhsa_user_sgpr_dispatch_ptr 0
		.amdhsa_user_sgpr_queue_ptr 0
		.amdhsa_user_sgpr_kernarg_segment_ptr 1
		.amdhsa_user_sgpr_dispatch_id 0
		.amdhsa_user_sgpr_flat_scratch_init 0
		.amdhsa_user_sgpr_private_segment_size 0
		.amdhsa_uses_dynamic_stack 0
		.amdhsa_system_sgpr_private_segment_wavefront_offset 0
		.amdhsa_system_sgpr_workgroup_id_x 1
		.amdhsa_system_sgpr_workgroup_id_y 0
		.amdhsa_system_sgpr_workgroup_id_z 0
		.amdhsa_system_sgpr_workgroup_info 0
		.amdhsa_system_vgpr_workitem_id 0
		.amdhsa_next_free_vgpr 25
		.amdhsa_next_free_sgpr 61
		.amdhsa_reserve_vcc 1
		.amdhsa_reserve_flat_scratch 0
		.amdhsa_float_round_mode_32 0
		.amdhsa_float_round_mode_16_64 0
		.amdhsa_float_denorm_mode_32 3
		.amdhsa_float_denorm_mode_16_64 3
		.amdhsa_dx10_clamp 1
		.amdhsa_ieee_mode 1
		.amdhsa_fp16_overflow 0
		.amdhsa_exception_fp_ieee_invalid_op 0
		.amdhsa_exception_fp_denorm_src 0
		.amdhsa_exception_fp_ieee_div_zero 0
		.amdhsa_exception_fp_ieee_overflow 0
		.amdhsa_exception_fp_ieee_underflow 0
		.amdhsa_exception_fp_ieee_inexact 0
		.amdhsa_exception_int_div_zero 0
	.end_amdhsa_kernel
	.section	.text._ZN9rocsparseL20bsrxmvn_17_32_kernelILj18EdiifddEEvT2_20rocsparse_direction_NS_24const_host_device_scalarIT0_EES1_PKS1_PKT1_SA_S7_PKT3_PKT4_S5_PT5_21rocsparse_index_base_b,"axG",@progbits,_ZN9rocsparseL20bsrxmvn_17_32_kernelILj18EdiifddEEvT2_20rocsparse_direction_NS_24const_host_device_scalarIT0_EES1_PKS1_PKT1_SA_S7_PKT3_PKT4_S5_PT5_21rocsparse_index_base_b,comdat
.Lfunc_end481:
	.size	_ZN9rocsparseL20bsrxmvn_17_32_kernelILj18EdiifddEEvT2_20rocsparse_direction_NS_24const_host_device_scalarIT0_EES1_PKS1_PKT1_SA_S7_PKT3_PKT4_S5_PT5_21rocsparse_index_base_b, .Lfunc_end481-_ZN9rocsparseL20bsrxmvn_17_32_kernelILj18EdiifddEEvT2_20rocsparse_direction_NS_24const_host_device_scalarIT0_EES1_PKS1_PKT1_SA_S7_PKT3_PKT4_S5_PT5_21rocsparse_index_base_b
                                        ; -- End function
	.set _ZN9rocsparseL20bsrxmvn_17_32_kernelILj18EdiifddEEvT2_20rocsparse_direction_NS_24const_host_device_scalarIT0_EES1_PKS1_PKT1_SA_S7_PKT3_PKT4_S5_PT5_21rocsparse_index_base_b.num_vgpr, 17
	.set _ZN9rocsparseL20bsrxmvn_17_32_kernelILj18EdiifddEEvT2_20rocsparse_direction_NS_24const_host_device_scalarIT0_EES1_PKS1_PKT1_SA_S7_PKT3_PKT4_S5_PT5_21rocsparse_index_base_b.num_agpr, 0
	.set _ZN9rocsparseL20bsrxmvn_17_32_kernelILj18EdiifddEEvT2_20rocsparse_direction_NS_24const_host_device_scalarIT0_EES1_PKS1_PKT1_SA_S7_PKT3_PKT4_S5_PT5_21rocsparse_index_base_b.numbered_sgpr, 18
	.set _ZN9rocsparseL20bsrxmvn_17_32_kernelILj18EdiifddEEvT2_20rocsparse_direction_NS_24const_host_device_scalarIT0_EES1_PKS1_PKT1_SA_S7_PKT3_PKT4_S5_PT5_21rocsparse_index_base_b.num_named_barrier, 0
	.set _ZN9rocsparseL20bsrxmvn_17_32_kernelILj18EdiifddEEvT2_20rocsparse_direction_NS_24const_host_device_scalarIT0_EES1_PKS1_PKT1_SA_S7_PKT3_PKT4_S5_PT5_21rocsparse_index_base_b.private_seg_size, 0
	.set _ZN9rocsparseL20bsrxmvn_17_32_kernelILj18EdiifddEEvT2_20rocsparse_direction_NS_24const_host_device_scalarIT0_EES1_PKS1_PKT1_SA_S7_PKT3_PKT4_S5_PT5_21rocsparse_index_base_b.uses_vcc, 1
	.set _ZN9rocsparseL20bsrxmvn_17_32_kernelILj18EdiifddEEvT2_20rocsparse_direction_NS_24const_host_device_scalarIT0_EES1_PKS1_PKT1_SA_S7_PKT3_PKT4_S5_PT5_21rocsparse_index_base_b.uses_flat_scratch, 0
	.set _ZN9rocsparseL20bsrxmvn_17_32_kernelILj18EdiifddEEvT2_20rocsparse_direction_NS_24const_host_device_scalarIT0_EES1_PKS1_PKT1_SA_S7_PKT3_PKT4_S5_PT5_21rocsparse_index_base_b.has_dyn_sized_stack, 0
	.set _ZN9rocsparseL20bsrxmvn_17_32_kernelILj18EdiifddEEvT2_20rocsparse_direction_NS_24const_host_device_scalarIT0_EES1_PKS1_PKT1_SA_S7_PKT3_PKT4_S5_PT5_21rocsparse_index_base_b.has_recursion, 0
	.set _ZN9rocsparseL20bsrxmvn_17_32_kernelILj18EdiifddEEvT2_20rocsparse_direction_NS_24const_host_device_scalarIT0_EES1_PKS1_PKT1_SA_S7_PKT3_PKT4_S5_PT5_21rocsparse_index_base_b.has_indirect_call, 0
	.section	.AMDGPU.csdata,"",@progbits
; Kernel info:
; codeLenInByte = 1344
; TotalNumSgprs: 22
; NumVgprs: 17
; ScratchSize: 0
; MemoryBound: 0
; FloatMode: 240
; IeeeMode: 1
; LDSByteSize: 2592 bytes/workgroup (compile time only)
; SGPRBlocks: 8
; VGPRBlocks: 6
; NumSGPRsForWavesPerEU: 65
; NumVGPRsForWavesPerEU: 25
; Occupancy: 9
; WaveLimiterHint : 1
; COMPUTE_PGM_RSRC2:SCRATCH_EN: 0
; COMPUTE_PGM_RSRC2:USER_SGPR: 6
; COMPUTE_PGM_RSRC2:TRAP_HANDLER: 0
; COMPUTE_PGM_RSRC2:TGID_X_EN: 1
; COMPUTE_PGM_RSRC2:TGID_Y_EN: 0
; COMPUTE_PGM_RSRC2:TGID_Z_EN: 0
; COMPUTE_PGM_RSRC2:TIDIG_COMP_CNT: 0
	.section	.text._ZN9rocsparseL20bsrxmvn_17_32_kernelILj19EdiifddEEvT2_20rocsparse_direction_NS_24const_host_device_scalarIT0_EES1_PKS1_PKT1_SA_S7_PKT3_PKT4_S5_PT5_21rocsparse_index_base_b,"axG",@progbits,_ZN9rocsparseL20bsrxmvn_17_32_kernelILj19EdiifddEEvT2_20rocsparse_direction_NS_24const_host_device_scalarIT0_EES1_PKS1_PKT1_SA_S7_PKT3_PKT4_S5_PT5_21rocsparse_index_base_b,comdat
	.globl	_ZN9rocsparseL20bsrxmvn_17_32_kernelILj19EdiifddEEvT2_20rocsparse_direction_NS_24const_host_device_scalarIT0_EES1_PKS1_PKT1_SA_S7_PKT3_PKT4_S5_PT5_21rocsparse_index_base_b ; -- Begin function _ZN9rocsparseL20bsrxmvn_17_32_kernelILj19EdiifddEEvT2_20rocsparse_direction_NS_24const_host_device_scalarIT0_EES1_PKS1_PKT1_SA_S7_PKT3_PKT4_S5_PT5_21rocsparse_index_base_b
	.p2align	8
	.type	_ZN9rocsparseL20bsrxmvn_17_32_kernelILj19EdiifddEEvT2_20rocsparse_direction_NS_24const_host_device_scalarIT0_EES1_PKS1_PKT1_SA_S7_PKT3_PKT4_S5_PT5_21rocsparse_index_base_b,@function
_ZN9rocsparseL20bsrxmvn_17_32_kernelILj19EdiifddEEvT2_20rocsparse_direction_NS_24const_host_device_scalarIT0_EES1_PKS1_PKT1_SA_S7_PKT3_PKT4_S5_PT5_21rocsparse_index_base_b: ; @_ZN9rocsparseL20bsrxmvn_17_32_kernelILj19EdiifddEEvT2_20rocsparse_direction_NS_24const_host_device_scalarIT0_EES1_PKS1_PKT1_SA_S7_PKT3_PKT4_S5_PT5_21rocsparse_index_base_b
; %bb.0:
	s_load_dwordx2 s[10:11], s[4:5], 0x58
	s_load_dwordx2 s[8:9], s[4:5], 0x8
	;; [unrolled: 1-line block ×3, first 2 shown]
	s_waitcnt lgkmcnt(0)
	s_bitcmp1_b32 s11, 0
	s_cselect_b64 s[12:13], -1, 0
	v_mov_b32_e32 v3, s8
	s_xor_b64 s[2:3], s[12:13], -1
	s_and_b64 vcc, exec, s[12:13]
	v_mov_b32_e32 v4, s9
	s_cbranch_vccnz .LBB482_2
; %bb.1:
	v_mov_b32_e32 v1, s8
	v_mov_b32_e32 v2, s9
	flat_load_dwordx2 v[3:4], v[1:2]
.LBB482_2:
	v_mov_b32_e32 v2, s1
	s_andn2_b64 vcc, exec, s[2:3]
	v_mov_b32_e32 v1, s0
	s_cbranch_vccnz .LBB482_4
; %bb.3:
	v_mov_b32_e32 v2, s1
	v_mov_b32_e32 v1, s0
	flat_load_dwordx2 v[1:2], v[1:2]
.LBB482_4:
	s_waitcnt vmcnt(0) lgkmcnt(0)
	v_cmp_neq_f64_e32 vcc, 0, v[3:4]
	v_cmp_neq_f64_e64 s[0:1], 1.0, v[1:2]
	s_or_b64 s[0:1], vcc, s[0:1]
	s_and_saveexec_b64 s[2:3], s[0:1]
	s_cbranch_execz .LBB482_41
; %bb.5:
	s_load_dwordx4 s[0:3], s[4:5], 0x18
	s_load_dwordx2 s[14:15], s[4:5], 0x28
	s_waitcnt lgkmcnt(0)
	s_cmp_eq_u64 s[0:1], 0
	s_cbranch_scc1 .LBB482_7
; %bb.6:
	s_ashr_i32 s7, s6, 31
	s_lshl_b64 s[6:7], s[6:7], 2
	s_add_u32 s0, s0, s6
	s_addc_u32 s1, s1, s7
	s_load_dword s0, s[0:1], 0x0
	s_waitcnt lgkmcnt(0)
	s_sub_i32 s6, s0, s10
.LBB482_7:
	s_load_dword s0, s[4:5], 0x4
	s_load_dwordx2 s[8:9], s[4:5], 0x50
	v_mul_u32_u24_e32 v7, 0xd7a, v0
	v_mov_b32_e32 v8, 19
	v_mul_lo_u16_sdwa v9, v7, v8 dst_sel:DWORD dst_unused:UNUSED_PAD src0_sel:WORD_1 src1_sel:DWORD
	s_waitcnt lgkmcnt(0)
	s_cmp_eq_u32 s0, 1
	s_cselect_b64 vcc, -1, 0
	s_cmp_lg_u32 s0, 1
	s_cselect_b64 s[12:13], -1, 0
	s_ashr_i32 s7, s6, 31
	s_lshl_b64 s[0:1], s[6:7], 2
	s_add_u32 s2, s2, s0
	s_addc_u32 s3, s3, s1
	s_load_dword s7, s[2:3], 0x0
	s_add_u32 s2, s2, 4
	s_addc_u32 s3, s3, 0
	s_add_u32 s0, s14, s0
	s_addc_u32 s1, s15, s1
	s_cmp_eq_u64 s[14:15], 0
	s_cselect_b32 s1, s3, s1
	s_cselect_b32 s0, s2, s0
	s_load_dword s11, s[0:1], 0x0
	v_mov_b32_e32 v5, 0
	v_mov_b32_e32 v6, 0
	v_sub_u16_e32 v12, v0, v9
	s_waitcnt lgkmcnt(0)
	s_cmp_ge_i32 s7, s11
	s_cbranch_scc1 .LBB482_12
; %bb.8:
	s_load_dwordx4 s[0:3], s[4:5], 0x30
	s_load_dwordx2 s[14:15], s[4:5], 0x40
	v_mov_b32_e32 v5, 14
	v_mul_lo_u16_sdwa v5, v7, v5 dst_sel:DWORD dst_unused:UNUSED_PAD src0_sel:WORD_1 src1_sel:DWORD
	v_mul_lo_u16_sdwa v5, v5, v8 dst_sel:DWORD dst_unused:UNUSED_PAD src0_sel:BYTE_1 src1_sel:DWORD
	s_sub_i32 s5, s7, s10
	s_sub_i32 s4, s11, s10
	v_sub_u16_sdwa v5, v7, v5 dst_sel:DWORD dst_unused:UNUSED_PAD src0_sel:WORD_1 src1_sel:DWORD
	s_mul_i32 s11, s5, 0x5a4
	v_and_b32_e32 v5, 0xff, v5
	s_mul_hi_i32 s7, s5, 0x5a4
	s_waitcnt lgkmcnt(0)
	s_add_u32 s2, s2, s11
	v_cndmask_b32_e32 v7, v12, v5, vcc
	s_addc_u32 s3, s3, s7
	v_lshlrev_b32_e32 v5, 2, v0
	v_mov_b32_e32 v6, s3
	v_add_co_u32_e32 v8, vcc, s2, v5
	v_addc_co_u32_e32 v9, vcc, 0, v6, vcc
	s_movk_i32 s2, 0xb6
	v_mov_b32_e32 v5, 0
	v_mov_b32_e32 v6, 0
	v_mul_u32_u24_sdwa v13, v0, s2 dst_sel:DWORD dst_unused:UNUSED_PAD src0_sel:WORD_0 src1_sel:DWORD
	s_branch .LBB482_10
.LBB482_9:                              ;   in Loop: Header=BB482_10 Depth=1
	s_or_b64 exec, exec, s[2:3]
	s_add_i32 s5, s5, 1
	s_cmp_lt_i32 s5, s4
	s_cbranch_scc0 .LBB482_12
.LBB482_10:                             ; =>This Inner Loop Header: Depth=1
	v_add_u32_sdwa v10, v13, s5 dst_sel:DWORD dst_unused:UNUSED_PAD src0_sel:WORD_1 src1_sel:DWORD
	v_cmp_gt_i32_e32 vcc, s4, v10
	s_and_saveexec_b64 s[2:3], vcc
	s_cbranch_execz .LBB482_9
; %bb.11:                               ;   in Loop: Header=BB482_10 Depth=1
	v_ashrrev_i32_e32 v11, 31, v10
	v_lshlrev_b64 v[10:11], 2, v[10:11]
	v_mov_b32_e32 v14, s1
	v_add_co_u32_e32 v10, vcc, s0, v10
	v_addc_co_u32_e32 v11, vcc, v14, v11, vcc
	global_load_dword v10, v[10:11], off
	v_mov_b32_e32 v15, s15
	global_load_dword v14, v[8:9], off
	s_waitcnt vmcnt(1)
	v_subrev_u32_e32 v10, s10, v10
	v_mad_u64_u32 v[10:11], s[16:17], v10, 19, v[7:8]
	v_ashrrev_i32_e32 v11, 31, v10
	v_lshlrev_b64 v[10:11], 3, v[10:11]
	v_add_co_u32_e32 v10, vcc, s14, v10
	v_addc_co_u32_e32 v11, vcc, v15, v11, vcc
	global_load_dwordx2 v[10:11], v[10:11], off
	s_waitcnt vmcnt(1)
	v_cvt_f64_f32_e32 v[14:15], v14
	v_add_co_u32_e32 v8, vcc, 0x5a4, v8
	v_addc_co_u32_e32 v9, vcc, 0, v9, vcc
	s_waitcnt vmcnt(0)
	v_fma_f64 v[5:6], v[14:15], v[10:11], v[5:6]
	s_branch .LBB482_9
.LBB482_12:
	v_lshlrev_b32_e32 v9, 3, v0
	s_and_b64 vcc, exec, s[12:13]
	ds_write_b64 v9, v[5:6]
	s_waitcnt lgkmcnt(0)
	s_barrier
	s_cbranch_vccz .LBB482_24
; %bb.13:
	v_cmp_gt_u16_e32 vcc, 3, v12
	s_and_saveexec_b64 s[0:1], vcc
	s_cbranch_execz .LBB482_15
; %bb.14:
	ds_read2_b64 v[13:16], v9 offset1:16
	s_waitcnt lgkmcnt(0)
	v_add_f64 v[7:8], v[15:16], v[13:14]
	ds_write_b64 v9, v[7:8]
.LBB482_15:
	s_or_b64 exec, exec, s[0:1]
	v_cmp_gt_u16_e32 vcc, 8, v12
	s_waitcnt lgkmcnt(0)
	s_barrier
	s_and_saveexec_b64 s[0:1], vcc
	s_cbranch_execz .LBB482_17
; %bb.16:
	ds_read2_b64 v[13:16], v9 offset1:8
	s_waitcnt lgkmcnt(0)
	v_add_f64 v[7:8], v[15:16], v[13:14]
	ds_write_b64 v9, v[7:8]
.LBB482_17:
	s_or_b64 exec, exec, s[0:1]
	v_cmp_gt_u16_e32 vcc, 4, v12
	s_waitcnt lgkmcnt(0)
	s_barrier
	;; [unrolled: 12-line block ×3, first 2 shown]
	s_and_saveexec_b64 s[0:1], vcc
	s_cbranch_execz .LBB482_21
; %bb.20:
	ds_read2_b64 v[10:13], v9 offset1:2
	s_waitcnt lgkmcnt(0)
	v_add_f64 v[7:8], v[12:13], v[10:11]
	ds_write_b64 v9, v[7:8]
.LBB482_21:
	s_or_b64 exec, exec, s[0:1]
	v_mov_b32_e32 v8, v6
	v_cmp_gt_u32_e32 vcc, 19, v0
	v_mov_b32_e32 v7, v5
	s_waitcnt lgkmcnt(0)
	s_barrier
	s_and_saveexec_b64 s[0:1], vcc
	s_cbranch_execz .LBB482_23
; %bb.22:
	s_movk_i32 s2, 0x90
	v_mad_u32_u24 v7, v0, s2, v9
	ds_read2_b64 v[10:13], v7 offset1:1
	s_waitcnt lgkmcnt(0)
	v_add_f64 v[7:8], v[10:11], v[12:13]
.LBB482_23:
	s_or_b64 exec, exec, s[0:1]
	s_branch .LBB482_36
.LBB482_24:
                                        ; implicit-def: $vgpr7_vgpr8
	s_cbranch_execz .LBB482_36
; %bb.25:
	v_cmp_gt_u32_e32 vcc, 57, v0
	s_and_saveexec_b64 s[0:1], vcc
	s_cbranch_execz .LBB482_27
; %bb.26:
	ds_read_b64 v[7:8], v9 offset:2432
	ds_read_b64 v[10:11], v9
	s_waitcnt lgkmcnt(0)
	v_add_f64 v[7:8], v[7:8], v[10:11]
	ds_write_b64 v9, v[7:8]
.LBB482_27:
	s_or_b64 exec, exec, s[0:1]
	s_movk_i32 s0, 0x98
	v_cmp_gt_u32_e32 vcc, s0, v0
	s_waitcnt lgkmcnt(0)
	s_barrier
	s_and_saveexec_b64 s[0:1], vcc
	s_cbranch_execz .LBB482_29
; %bb.28:
	ds_read2_b64 v[10:13], v9 offset1:152
	s_waitcnt lgkmcnt(0)
	v_add_f64 v[7:8], v[12:13], v[10:11]
	ds_write_b64 v9, v[7:8]
.LBB482_29:
	s_or_b64 exec, exec, s[0:1]
	s_movk_i32 s0, 0x4c
	v_cmp_gt_u32_e32 vcc, s0, v0
	s_waitcnt lgkmcnt(0)
	s_barrier
	s_and_saveexec_b64 s[0:1], vcc
	s_cbranch_execz .LBB482_31
; %bb.30:
	ds_read2_b64 v[10:13], v9 offset1:76
	s_waitcnt lgkmcnt(0)
	v_add_f64 v[7:8], v[12:13], v[10:11]
	ds_write_b64 v9, v[7:8]
.LBB482_31:
	s_or_b64 exec, exec, s[0:1]
	v_cmp_gt_u32_e32 vcc, 38, v0
	s_waitcnt lgkmcnt(0)
	s_barrier
	s_and_saveexec_b64 s[0:1], vcc
	s_cbranch_execz .LBB482_33
; %bb.32:
	ds_read2_b64 v[10:13], v9 offset1:38
	s_waitcnt lgkmcnt(0)
	v_add_f64 v[7:8], v[12:13], v[10:11]
	ds_write_b64 v9, v[7:8]
.LBB482_33:
	s_or_b64 exec, exec, s[0:1]
	v_cmp_gt_u32_e32 vcc, 19, v0
	s_waitcnt lgkmcnt(0)
	s_and_saveexec_b64 s[0:1], vcc
	s_cbranch_execz .LBB482_35
; %bb.34:
	ds_read2_b64 v[5:8], v9 offset1:19
	s_waitcnt lgkmcnt(0)
	v_add_f64 v[5:6], v[5:6], v[7:8]
.LBB482_35:
	s_or_b64 exec, exec, s[0:1]
	v_mov_b32_e32 v8, v6
	v_mov_b32_e32 v7, v5
.LBB482_36:
	v_cmp_gt_u32_e32 vcc, 19, v0
	s_and_b64 exec, exec, vcc
	s_cbranch_execz .LBB482_41
; %bb.37:
	v_cmp_eq_f64_e32 vcc, 0, v[1:2]
	v_mul_f64 v[3:4], v[3:4], v[7:8]
	s_and_saveexec_b64 s[0:1], vcc
	s_xor_b64 s[0:1], exec, s[0:1]
	s_cbranch_execz .LBB482_39
; %bb.38:
	v_mad_u64_u32 v[0:1], s[2:3], s6, 19, v[0:1]
	v_mov_b32_e32 v1, 0
	v_mov_b32_e32 v2, s9
	v_lshlrev_b64 v[0:1], 3, v[0:1]
	v_add_co_u32_e32 v0, vcc, s8, v0
	v_addc_co_u32_e32 v1, vcc, v2, v1, vcc
	global_store_dwordx2 v[0:1], v[3:4], off
                                        ; implicit-def: $vgpr0
                                        ; implicit-def: $vgpr1_vgpr2
                                        ; implicit-def: $vgpr3_vgpr4
.LBB482_39:
	s_andn2_saveexec_b64 s[0:1], s[0:1]
	s_cbranch_execz .LBB482_41
; %bb.40:
	v_mad_u64_u32 v[5:6], s[0:1], s6, 19, v[0:1]
	v_mov_b32_e32 v6, 0
	v_mov_b32_e32 v0, s9
	v_lshlrev_b64 v[5:6], 3, v[5:6]
	v_add_co_u32_e32 v5, vcc, s8, v5
	v_addc_co_u32_e32 v6, vcc, v0, v6, vcc
	global_load_dwordx2 v[7:8], v[5:6], off
	s_waitcnt vmcnt(0)
	v_fma_f64 v[0:1], v[1:2], v[7:8], v[3:4]
	global_store_dwordx2 v[5:6], v[0:1], off
.LBB482_41:
	s_endpgm
	.section	.rodata,"a",@progbits
	.p2align	6, 0x0
	.amdhsa_kernel _ZN9rocsparseL20bsrxmvn_17_32_kernelILj19EdiifddEEvT2_20rocsparse_direction_NS_24const_host_device_scalarIT0_EES1_PKS1_PKT1_SA_S7_PKT3_PKT4_S5_PT5_21rocsparse_index_base_b
		.amdhsa_group_segment_fixed_size 2888
		.amdhsa_private_segment_fixed_size 0
		.amdhsa_kernarg_size 96
		.amdhsa_user_sgpr_count 6
		.amdhsa_user_sgpr_private_segment_buffer 1
		.amdhsa_user_sgpr_dispatch_ptr 0
		.amdhsa_user_sgpr_queue_ptr 0
		.amdhsa_user_sgpr_kernarg_segment_ptr 1
		.amdhsa_user_sgpr_dispatch_id 0
		.amdhsa_user_sgpr_flat_scratch_init 0
		.amdhsa_user_sgpr_private_segment_size 0
		.amdhsa_uses_dynamic_stack 0
		.amdhsa_system_sgpr_private_segment_wavefront_offset 0
		.amdhsa_system_sgpr_workgroup_id_x 1
		.amdhsa_system_sgpr_workgroup_id_y 0
		.amdhsa_system_sgpr_workgroup_id_z 0
		.amdhsa_system_sgpr_workgroup_info 0
		.amdhsa_system_vgpr_workitem_id 0
		.amdhsa_next_free_vgpr 25
		.amdhsa_next_free_sgpr 61
		.amdhsa_reserve_vcc 1
		.amdhsa_reserve_flat_scratch 0
		.amdhsa_float_round_mode_32 0
		.amdhsa_float_round_mode_16_64 0
		.amdhsa_float_denorm_mode_32 3
		.amdhsa_float_denorm_mode_16_64 3
		.amdhsa_dx10_clamp 1
		.amdhsa_ieee_mode 1
		.amdhsa_fp16_overflow 0
		.amdhsa_exception_fp_ieee_invalid_op 0
		.amdhsa_exception_fp_denorm_src 0
		.amdhsa_exception_fp_ieee_div_zero 0
		.amdhsa_exception_fp_ieee_overflow 0
		.amdhsa_exception_fp_ieee_underflow 0
		.amdhsa_exception_fp_ieee_inexact 0
		.amdhsa_exception_int_div_zero 0
	.end_amdhsa_kernel
	.section	.text._ZN9rocsparseL20bsrxmvn_17_32_kernelILj19EdiifddEEvT2_20rocsparse_direction_NS_24const_host_device_scalarIT0_EES1_PKS1_PKT1_SA_S7_PKT3_PKT4_S5_PT5_21rocsparse_index_base_b,"axG",@progbits,_ZN9rocsparseL20bsrxmvn_17_32_kernelILj19EdiifddEEvT2_20rocsparse_direction_NS_24const_host_device_scalarIT0_EES1_PKS1_PKT1_SA_S7_PKT3_PKT4_S5_PT5_21rocsparse_index_base_b,comdat
.Lfunc_end482:
	.size	_ZN9rocsparseL20bsrxmvn_17_32_kernelILj19EdiifddEEvT2_20rocsparse_direction_NS_24const_host_device_scalarIT0_EES1_PKS1_PKT1_SA_S7_PKT3_PKT4_S5_PT5_21rocsparse_index_base_b, .Lfunc_end482-_ZN9rocsparseL20bsrxmvn_17_32_kernelILj19EdiifddEEvT2_20rocsparse_direction_NS_24const_host_device_scalarIT0_EES1_PKS1_PKT1_SA_S7_PKT3_PKT4_S5_PT5_21rocsparse_index_base_b
                                        ; -- End function
	.set _ZN9rocsparseL20bsrxmvn_17_32_kernelILj19EdiifddEEvT2_20rocsparse_direction_NS_24const_host_device_scalarIT0_EES1_PKS1_PKT1_SA_S7_PKT3_PKT4_S5_PT5_21rocsparse_index_base_b.num_vgpr, 17
	.set _ZN9rocsparseL20bsrxmvn_17_32_kernelILj19EdiifddEEvT2_20rocsparse_direction_NS_24const_host_device_scalarIT0_EES1_PKS1_PKT1_SA_S7_PKT3_PKT4_S5_PT5_21rocsparse_index_base_b.num_agpr, 0
	.set _ZN9rocsparseL20bsrxmvn_17_32_kernelILj19EdiifddEEvT2_20rocsparse_direction_NS_24const_host_device_scalarIT0_EES1_PKS1_PKT1_SA_S7_PKT3_PKT4_S5_PT5_21rocsparse_index_base_b.numbered_sgpr, 18
	.set _ZN9rocsparseL20bsrxmvn_17_32_kernelILj19EdiifddEEvT2_20rocsparse_direction_NS_24const_host_device_scalarIT0_EES1_PKS1_PKT1_SA_S7_PKT3_PKT4_S5_PT5_21rocsparse_index_base_b.num_named_barrier, 0
	.set _ZN9rocsparseL20bsrxmvn_17_32_kernelILj19EdiifddEEvT2_20rocsparse_direction_NS_24const_host_device_scalarIT0_EES1_PKS1_PKT1_SA_S7_PKT3_PKT4_S5_PT5_21rocsparse_index_base_b.private_seg_size, 0
	.set _ZN9rocsparseL20bsrxmvn_17_32_kernelILj19EdiifddEEvT2_20rocsparse_direction_NS_24const_host_device_scalarIT0_EES1_PKS1_PKT1_SA_S7_PKT3_PKT4_S5_PT5_21rocsparse_index_base_b.uses_vcc, 1
	.set _ZN9rocsparseL20bsrxmvn_17_32_kernelILj19EdiifddEEvT2_20rocsparse_direction_NS_24const_host_device_scalarIT0_EES1_PKS1_PKT1_SA_S7_PKT3_PKT4_S5_PT5_21rocsparse_index_base_b.uses_flat_scratch, 0
	.set _ZN9rocsparseL20bsrxmvn_17_32_kernelILj19EdiifddEEvT2_20rocsparse_direction_NS_24const_host_device_scalarIT0_EES1_PKS1_PKT1_SA_S7_PKT3_PKT4_S5_PT5_21rocsparse_index_base_b.has_dyn_sized_stack, 0
	.set _ZN9rocsparseL20bsrxmvn_17_32_kernelILj19EdiifddEEvT2_20rocsparse_direction_NS_24const_host_device_scalarIT0_EES1_PKS1_PKT1_SA_S7_PKT3_PKT4_S5_PT5_21rocsparse_index_base_b.has_recursion, 0
	.set _ZN9rocsparseL20bsrxmvn_17_32_kernelILj19EdiifddEEvT2_20rocsparse_direction_NS_24const_host_device_scalarIT0_EES1_PKS1_PKT1_SA_S7_PKT3_PKT4_S5_PT5_21rocsparse_index_base_b.has_indirect_call, 0
	.section	.AMDGPU.csdata,"",@progbits
; Kernel info:
; codeLenInByte = 1336
; TotalNumSgprs: 22
; NumVgprs: 17
; ScratchSize: 0
; MemoryBound: 0
; FloatMode: 240
; IeeeMode: 1
; LDSByteSize: 2888 bytes/workgroup (compile time only)
; SGPRBlocks: 8
; VGPRBlocks: 6
; NumSGPRsForWavesPerEU: 65
; NumVGPRsForWavesPerEU: 25
; Occupancy: 9
; WaveLimiterHint : 1
; COMPUTE_PGM_RSRC2:SCRATCH_EN: 0
; COMPUTE_PGM_RSRC2:USER_SGPR: 6
; COMPUTE_PGM_RSRC2:TRAP_HANDLER: 0
; COMPUTE_PGM_RSRC2:TGID_X_EN: 1
; COMPUTE_PGM_RSRC2:TGID_Y_EN: 0
; COMPUTE_PGM_RSRC2:TGID_Z_EN: 0
; COMPUTE_PGM_RSRC2:TIDIG_COMP_CNT: 0
	.section	.text._ZN9rocsparseL20bsrxmvn_17_32_kernelILj20EdiifddEEvT2_20rocsparse_direction_NS_24const_host_device_scalarIT0_EES1_PKS1_PKT1_SA_S7_PKT3_PKT4_S5_PT5_21rocsparse_index_base_b,"axG",@progbits,_ZN9rocsparseL20bsrxmvn_17_32_kernelILj20EdiifddEEvT2_20rocsparse_direction_NS_24const_host_device_scalarIT0_EES1_PKS1_PKT1_SA_S7_PKT3_PKT4_S5_PT5_21rocsparse_index_base_b,comdat
	.globl	_ZN9rocsparseL20bsrxmvn_17_32_kernelILj20EdiifddEEvT2_20rocsparse_direction_NS_24const_host_device_scalarIT0_EES1_PKS1_PKT1_SA_S7_PKT3_PKT4_S5_PT5_21rocsparse_index_base_b ; -- Begin function _ZN9rocsparseL20bsrxmvn_17_32_kernelILj20EdiifddEEvT2_20rocsparse_direction_NS_24const_host_device_scalarIT0_EES1_PKS1_PKT1_SA_S7_PKT3_PKT4_S5_PT5_21rocsparse_index_base_b
	.p2align	8
	.type	_ZN9rocsparseL20bsrxmvn_17_32_kernelILj20EdiifddEEvT2_20rocsparse_direction_NS_24const_host_device_scalarIT0_EES1_PKS1_PKT1_SA_S7_PKT3_PKT4_S5_PT5_21rocsparse_index_base_b,@function
_ZN9rocsparseL20bsrxmvn_17_32_kernelILj20EdiifddEEvT2_20rocsparse_direction_NS_24const_host_device_scalarIT0_EES1_PKS1_PKT1_SA_S7_PKT3_PKT4_S5_PT5_21rocsparse_index_base_b: ; @_ZN9rocsparseL20bsrxmvn_17_32_kernelILj20EdiifddEEvT2_20rocsparse_direction_NS_24const_host_device_scalarIT0_EES1_PKS1_PKT1_SA_S7_PKT3_PKT4_S5_PT5_21rocsparse_index_base_b
; %bb.0:
	s_load_dwordx2 s[10:11], s[4:5], 0x58
	s_load_dwordx2 s[8:9], s[4:5], 0x8
	;; [unrolled: 1-line block ×3, first 2 shown]
	s_waitcnt lgkmcnt(0)
	s_bitcmp1_b32 s11, 0
	s_cselect_b64 s[12:13], -1, 0
	v_mov_b32_e32 v3, s8
	s_xor_b64 s[2:3], s[12:13], -1
	s_and_b64 vcc, exec, s[12:13]
	v_mov_b32_e32 v4, s9
	s_cbranch_vccnz .LBB483_2
; %bb.1:
	v_mov_b32_e32 v1, s8
	v_mov_b32_e32 v2, s9
	flat_load_dwordx2 v[3:4], v[1:2]
.LBB483_2:
	v_mov_b32_e32 v2, s1
	s_andn2_b64 vcc, exec, s[2:3]
	v_mov_b32_e32 v1, s0
	s_cbranch_vccnz .LBB483_4
; %bb.3:
	v_mov_b32_e32 v2, s1
	v_mov_b32_e32 v1, s0
	flat_load_dwordx2 v[1:2], v[1:2]
.LBB483_4:
	s_waitcnt vmcnt(0) lgkmcnt(0)
	v_cmp_neq_f64_e32 vcc, 0, v[3:4]
	v_cmp_neq_f64_e64 s[0:1], 1.0, v[1:2]
	s_or_b64 s[0:1], vcc, s[0:1]
	s_and_saveexec_b64 s[2:3], s[0:1]
	s_cbranch_execz .LBB483_41
; %bb.5:
	s_load_dwordx4 s[0:3], s[4:5], 0x18
	s_load_dwordx2 s[14:15], s[4:5], 0x28
	s_waitcnt lgkmcnt(0)
	s_cmp_eq_u64 s[0:1], 0
	s_cbranch_scc1 .LBB483_7
; %bb.6:
	s_ashr_i32 s7, s6, 31
	s_lshl_b64 s[6:7], s[6:7], 2
	s_add_u32 s0, s0, s6
	s_addc_u32 s1, s1, s7
	s_load_dword s0, s[0:1], 0x0
	s_waitcnt lgkmcnt(0)
	s_sub_i32 s6, s0, s10
.LBB483_7:
	s_load_dword s0, s[4:5], 0x4
	s_load_dwordx2 s[8:9], s[4:5], 0x50
	v_mul_u32_u24_e32 v7, 0xccd, v0
	v_mov_b32_e32 v8, 20
	v_mul_lo_u16_sdwa v9, v7, v8 dst_sel:DWORD dst_unused:UNUSED_PAD src0_sel:WORD_1 src1_sel:DWORD
	s_waitcnt lgkmcnt(0)
	s_cmp_eq_u32 s0, 1
	s_cselect_b64 vcc, -1, 0
	s_cmp_lg_u32 s0, 1
	s_cselect_b64 s[12:13], -1, 0
	s_ashr_i32 s7, s6, 31
	s_lshl_b64 s[0:1], s[6:7], 2
	s_add_u32 s2, s2, s0
	s_addc_u32 s3, s3, s1
	s_load_dword s7, s[2:3], 0x0
	s_add_u32 s2, s2, 4
	s_addc_u32 s3, s3, 0
	s_add_u32 s0, s14, s0
	s_addc_u32 s1, s15, s1
	s_cmp_eq_u64 s[14:15], 0
	s_cselect_b32 s1, s3, s1
	s_cselect_b32 s0, s2, s0
	s_load_dword s11, s[0:1], 0x0
	v_mov_b32_e32 v5, 0
	v_mov_b32_e32 v6, 0
	v_sub_u16_e32 v12, v0, v9
	s_waitcnt lgkmcnt(0)
	s_cmp_ge_i32 s7, s11
	s_cbranch_scc1 .LBB483_12
; %bb.8:
	s_load_dwordx4 s[0:3], s[4:5], 0x30
	s_load_dwordx2 s[14:15], s[4:5], 0x40
	v_mov_b32_e32 v5, 13
	v_mul_lo_u16_sdwa v5, v7, v5 dst_sel:DWORD dst_unused:UNUSED_PAD src0_sel:WORD_1 src1_sel:DWORD
	v_mul_lo_u16_sdwa v5, v5, v8 dst_sel:DWORD dst_unused:UNUSED_PAD src0_sel:BYTE_1 src1_sel:DWORD
	s_sub_i32 s5, s7, s10
	s_sub_i32 s4, s11, s10
	v_sub_u16_sdwa v5, v7, v5 dst_sel:DWORD dst_unused:UNUSED_PAD src0_sel:WORD_1 src1_sel:DWORD
	s_mul_i32 s11, s5, 0x640
	v_and_b32_e32 v5, 0xff, v5
	s_mul_hi_i32 s7, s5, 0x640
	s_waitcnt lgkmcnt(0)
	s_add_u32 s2, s2, s11
	v_cndmask_b32_e32 v7, v12, v5, vcc
	s_addc_u32 s3, s3, s7
	v_lshlrev_b32_e32 v5, 2, v0
	v_mov_b32_e32 v6, s3
	v_add_co_u32_e32 v8, vcc, s2, v5
	v_addc_co_u32_e32 v9, vcc, 0, v6, vcc
	s_movk_i32 s2, 0xa4
	v_mov_b32_e32 v5, 0
	v_mov_b32_e32 v6, 0
	v_mul_u32_u24_sdwa v13, v0, s2 dst_sel:DWORD dst_unused:UNUSED_PAD src0_sel:WORD_0 src1_sel:DWORD
	s_branch .LBB483_10
.LBB483_9:                              ;   in Loop: Header=BB483_10 Depth=1
	s_or_b64 exec, exec, s[2:3]
	s_add_i32 s5, s5, 1
	s_cmp_lt_i32 s5, s4
	s_cbranch_scc0 .LBB483_12
.LBB483_10:                             ; =>This Inner Loop Header: Depth=1
	v_add_u32_sdwa v10, v13, s5 dst_sel:DWORD dst_unused:UNUSED_PAD src0_sel:WORD_1 src1_sel:DWORD
	v_cmp_gt_i32_e32 vcc, s4, v10
	s_and_saveexec_b64 s[2:3], vcc
	s_cbranch_execz .LBB483_9
; %bb.11:                               ;   in Loop: Header=BB483_10 Depth=1
	v_ashrrev_i32_e32 v11, 31, v10
	v_lshlrev_b64 v[10:11], 2, v[10:11]
	v_mov_b32_e32 v14, s1
	v_add_co_u32_e32 v10, vcc, s0, v10
	v_addc_co_u32_e32 v11, vcc, v14, v11, vcc
	global_load_dword v10, v[10:11], off
	v_mov_b32_e32 v15, s15
	global_load_dword v14, v[8:9], off
	s_waitcnt vmcnt(1)
	v_subrev_u32_e32 v10, s10, v10
	v_mad_u64_u32 v[10:11], s[16:17], v10, 20, v[7:8]
	v_ashrrev_i32_e32 v11, 31, v10
	v_lshlrev_b64 v[10:11], 3, v[10:11]
	v_add_co_u32_e32 v10, vcc, s14, v10
	v_addc_co_u32_e32 v11, vcc, v15, v11, vcc
	global_load_dwordx2 v[10:11], v[10:11], off
	s_waitcnt vmcnt(1)
	v_cvt_f64_f32_e32 v[14:15], v14
	v_add_co_u32_e32 v8, vcc, 0x640, v8
	v_addc_co_u32_e32 v9, vcc, 0, v9, vcc
	s_waitcnt vmcnt(0)
	v_fma_f64 v[5:6], v[14:15], v[10:11], v[5:6]
	s_branch .LBB483_9
.LBB483_12:
	v_lshlrev_b32_e32 v9, 3, v0
	s_and_b64 vcc, exec, s[12:13]
	ds_write_b64 v9, v[5:6]
	s_waitcnt lgkmcnt(0)
	s_barrier
	s_cbranch_vccz .LBB483_24
; %bb.13:
	v_cmp_gt_u16_e32 vcc, 4, v12
	s_and_saveexec_b64 s[0:1], vcc
	s_cbranch_execz .LBB483_15
; %bb.14:
	ds_read2_b64 v[13:16], v9 offset1:16
	s_waitcnt lgkmcnt(0)
	v_add_f64 v[7:8], v[15:16], v[13:14]
	ds_write_b64 v9, v[7:8]
.LBB483_15:
	s_or_b64 exec, exec, s[0:1]
	v_cmp_gt_u16_e64 s[0:1], 8, v12
	s_waitcnt lgkmcnt(0)
	s_barrier
	s_and_saveexec_b64 s[2:3], s[0:1]
	s_cbranch_execz .LBB483_17
; %bb.16:
	ds_read2_b64 v[13:16], v9 offset1:8
	s_waitcnt lgkmcnt(0)
	v_add_f64 v[7:8], v[15:16], v[13:14]
	ds_write_b64 v9, v[7:8]
.LBB483_17:
	s_or_b64 exec, exec, s[2:3]
	s_waitcnt lgkmcnt(0)
	s_barrier
	s_and_saveexec_b64 s[0:1], vcc
	s_cbranch_execz .LBB483_19
; %bb.18:
	ds_read2_b64 v[13:16], v9 offset1:4
	s_waitcnt lgkmcnt(0)
	v_add_f64 v[7:8], v[15:16], v[13:14]
	ds_write_b64 v9, v[7:8]
.LBB483_19:
	s_or_b64 exec, exec, s[0:1]
	v_cmp_gt_u16_e32 vcc, 2, v12
	s_waitcnt lgkmcnt(0)
	s_barrier
	s_and_saveexec_b64 s[0:1], vcc
	s_cbranch_execz .LBB483_21
; %bb.20:
	ds_read2_b64 v[10:13], v9 offset1:2
	s_waitcnt lgkmcnt(0)
	v_add_f64 v[7:8], v[12:13], v[10:11]
	ds_write_b64 v9, v[7:8]
.LBB483_21:
	s_or_b64 exec, exec, s[0:1]
	v_mov_b32_e32 v8, v6
	v_cmp_gt_u32_e32 vcc, 20, v0
	v_mov_b32_e32 v7, v5
	s_waitcnt lgkmcnt(0)
	s_barrier
	s_and_saveexec_b64 s[0:1], vcc
	s_cbranch_execz .LBB483_23
; %bb.22:
	s_movk_i32 s2, 0x98
	v_mad_u32_u24 v7, v0, s2, v9
	ds_read_b128 v[10:13], v7
	s_waitcnt lgkmcnt(0)
	v_add_f64 v[7:8], v[10:11], v[12:13]
.LBB483_23:
	s_or_b64 exec, exec, s[0:1]
	s_branch .LBB483_36
.LBB483_24:
                                        ; implicit-def: $vgpr7_vgpr8
	s_cbranch_execz .LBB483_36
; %bb.25:
	s_movk_i32 s0, 0x50
	v_cmp_gt_u32_e32 vcc, s0, v0
	s_and_saveexec_b64 s[0:1], vcc
	s_cbranch_execz .LBB483_27
; %bb.26:
	ds_read2st64_b64 v[10:13], v9 offset1:5
	s_waitcnt lgkmcnt(0)
	v_add_f64 v[7:8], v[12:13], v[10:11]
	ds_write_b64 v9, v[7:8]
.LBB483_27:
	s_or_b64 exec, exec, s[0:1]
	s_movk_i32 s0, 0xa0
	v_cmp_gt_u32_e64 s[0:1], s0, v0
	s_waitcnt lgkmcnt(0)
	s_barrier
	s_and_saveexec_b64 s[2:3], s[0:1]
	s_cbranch_execz .LBB483_29
; %bb.28:
	ds_read2_b64 v[10:13], v9 offset1:160
	s_waitcnt lgkmcnt(0)
	v_add_f64 v[7:8], v[12:13], v[10:11]
	ds_write_b64 v9, v[7:8]
.LBB483_29:
	s_or_b64 exec, exec, s[2:3]
	s_waitcnt lgkmcnt(0)
	s_barrier
	s_and_saveexec_b64 s[0:1], vcc
	s_cbranch_execz .LBB483_31
; %bb.30:
	ds_read2_b64 v[10:13], v9 offset1:80
	s_waitcnt lgkmcnt(0)
	v_add_f64 v[7:8], v[12:13], v[10:11]
	ds_write_b64 v9, v[7:8]
.LBB483_31:
	s_or_b64 exec, exec, s[0:1]
	v_cmp_gt_u32_e32 vcc, 40, v0
	s_waitcnt lgkmcnt(0)
	s_barrier
	s_and_saveexec_b64 s[0:1], vcc
	s_cbranch_execz .LBB483_33
; %bb.32:
	ds_read2_b64 v[10:13], v9 offset1:40
	s_waitcnt lgkmcnt(0)
	v_add_f64 v[7:8], v[12:13], v[10:11]
	ds_write_b64 v9, v[7:8]
.LBB483_33:
	s_or_b64 exec, exec, s[0:1]
	v_cmp_gt_u32_e32 vcc, 20, v0
	s_waitcnt lgkmcnt(0)
	s_and_saveexec_b64 s[0:1], vcc
	s_cbranch_execz .LBB483_35
; %bb.34:
	ds_read2_b64 v[5:8], v9 offset1:20
	s_waitcnt lgkmcnt(0)
	v_add_f64 v[5:6], v[5:6], v[7:8]
.LBB483_35:
	s_or_b64 exec, exec, s[0:1]
	v_mov_b32_e32 v8, v6
	v_mov_b32_e32 v7, v5
.LBB483_36:
	v_cmp_gt_u32_e32 vcc, 20, v0
	s_and_b64 exec, exec, vcc
	s_cbranch_execz .LBB483_41
; %bb.37:
	v_cmp_eq_f64_e32 vcc, 0, v[1:2]
	v_mul_f64 v[3:4], v[3:4], v[7:8]
	s_and_saveexec_b64 s[0:1], vcc
	s_xor_b64 s[0:1], exec, s[0:1]
	s_cbranch_execz .LBB483_39
; %bb.38:
	v_mad_u64_u32 v[0:1], s[2:3], s6, 20, v[0:1]
	v_mov_b32_e32 v1, 0
	v_mov_b32_e32 v2, s9
	v_lshlrev_b64 v[0:1], 3, v[0:1]
	v_add_co_u32_e32 v0, vcc, s8, v0
	v_addc_co_u32_e32 v1, vcc, v2, v1, vcc
	global_store_dwordx2 v[0:1], v[3:4], off
                                        ; implicit-def: $vgpr0
                                        ; implicit-def: $vgpr1_vgpr2
                                        ; implicit-def: $vgpr3_vgpr4
.LBB483_39:
	s_andn2_saveexec_b64 s[0:1], s[0:1]
	s_cbranch_execz .LBB483_41
; %bb.40:
	v_mad_u64_u32 v[5:6], s[0:1], s6, 20, v[0:1]
	v_mov_b32_e32 v6, 0
	v_mov_b32_e32 v0, s9
	v_lshlrev_b64 v[5:6], 3, v[5:6]
	v_add_co_u32_e32 v5, vcc, s8, v5
	v_addc_co_u32_e32 v6, vcc, v0, v6, vcc
	global_load_dwordx2 v[7:8], v[5:6], off
	s_waitcnt vmcnt(0)
	v_fma_f64 v[0:1], v[1:2], v[7:8], v[3:4]
	global_store_dwordx2 v[5:6], v[0:1], off
.LBB483_41:
	s_endpgm
	.section	.rodata,"a",@progbits
	.p2align	6, 0x0
	.amdhsa_kernel _ZN9rocsparseL20bsrxmvn_17_32_kernelILj20EdiifddEEvT2_20rocsparse_direction_NS_24const_host_device_scalarIT0_EES1_PKS1_PKT1_SA_S7_PKT3_PKT4_S5_PT5_21rocsparse_index_base_b
		.amdhsa_group_segment_fixed_size 3200
		.amdhsa_private_segment_fixed_size 0
		.amdhsa_kernarg_size 96
		.amdhsa_user_sgpr_count 6
		.amdhsa_user_sgpr_private_segment_buffer 1
		.amdhsa_user_sgpr_dispatch_ptr 0
		.amdhsa_user_sgpr_queue_ptr 0
		.amdhsa_user_sgpr_kernarg_segment_ptr 1
		.amdhsa_user_sgpr_dispatch_id 0
		.amdhsa_user_sgpr_flat_scratch_init 0
		.amdhsa_user_sgpr_private_segment_size 0
		.amdhsa_uses_dynamic_stack 0
		.amdhsa_system_sgpr_private_segment_wavefront_offset 0
		.amdhsa_system_sgpr_workgroup_id_x 1
		.amdhsa_system_sgpr_workgroup_id_y 0
		.amdhsa_system_sgpr_workgroup_id_z 0
		.amdhsa_system_sgpr_workgroup_info 0
		.amdhsa_system_vgpr_workitem_id 0
		.amdhsa_next_free_vgpr 25
		.amdhsa_next_free_sgpr 61
		.amdhsa_reserve_vcc 1
		.amdhsa_reserve_flat_scratch 0
		.amdhsa_float_round_mode_32 0
		.amdhsa_float_round_mode_16_64 0
		.amdhsa_float_denorm_mode_32 3
		.amdhsa_float_denorm_mode_16_64 3
		.amdhsa_dx10_clamp 1
		.amdhsa_ieee_mode 1
		.amdhsa_fp16_overflow 0
		.amdhsa_exception_fp_ieee_invalid_op 0
		.amdhsa_exception_fp_denorm_src 0
		.amdhsa_exception_fp_ieee_div_zero 0
		.amdhsa_exception_fp_ieee_overflow 0
		.amdhsa_exception_fp_ieee_underflow 0
		.amdhsa_exception_fp_ieee_inexact 0
		.amdhsa_exception_int_div_zero 0
	.end_amdhsa_kernel
	.section	.text._ZN9rocsparseL20bsrxmvn_17_32_kernelILj20EdiifddEEvT2_20rocsparse_direction_NS_24const_host_device_scalarIT0_EES1_PKS1_PKT1_SA_S7_PKT3_PKT4_S5_PT5_21rocsparse_index_base_b,"axG",@progbits,_ZN9rocsparseL20bsrxmvn_17_32_kernelILj20EdiifddEEvT2_20rocsparse_direction_NS_24const_host_device_scalarIT0_EES1_PKS1_PKT1_SA_S7_PKT3_PKT4_S5_PT5_21rocsparse_index_base_b,comdat
.Lfunc_end483:
	.size	_ZN9rocsparseL20bsrxmvn_17_32_kernelILj20EdiifddEEvT2_20rocsparse_direction_NS_24const_host_device_scalarIT0_EES1_PKS1_PKT1_SA_S7_PKT3_PKT4_S5_PT5_21rocsparse_index_base_b, .Lfunc_end483-_ZN9rocsparseL20bsrxmvn_17_32_kernelILj20EdiifddEEvT2_20rocsparse_direction_NS_24const_host_device_scalarIT0_EES1_PKS1_PKT1_SA_S7_PKT3_PKT4_S5_PT5_21rocsparse_index_base_b
                                        ; -- End function
	.set _ZN9rocsparseL20bsrxmvn_17_32_kernelILj20EdiifddEEvT2_20rocsparse_direction_NS_24const_host_device_scalarIT0_EES1_PKS1_PKT1_SA_S7_PKT3_PKT4_S5_PT5_21rocsparse_index_base_b.num_vgpr, 17
	.set _ZN9rocsparseL20bsrxmvn_17_32_kernelILj20EdiifddEEvT2_20rocsparse_direction_NS_24const_host_device_scalarIT0_EES1_PKS1_PKT1_SA_S7_PKT3_PKT4_S5_PT5_21rocsparse_index_base_b.num_agpr, 0
	.set _ZN9rocsparseL20bsrxmvn_17_32_kernelILj20EdiifddEEvT2_20rocsparse_direction_NS_24const_host_device_scalarIT0_EES1_PKS1_PKT1_SA_S7_PKT3_PKT4_S5_PT5_21rocsparse_index_base_b.numbered_sgpr, 18
	.set _ZN9rocsparseL20bsrxmvn_17_32_kernelILj20EdiifddEEvT2_20rocsparse_direction_NS_24const_host_device_scalarIT0_EES1_PKS1_PKT1_SA_S7_PKT3_PKT4_S5_PT5_21rocsparse_index_base_b.num_named_barrier, 0
	.set _ZN9rocsparseL20bsrxmvn_17_32_kernelILj20EdiifddEEvT2_20rocsparse_direction_NS_24const_host_device_scalarIT0_EES1_PKS1_PKT1_SA_S7_PKT3_PKT4_S5_PT5_21rocsparse_index_base_b.private_seg_size, 0
	.set _ZN9rocsparseL20bsrxmvn_17_32_kernelILj20EdiifddEEvT2_20rocsparse_direction_NS_24const_host_device_scalarIT0_EES1_PKS1_PKT1_SA_S7_PKT3_PKT4_S5_PT5_21rocsparse_index_base_b.uses_vcc, 1
	.set _ZN9rocsparseL20bsrxmvn_17_32_kernelILj20EdiifddEEvT2_20rocsparse_direction_NS_24const_host_device_scalarIT0_EES1_PKS1_PKT1_SA_S7_PKT3_PKT4_S5_PT5_21rocsparse_index_base_b.uses_flat_scratch, 0
	.set _ZN9rocsparseL20bsrxmvn_17_32_kernelILj20EdiifddEEvT2_20rocsparse_direction_NS_24const_host_device_scalarIT0_EES1_PKS1_PKT1_SA_S7_PKT3_PKT4_S5_PT5_21rocsparse_index_base_b.has_dyn_sized_stack, 0
	.set _ZN9rocsparseL20bsrxmvn_17_32_kernelILj20EdiifddEEvT2_20rocsparse_direction_NS_24const_host_device_scalarIT0_EES1_PKS1_PKT1_SA_S7_PKT3_PKT4_S5_PT5_21rocsparse_index_base_b.has_recursion, 0
	.set _ZN9rocsparseL20bsrxmvn_17_32_kernelILj20EdiifddEEvT2_20rocsparse_direction_NS_24const_host_device_scalarIT0_EES1_PKS1_PKT1_SA_S7_PKT3_PKT4_S5_PT5_21rocsparse_index_base_b.has_indirect_call, 0
	.section	.AMDGPU.csdata,"",@progbits
; Kernel info:
; codeLenInByte = 1328
; TotalNumSgprs: 22
; NumVgprs: 17
; ScratchSize: 0
; MemoryBound: 0
; FloatMode: 240
; IeeeMode: 1
; LDSByteSize: 3200 bytes/workgroup (compile time only)
; SGPRBlocks: 8
; VGPRBlocks: 6
; NumSGPRsForWavesPerEU: 65
; NumVGPRsForWavesPerEU: 25
; Occupancy: 9
; WaveLimiterHint : 1
; COMPUTE_PGM_RSRC2:SCRATCH_EN: 0
; COMPUTE_PGM_RSRC2:USER_SGPR: 6
; COMPUTE_PGM_RSRC2:TRAP_HANDLER: 0
; COMPUTE_PGM_RSRC2:TGID_X_EN: 1
; COMPUTE_PGM_RSRC2:TGID_Y_EN: 0
; COMPUTE_PGM_RSRC2:TGID_Z_EN: 0
; COMPUTE_PGM_RSRC2:TIDIG_COMP_CNT: 0
	.section	.text._ZN9rocsparseL20bsrxmvn_17_32_kernelILj21EdiifddEEvT2_20rocsparse_direction_NS_24const_host_device_scalarIT0_EES1_PKS1_PKT1_SA_S7_PKT3_PKT4_S5_PT5_21rocsparse_index_base_b,"axG",@progbits,_ZN9rocsparseL20bsrxmvn_17_32_kernelILj21EdiifddEEvT2_20rocsparse_direction_NS_24const_host_device_scalarIT0_EES1_PKS1_PKT1_SA_S7_PKT3_PKT4_S5_PT5_21rocsparse_index_base_b,comdat
	.globl	_ZN9rocsparseL20bsrxmvn_17_32_kernelILj21EdiifddEEvT2_20rocsparse_direction_NS_24const_host_device_scalarIT0_EES1_PKS1_PKT1_SA_S7_PKT3_PKT4_S5_PT5_21rocsparse_index_base_b ; -- Begin function _ZN9rocsparseL20bsrxmvn_17_32_kernelILj21EdiifddEEvT2_20rocsparse_direction_NS_24const_host_device_scalarIT0_EES1_PKS1_PKT1_SA_S7_PKT3_PKT4_S5_PT5_21rocsparse_index_base_b
	.p2align	8
	.type	_ZN9rocsparseL20bsrxmvn_17_32_kernelILj21EdiifddEEvT2_20rocsparse_direction_NS_24const_host_device_scalarIT0_EES1_PKS1_PKT1_SA_S7_PKT3_PKT4_S5_PT5_21rocsparse_index_base_b,@function
_ZN9rocsparseL20bsrxmvn_17_32_kernelILj21EdiifddEEvT2_20rocsparse_direction_NS_24const_host_device_scalarIT0_EES1_PKS1_PKT1_SA_S7_PKT3_PKT4_S5_PT5_21rocsparse_index_base_b: ; @_ZN9rocsparseL20bsrxmvn_17_32_kernelILj21EdiifddEEvT2_20rocsparse_direction_NS_24const_host_device_scalarIT0_EES1_PKS1_PKT1_SA_S7_PKT3_PKT4_S5_PT5_21rocsparse_index_base_b
; %bb.0:
	s_load_dwordx2 s[10:11], s[4:5], 0x58
	s_load_dwordx2 s[8:9], s[4:5], 0x8
	;; [unrolled: 1-line block ×3, first 2 shown]
	s_waitcnt lgkmcnt(0)
	s_bitcmp1_b32 s11, 0
	s_cselect_b64 s[12:13], -1, 0
	v_mov_b32_e32 v3, s8
	s_xor_b64 s[2:3], s[12:13], -1
	s_and_b64 vcc, exec, s[12:13]
	v_mov_b32_e32 v4, s9
	s_cbranch_vccnz .LBB484_2
; %bb.1:
	v_mov_b32_e32 v1, s8
	v_mov_b32_e32 v2, s9
	flat_load_dwordx2 v[3:4], v[1:2]
.LBB484_2:
	v_mov_b32_e32 v2, s1
	s_andn2_b64 vcc, exec, s[2:3]
	v_mov_b32_e32 v1, s0
	s_cbranch_vccnz .LBB484_4
; %bb.3:
	v_mov_b32_e32 v2, s1
	v_mov_b32_e32 v1, s0
	flat_load_dwordx2 v[1:2], v[1:2]
.LBB484_4:
	s_waitcnt vmcnt(0) lgkmcnt(0)
	v_cmp_neq_f64_e32 vcc, 0, v[3:4]
	v_cmp_neq_f64_e64 s[0:1], 1.0, v[1:2]
	s_or_b64 s[0:1], vcc, s[0:1]
	s_and_saveexec_b64 s[2:3], s[0:1]
	s_cbranch_execz .LBB484_41
; %bb.5:
	s_load_dwordx4 s[0:3], s[4:5], 0x18
	s_load_dwordx2 s[14:15], s[4:5], 0x28
	s_waitcnt lgkmcnt(0)
	s_cmp_eq_u64 s[0:1], 0
	s_cbranch_scc1 .LBB484_7
; %bb.6:
	s_ashr_i32 s7, s6, 31
	s_lshl_b64 s[6:7], s[6:7], 2
	s_add_u32 s0, s0, s6
	s_addc_u32 s1, s1, s7
	s_load_dword s0, s[0:1], 0x0
	s_waitcnt lgkmcnt(0)
	s_sub_i32 s6, s0, s10
.LBB484_7:
	s_load_dword s0, s[4:5], 0x4
	s_load_dwordx2 s[8:9], s[4:5], 0x50
	v_mul_u32_u24_e32 v7, 0xc31, v0
	v_mov_b32_e32 v5, 21
	v_mul_lo_u16_sdwa v8, v7, v5 dst_sel:DWORD dst_unused:UNUSED_PAD src0_sel:WORD_1 src1_sel:DWORD
	s_waitcnt lgkmcnt(0)
	s_cmp_eq_u32 s0, 1
	s_cselect_b64 vcc, -1, 0
	s_cmp_lg_u32 s0, 1
	s_cselect_b64 s[12:13], -1, 0
	s_ashr_i32 s7, s6, 31
	s_lshl_b64 s[0:1], s[6:7], 2
	s_add_u32 s2, s2, s0
	s_addc_u32 s3, s3, s1
	s_load_dword s7, s[2:3], 0x0
	s_add_u32 s2, s2, 4
	s_addc_u32 s3, s3, 0
	s_add_u32 s0, s14, s0
	s_addc_u32 s1, s15, s1
	s_cmp_eq_u64 s[14:15], 0
	s_cselect_b32 s1, s3, s1
	s_cselect_b32 s0, s2, s0
	s_load_dword s11, s[0:1], 0x0
	v_mov_b32_e32 v5, 0
	v_mov_b32_e32 v6, 0
	v_sub_u16_e32 v12, v0, v8
	s_waitcnt lgkmcnt(0)
	s_cmp_ge_i32 s7, s11
	s_cbranch_scc1 .LBB484_12
; %bb.8:
	v_mov_b32_e32 v5, 25
	s_load_dwordx4 s[0:3], s[4:5], 0x30
	s_load_dwordx2 s[14:15], s[4:5], 0x40
	v_mul_lo_u16_sdwa v5, v7, v5 dst_sel:DWORD dst_unused:UNUSED_PAD src0_sel:WORD_1 src1_sel:DWORD
	v_lshrrev_b16_e32 v5, 9, v5
	v_mul_lo_u16_e32 v5, 21, v5
	s_sub_i32 s5, s7, s10
	s_sub_i32 s4, s11, s10
	v_sub_u16_sdwa v5, v7, v5 dst_sel:DWORD dst_unused:UNUSED_PAD src0_sel:WORD_1 src1_sel:DWORD
	s_mul_i32 s11, s5, 0x6e4
	v_and_b32_e32 v5, 0xff, v5
	s_mul_hi_i32 s7, s5, 0x6e4
	s_waitcnt lgkmcnt(0)
	s_add_u32 s2, s2, s11
	v_cndmask_b32_e32 v7, v12, v5, vcc
	s_addc_u32 s3, s3, s7
	v_lshlrev_b32_e32 v5, 2, v0
	v_mov_b32_e32 v6, s3
	v_add_co_u32_e32 v8, vcc, s2, v5
	s_movk_i32 s2, 0x253
	v_addc_co_u32_e32 v9, vcc, 0, v6, vcc
	v_mul_u32_u24_sdwa v10, v0, s2 dst_sel:DWORD dst_unused:UNUSED_PAD src0_sel:WORD_0 src1_sel:DWORD
	v_mov_b32_e32 v5, 0
	v_mov_b32_e32 v6, 0
	v_lshrrev_b32_e32 v13, 18, v10
	s_branch .LBB484_10
.LBB484_9:                              ;   in Loop: Header=BB484_10 Depth=1
	s_or_b64 exec, exec, s[2:3]
	s_add_i32 s5, s5, 1
	s_cmp_lt_i32 s5, s4
	s_cbranch_scc0 .LBB484_12
.LBB484_10:                             ; =>This Inner Loop Header: Depth=1
	v_add_u32_e32 v10, s5, v13
	v_cmp_gt_i32_e32 vcc, s4, v10
	s_and_saveexec_b64 s[2:3], vcc
	s_cbranch_execz .LBB484_9
; %bb.11:                               ;   in Loop: Header=BB484_10 Depth=1
	v_ashrrev_i32_e32 v11, 31, v10
	v_lshlrev_b64 v[10:11], 2, v[10:11]
	v_mov_b32_e32 v14, s1
	v_add_co_u32_e32 v10, vcc, s0, v10
	v_addc_co_u32_e32 v11, vcc, v14, v11, vcc
	global_load_dword v10, v[10:11], off
	v_mov_b32_e32 v15, s15
	global_load_dword v14, v[8:9], off
	s_waitcnt vmcnt(1)
	v_subrev_u32_e32 v10, s10, v10
	v_mad_u64_u32 v[10:11], s[16:17], v10, 21, v[7:8]
	v_ashrrev_i32_e32 v11, 31, v10
	v_lshlrev_b64 v[10:11], 3, v[10:11]
	v_add_co_u32_e32 v10, vcc, s14, v10
	v_addc_co_u32_e32 v11, vcc, v15, v11, vcc
	global_load_dwordx2 v[10:11], v[10:11], off
	s_waitcnt vmcnt(1)
	v_cvt_f64_f32_e32 v[14:15], v14
	v_add_co_u32_e32 v8, vcc, 0x6e4, v8
	v_addc_co_u32_e32 v9, vcc, 0, v9, vcc
	s_waitcnt vmcnt(0)
	v_fma_f64 v[5:6], v[14:15], v[10:11], v[5:6]
	s_branch .LBB484_9
.LBB484_12:
	v_lshlrev_b32_e32 v9, 3, v0
	s_and_b64 vcc, exec, s[12:13]
	ds_write_b64 v9, v[5:6]
	s_waitcnt lgkmcnt(0)
	s_barrier
	s_cbranch_vccz .LBB484_24
; %bb.13:
	v_cmp_gt_u16_e32 vcc, 5, v12
	s_and_saveexec_b64 s[0:1], vcc
	s_cbranch_execz .LBB484_15
; %bb.14:
	ds_read2_b64 v[13:16], v9 offset1:16
	s_waitcnt lgkmcnt(0)
	v_add_f64 v[7:8], v[15:16], v[13:14]
	ds_write_b64 v9, v[7:8]
.LBB484_15:
	s_or_b64 exec, exec, s[0:1]
	v_cmp_gt_u16_e32 vcc, 8, v12
	s_waitcnt lgkmcnt(0)
	s_barrier
	s_and_saveexec_b64 s[0:1], vcc
	s_cbranch_execz .LBB484_17
; %bb.16:
	ds_read2_b64 v[13:16], v9 offset1:8
	s_waitcnt lgkmcnt(0)
	v_add_f64 v[7:8], v[15:16], v[13:14]
	ds_write_b64 v9, v[7:8]
.LBB484_17:
	s_or_b64 exec, exec, s[0:1]
	v_cmp_gt_u16_e32 vcc, 4, v12
	s_waitcnt lgkmcnt(0)
	s_barrier
	;; [unrolled: 12-line block ×3, first 2 shown]
	s_and_saveexec_b64 s[0:1], vcc
	s_cbranch_execz .LBB484_21
; %bb.20:
	ds_read2_b64 v[10:13], v9 offset1:2
	s_waitcnt lgkmcnt(0)
	v_add_f64 v[7:8], v[12:13], v[10:11]
	ds_write_b64 v9, v[7:8]
.LBB484_21:
	s_or_b64 exec, exec, s[0:1]
	v_mov_b32_e32 v8, v6
	v_cmp_gt_u32_e32 vcc, 21, v0
	v_mov_b32_e32 v7, v5
	s_waitcnt lgkmcnt(0)
	s_barrier
	s_and_saveexec_b64 s[0:1], vcc
	s_cbranch_execz .LBB484_23
; %bb.22:
	s_movk_i32 s2, 0xa0
	v_mad_u32_u24 v7, v0, s2, v9
	ds_read2_b64 v[10:13], v7 offset1:1
	s_waitcnt lgkmcnt(0)
	v_add_f64 v[7:8], v[10:11], v[12:13]
.LBB484_23:
	s_or_b64 exec, exec, s[0:1]
	s_branch .LBB484_36
.LBB484_24:
                                        ; implicit-def: $vgpr7_vgpr8
	s_cbranch_execz .LBB484_36
; %bb.25:
	s_movk_i32 s0, 0x69
	v_cmp_gt_u32_e32 vcc, s0, v0
	s_and_saveexec_b64 s[0:1], vcc
	s_cbranch_execz .LBB484_27
; %bb.26:
	ds_read_b64 v[7:8], v9 offset:2688
	ds_read_b64 v[10:11], v9
	s_waitcnt lgkmcnt(0)
	v_add_f64 v[7:8], v[7:8], v[10:11]
	ds_write_b64 v9, v[7:8]
.LBB484_27:
	s_or_b64 exec, exec, s[0:1]
	s_movk_i32 s0, 0xa8
	v_cmp_gt_u32_e32 vcc, s0, v0
	s_waitcnt lgkmcnt(0)
	s_barrier
	s_and_saveexec_b64 s[0:1], vcc
	s_cbranch_execz .LBB484_29
; %bb.28:
	ds_read2_b64 v[10:13], v9 offset1:168
	s_waitcnt lgkmcnt(0)
	v_add_f64 v[7:8], v[12:13], v[10:11]
	ds_write_b64 v9, v[7:8]
.LBB484_29:
	s_or_b64 exec, exec, s[0:1]
	s_movk_i32 s0, 0x54
	v_cmp_gt_u32_e32 vcc, s0, v0
	s_waitcnt lgkmcnt(0)
	s_barrier
	s_and_saveexec_b64 s[0:1], vcc
	s_cbranch_execz .LBB484_31
; %bb.30:
	ds_read2_b64 v[10:13], v9 offset1:84
	s_waitcnt lgkmcnt(0)
	v_add_f64 v[7:8], v[12:13], v[10:11]
	ds_write_b64 v9, v[7:8]
.LBB484_31:
	s_or_b64 exec, exec, s[0:1]
	v_cmp_gt_u32_e32 vcc, 42, v0
	s_waitcnt lgkmcnt(0)
	s_barrier
	s_and_saveexec_b64 s[0:1], vcc
	s_cbranch_execz .LBB484_33
; %bb.32:
	ds_read2_b64 v[10:13], v9 offset1:42
	s_waitcnt lgkmcnt(0)
	v_add_f64 v[7:8], v[12:13], v[10:11]
	ds_write_b64 v9, v[7:8]
.LBB484_33:
	s_or_b64 exec, exec, s[0:1]
	v_cmp_gt_u32_e32 vcc, 21, v0
	s_waitcnt lgkmcnt(0)
	s_and_saveexec_b64 s[0:1], vcc
	s_cbranch_execz .LBB484_35
; %bb.34:
	ds_read2_b64 v[5:8], v9 offset1:21
	s_waitcnt lgkmcnt(0)
	v_add_f64 v[5:6], v[5:6], v[7:8]
.LBB484_35:
	s_or_b64 exec, exec, s[0:1]
	v_mov_b32_e32 v8, v6
	v_mov_b32_e32 v7, v5
.LBB484_36:
	v_cmp_gt_u32_e32 vcc, 21, v0
	s_and_b64 exec, exec, vcc
	s_cbranch_execz .LBB484_41
; %bb.37:
	v_cmp_eq_f64_e32 vcc, 0, v[1:2]
	v_mul_f64 v[3:4], v[3:4], v[7:8]
	s_and_saveexec_b64 s[0:1], vcc
	s_xor_b64 s[0:1], exec, s[0:1]
	s_cbranch_execz .LBB484_39
; %bb.38:
	v_mad_u64_u32 v[0:1], s[2:3], s6, 21, v[0:1]
	v_mov_b32_e32 v1, 0
	v_mov_b32_e32 v2, s9
	v_lshlrev_b64 v[0:1], 3, v[0:1]
	v_add_co_u32_e32 v0, vcc, s8, v0
	v_addc_co_u32_e32 v1, vcc, v2, v1, vcc
	global_store_dwordx2 v[0:1], v[3:4], off
                                        ; implicit-def: $vgpr0
                                        ; implicit-def: $vgpr1_vgpr2
                                        ; implicit-def: $vgpr3_vgpr4
.LBB484_39:
	s_andn2_saveexec_b64 s[0:1], s[0:1]
	s_cbranch_execz .LBB484_41
; %bb.40:
	v_mad_u64_u32 v[5:6], s[0:1], s6, 21, v[0:1]
	v_mov_b32_e32 v6, 0
	v_mov_b32_e32 v0, s9
	v_lshlrev_b64 v[5:6], 3, v[5:6]
	v_add_co_u32_e32 v5, vcc, s8, v5
	v_addc_co_u32_e32 v6, vcc, v0, v6, vcc
	global_load_dwordx2 v[7:8], v[5:6], off
	s_waitcnt vmcnt(0)
	v_fma_f64 v[0:1], v[1:2], v[7:8], v[3:4]
	global_store_dwordx2 v[5:6], v[0:1], off
.LBB484_41:
	s_endpgm
	.section	.rodata,"a",@progbits
	.p2align	6, 0x0
	.amdhsa_kernel _ZN9rocsparseL20bsrxmvn_17_32_kernelILj21EdiifddEEvT2_20rocsparse_direction_NS_24const_host_device_scalarIT0_EES1_PKS1_PKT1_SA_S7_PKT3_PKT4_S5_PT5_21rocsparse_index_base_b
		.amdhsa_group_segment_fixed_size 3528
		.amdhsa_private_segment_fixed_size 0
		.amdhsa_kernarg_size 96
		.amdhsa_user_sgpr_count 6
		.amdhsa_user_sgpr_private_segment_buffer 1
		.amdhsa_user_sgpr_dispatch_ptr 0
		.amdhsa_user_sgpr_queue_ptr 0
		.amdhsa_user_sgpr_kernarg_segment_ptr 1
		.amdhsa_user_sgpr_dispatch_id 0
		.amdhsa_user_sgpr_flat_scratch_init 0
		.amdhsa_user_sgpr_private_segment_size 0
		.amdhsa_uses_dynamic_stack 0
		.amdhsa_system_sgpr_private_segment_wavefront_offset 0
		.amdhsa_system_sgpr_workgroup_id_x 1
		.amdhsa_system_sgpr_workgroup_id_y 0
		.amdhsa_system_sgpr_workgroup_id_z 0
		.amdhsa_system_sgpr_workgroup_info 0
		.amdhsa_system_vgpr_workitem_id 0
		.amdhsa_next_free_vgpr 25
		.amdhsa_next_free_sgpr 61
		.amdhsa_reserve_vcc 1
		.amdhsa_reserve_flat_scratch 0
		.amdhsa_float_round_mode_32 0
		.amdhsa_float_round_mode_16_64 0
		.amdhsa_float_denorm_mode_32 3
		.amdhsa_float_denorm_mode_16_64 3
		.amdhsa_dx10_clamp 1
		.amdhsa_ieee_mode 1
		.amdhsa_fp16_overflow 0
		.amdhsa_exception_fp_ieee_invalid_op 0
		.amdhsa_exception_fp_denorm_src 0
		.amdhsa_exception_fp_ieee_div_zero 0
		.amdhsa_exception_fp_ieee_overflow 0
		.amdhsa_exception_fp_ieee_underflow 0
		.amdhsa_exception_fp_ieee_inexact 0
		.amdhsa_exception_int_div_zero 0
	.end_amdhsa_kernel
	.section	.text._ZN9rocsparseL20bsrxmvn_17_32_kernelILj21EdiifddEEvT2_20rocsparse_direction_NS_24const_host_device_scalarIT0_EES1_PKS1_PKT1_SA_S7_PKT3_PKT4_S5_PT5_21rocsparse_index_base_b,"axG",@progbits,_ZN9rocsparseL20bsrxmvn_17_32_kernelILj21EdiifddEEvT2_20rocsparse_direction_NS_24const_host_device_scalarIT0_EES1_PKS1_PKT1_SA_S7_PKT3_PKT4_S5_PT5_21rocsparse_index_base_b,comdat
.Lfunc_end484:
	.size	_ZN9rocsparseL20bsrxmvn_17_32_kernelILj21EdiifddEEvT2_20rocsparse_direction_NS_24const_host_device_scalarIT0_EES1_PKS1_PKT1_SA_S7_PKT3_PKT4_S5_PT5_21rocsparse_index_base_b, .Lfunc_end484-_ZN9rocsparseL20bsrxmvn_17_32_kernelILj21EdiifddEEvT2_20rocsparse_direction_NS_24const_host_device_scalarIT0_EES1_PKS1_PKT1_SA_S7_PKT3_PKT4_S5_PT5_21rocsparse_index_base_b
                                        ; -- End function
	.set _ZN9rocsparseL20bsrxmvn_17_32_kernelILj21EdiifddEEvT2_20rocsparse_direction_NS_24const_host_device_scalarIT0_EES1_PKS1_PKT1_SA_S7_PKT3_PKT4_S5_PT5_21rocsparse_index_base_b.num_vgpr, 17
	.set _ZN9rocsparseL20bsrxmvn_17_32_kernelILj21EdiifddEEvT2_20rocsparse_direction_NS_24const_host_device_scalarIT0_EES1_PKS1_PKT1_SA_S7_PKT3_PKT4_S5_PT5_21rocsparse_index_base_b.num_agpr, 0
	.set _ZN9rocsparseL20bsrxmvn_17_32_kernelILj21EdiifddEEvT2_20rocsparse_direction_NS_24const_host_device_scalarIT0_EES1_PKS1_PKT1_SA_S7_PKT3_PKT4_S5_PT5_21rocsparse_index_base_b.numbered_sgpr, 18
	.set _ZN9rocsparseL20bsrxmvn_17_32_kernelILj21EdiifddEEvT2_20rocsparse_direction_NS_24const_host_device_scalarIT0_EES1_PKS1_PKT1_SA_S7_PKT3_PKT4_S5_PT5_21rocsparse_index_base_b.num_named_barrier, 0
	.set _ZN9rocsparseL20bsrxmvn_17_32_kernelILj21EdiifddEEvT2_20rocsparse_direction_NS_24const_host_device_scalarIT0_EES1_PKS1_PKT1_SA_S7_PKT3_PKT4_S5_PT5_21rocsparse_index_base_b.private_seg_size, 0
	.set _ZN9rocsparseL20bsrxmvn_17_32_kernelILj21EdiifddEEvT2_20rocsparse_direction_NS_24const_host_device_scalarIT0_EES1_PKS1_PKT1_SA_S7_PKT3_PKT4_S5_PT5_21rocsparse_index_base_b.uses_vcc, 1
	.set _ZN9rocsparseL20bsrxmvn_17_32_kernelILj21EdiifddEEvT2_20rocsparse_direction_NS_24const_host_device_scalarIT0_EES1_PKS1_PKT1_SA_S7_PKT3_PKT4_S5_PT5_21rocsparse_index_base_b.uses_flat_scratch, 0
	.set _ZN9rocsparseL20bsrxmvn_17_32_kernelILj21EdiifddEEvT2_20rocsparse_direction_NS_24const_host_device_scalarIT0_EES1_PKS1_PKT1_SA_S7_PKT3_PKT4_S5_PT5_21rocsparse_index_base_b.has_dyn_sized_stack, 0
	.set _ZN9rocsparseL20bsrxmvn_17_32_kernelILj21EdiifddEEvT2_20rocsparse_direction_NS_24const_host_device_scalarIT0_EES1_PKS1_PKT1_SA_S7_PKT3_PKT4_S5_PT5_21rocsparse_index_base_b.has_recursion, 0
	.set _ZN9rocsparseL20bsrxmvn_17_32_kernelILj21EdiifddEEvT2_20rocsparse_direction_NS_24const_host_device_scalarIT0_EES1_PKS1_PKT1_SA_S7_PKT3_PKT4_S5_PT5_21rocsparse_index_base_b.has_indirect_call, 0
	.section	.AMDGPU.csdata,"",@progbits
; Kernel info:
; codeLenInByte = 1340
; TotalNumSgprs: 22
; NumVgprs: 17
; ScratchSize: 0
; MemoryBound: 0
; FloatMode: 240
; IeeeMode: 1
; LDSByteSize: 3528 bytes/workgroup (compile time only)
; SGPRBlocks: 8
; VGPRBlocks: 6
; NumSGPRsForWavesPerEU: 65
; NumVGPRsForWavesPerEU: 25
; Occupancy: 9
; WaveLimiterHint : 1
; COMPUTE_PGM_RSRC2:SCRATCH_EN: 0
; COMPUTE_PGM_RSRC2:USER_SGPR: 6
; COMPUTE_PGM_RSRC2:TRAP_HANDLER: 0
; COMPUTE_PGM_RSRC2:TGID_X_EN: 1
; COMPUTE_PGM_RSRC2:TGID_Y_EN: 0
; COMPUTE_PGM_RSRC2:TGID_Z_EN: 0
; COMPUTE_PGM_RSRC2:TIDIG_COMP_CNT: 0
	.section	.text._ZN9rocsparseL20bsrxmvn_17_32_kernelILj22EdiifddEEvT2_20rocsparse_direction_NS_24const_host_device_scalarIT0_EES1_PKS1_PKT1_SA_S7_PKT3_PKT4_S5_PT5_21rocsparse_index_base_b,"axG",@progbits,_ZN9rocsparseL20bsrxmvn_17_32_kernelILj22EdiifddEEvT2_20rocsparse_direction_NS_24const_host_device_scalarIT0_EES1_PKS1_PKT1_SA_S7_PKT3_PKT4_S5_PT5_21rocsparse_index_base_b,comdat
	.globl	_ZN9rocsparseL20bsrxmvn_17_32_kernelILj22EdiifddEEvT2_20rocsparse_direction_NS_24const_host_device_scalarIT0_EES1_PKS1_PKT1_SA_S7_PKT3_PKT4_S5_PT5_21rocsparse_index_base_b ; -- Begin function _ZN9rocsparseL20bsrxmvn_17_32_kernelILj22EdiifddEEvT2_20rocsparse_direction_NS_24const_host_device_scalarIT0_EES1_PKS1_PKT1_SA_S7_PKT3_PKT4_S5_PT5_21rocsparse_index_base_b
	.p2align	8
	.type	_ZN9rocsparseL20bsrxmvn_17_32_kernelILj22EdiifddEEvT2_20rocsparse_direction_NS_24const_host_device_scalarIT0_EES1_PKS1_PKT1_SA_S7_PKT3_PKT4_S5_PT5_21rocsparse_index_base_b,@function
_ZN9rocsparseL20bsrxmvn_17_32_kernelILj22EdiifddEEvT2_20rocsparse_direction_NS_24const_host_device_scalarIT0_EES1_PKS1_PKT1_SA_S7_PKT3_PKT4_S5_PT5_21rocsparse_index_base_b: ; @_ZN9rocsparseL20bsrxmvn_17_32_kernelILj22EdiifddEEvT2_20rocsparse_direction_NS_24const_host_device_scalarIT0_EES1_PKS1_PKT1_SA_S7_PKT3_PKT4_S5_PT5_21rocsparse_index_base_b
; %bb.0:
	s_load_dwordx2 s[10:11], s[4:5], 0x58
	s_load_dwordx2 s[8:9], s[4:5], 0x8
	;; [unrolled: 1-line block ×3, first 2 shown]
	s_waitcnt lgkmcnt(0)
	s_bitcmp1_b32 s11, 0
	s_cselect_b64 s[12:13], -1, 0
	v_mov_b32_e32 v3, s8
	s_xor_b64 s[2:3], s[12:13], -1
	s_and_b64 vcc, exec, s[12:13]
	v_mov_b32_e32 v4, s9
	s_cbranch_vccnz .LBB485_2
; %bb.1:
	v_mov_b32_e32 v1, s8
	v_mov_b32_e32 v2, s9
	flat_load_dwordx2 v[3:4], v[1:2]
.LBB485_2:
	v_mov_b32_e32 v2, s1
	s_andn2_b64 vcc, exec, s[2:3]
	v_mov_b32_e32 v1, s0
	s_cbranch_vccnz .LBB485_4
; %bb.3:
	v_mov_b32_e32 v2, s1
	v_mov_b32_e32 v1, s0
	flat_load_dwordx2 v[1:2], v[1:2]
.LBB485_4:
	s_waitcnt vmcnt(0) lgkmcnt(0)
	v_cmp_neq_f64_e32 vcc, 0, v[3:4]
	v_cmp_neq_f64_e64 s[0:1], 1.0, v[1:2]
	s_or_b64 s[0:1], vcc, s[0:1]
	s_and_saveexec_b64 s[2:3], s[0:1]
	s_cbranch_execz .LBB485_41
; %bb.5:
	s_load_dwordx4 s[0:3], s[4:5], 0x18
	s_load_dwordx2 s[14:15], s[4:5], 0x28
	s_waitcnt lgkmcnt(0)
	s_cmp_eq_u64 s[0:1], 0
	s_cbranch_scc1 .LBB485_7
; %bb.6:
	s_ashr_i32 s7, s6, 31
	s_lshl_b64 s[6:7], s[6:7], 2
	s_add_u32 s0, s0, s6
	s_addc_u32 s1, s1, s7
	s_load_dword s0, s[0:1], 0x0
	s_waitcnt lgkmcnt(0)
	s_sub_i32 s6, s0, s10
.LBB485_7:
	s_load_dword s0, s[4:5], 0x4
	s_load_dwordx2 s[8:9], s[4:5], 0x50
	v_mul_u32_u24_e32 v7, 0xba3, v0
	v_mov_b32_e32 v8, 22
	v_mul_lo_u16_sdwa v9, v7, v8 dst_sel:DWORD dst_unused:UNUSED_PAD src0_sel:WORD_1 src1_sel:DWORD
	s_waitcnt lgkmcnt(0)
	s_cmp_eq_u32 s0, 1
	s_cselect_b64 vcc, -1, 0
	s_cmp_lg_u32 s0, 1
	s_cselect_b64 s[12:13], -1, 0
	s_ashr_i32 s7, s6, 31
	s_lshl_b64 s[0:1], s[6:7], 2
	s_add_u32 s2, s2, s0
	s_addc_u32 s3, s3, s1
	s_load_dword s7, s[2:3], 0x0
	s_add_u32 s2, s2, 4
	s_addc_u32 s3, s3, 0
	s_add_u32 s0, s14, s0
	s_addc_u32 s1, s15, s1
	s_cmp_eq_u64 s[14:15], 0
	s_cselect_b32 s1, s3, s1
	s_cselect_b32 s0, s2, s0
	s_load_dword s11, s[0:1], 0x0
	v_mov_b32_e32 v5, 0
	v_mov_b32_e32 v6, 0
	v_sub_u16_e32 v12, v0, v9
	s_waitcnt lgkmcnt(0)
	s_cmp_ge_i32 s7, s11
	s_cbranch_scc1 .LBB485_12
; %bb.8:
	s_load_dwordx4 s[0:3], s[4:5], 0x30
	s_load_dwordx2 s[14:15], s[4:5], 0x40
	v_mov_b32_e32 v5, 12
	v_mul_lo_u16_sdwa v5, v7, v5 dst_sel:DWORD dst_unused:UNUSED_PAD src0_sel:WORD_1 src1_sel:DWORD
	v_mul_lo_u16_sdwa v5, v5, v8 dst_sel:DWORD dst_unused:UNUSED_PAD src0_sel:BYTE_1 src1_sel:DWORD
	s_sub_i32 s5, s7, s10
	s_sub_i32 s4, s11, s10
	v_sub_u16_sdwa v5, v7, v5 dst_sel:DWORD dst_unused:UNUSED_PAD src0_sel:WORD_1 src1_sel:DWORD
	s_mul_i32 s11, s5, 0x790
	v_and_b32_e32 v5, 0xff, v5
	s_mul_hi_i32 s7, s5, 0x790
	s_waitcnt lgkmcnt(0)
	s_add_u32 s2, s2, s11
	v_cndmask_b32_e32 v7, v12, v5, vcc
	s_addc_u32 s3, s3, s7
	v_lshlrev_b32_e32 v5, 2, v0
	v_mov_b32_e32 v6, s3
	v_add_co_u32_e32 v8, vcc, s2, v5
	s_movk_i32 s2, 0x10f
	v_addc_co_u32_e32 v9, vcc, 0, v6, vcc
	v_mul_u32_u24_sdwa v10, v0, s2 dst_sel:DWORD dst_unused:UNUSED_PAD src0_sel:WORD_0 src1_sel:DWORD
	v_mov_b32_e32 v5, 0
	v_mov_b32_e32 v6, 0
	v_lshrrev_b32_e32 v13, 17, v10
	s_branch .LBB485_10
.LBB485_9:                              ;   in Loop: Header=BB485_10 Depth=1
	s_or_b64 exec, exec, s[2:3]
	s_add_i32 s5, s5, 1
	s_cmp_lt_i32 s5, s4
	s_cbranch_scc0 .LBB485_12
.LBB485_10:                             ; =>This Inner Loop Header: Depth=1
	v_add_u32_e32 v10, s5, v13
	v_cmp_gt_i32_e32 vcc, s4, v10
	s_and_saveexec_b64 s[2:3], vcc
	s_cbranch_execz .LBB485_9
; %bb.11:                               ;   in Loop: Header=BB485_10 Depth=1
	v_ashrrev_i32_e32 v11, 31, v10
	v_lshlrev_b64 v[10:11], 2, v[10:11]
	v_mov_b32_e32 v14, s1
	v_add_co_u32_e32 v10, vcc, s0, v10
	v_addc_co_u32_e32 v11, vcc, v14, v11, vcc
	global_load_dword v10, v[10:11], off
	v_mov_b32_e32 v15, s15
	global_load_dword v14, v[8:9], off
	s_waitcnt vmcnt(1)
	v_subrev_u32_e32 v10, s10, v10
	v_mad_u64_u32 v[10:11], s[16:17], v10, 22, v[7:8]
	v_ashrrev_i32_e32 v11, 31, v10
	v_lshlrev_b64 v[10:11], 3, v[10:11]
	v_add_co_u32_e32 v10, vcc, s14, v10
	v_addc_co_u32_e32 v11, vcc, v15, v11, vcc
	global_load_dwordx2 v[10:11], v[10:11], off
	s_waitcnt vmcnt(1)
	v_cvt_f64_f32_e32 v[14:15], v14
	v_add_co_u32_e32 v8, vcc, 0x790, v8
	v_addc_co_u32_e32 v9, vcc, 0, v9, vcc
	s_waitcnt vmcnt(0)
	v_fma_f64 v[5:6], v[14:15], v[10:11], v[5:6]
	s_branch .LBB485_9
.LBB485_12:
	v_lshlrev_b32_e32 v9, 3, v0
	s_and_b64 vcc, exec, s[12:13]
	ds_write_b64 v9, v[5:6]
	s_waitcnt lgkmcnt(0)
	s_barrier
	s_cbranch_vccz .LBB485_24
; %bb.13:
	v_cmp_gt_u16_e32 vcc, 6, v12
	s_and_saveexec_b64 s[0:1], vcc
	s_cbranch_execz .LBB485_15
; %bb.14:
	ds_read2_b64 v[13:16], v9 offset1:16
	s_waitcnt lgkmcnt(0)
	v_add_f64 v[7:8], v[15:16], v[13:14]
	ds_write_b64 v9, v[7:8]
.LBB485_15:
	s_or_b64 exec, exec, s[0:1]
	v_cmp_gt_u16_e32 vcc, 8, v12
	s_waitcnt lgkmcnt(0)
	s_barrier
	s_and_saveexec_b64 s[0:1], vcc
	s_cbranch_execz .LBB485_17
; %bb.16:
	ds_read2_b64 v[13:16], v9 offset1:8
	s_waitcnt lgkmcnt(0)
	v_add_f64 v[7:8], v[15:16], v[13:14]
	ds_write_b64 v9, v[7:8]
.LBB485_17:
	s_or_b64 exec, exec, s[0:1]
	v_cmp_gt_u16_e32 vcc, 4, v12
	s_waitcnt lgkmcnt(0)
	s_barrier
	;; [unrolled: 12-line block ×3, first 2 shown]
	s_and_saveexec_b64 s[0:1], vcc
	s_cbranch_execz .LBB485_21
; %bb.20:
	ds_read2_b64 v[10:13], v9 offset1:2
	s_waitcnt lgkmcnt(0)
	v_add_f64 v[7:8], v[12:13], v[10:11]
	ds_write_b64 v9, v[7:8]
.LBB485_21:
	s_or_b64 exec, exec, s[0:1]
	v_mov_b32_e32 v8, v6
	v_cmp_gt_u32_e32 vcc, 22, v0
	v_mov_b32_e32 v7, v5
	s_waitcnt lgkmcnt(0)
	s_barrier
	s_and_saveexec_b64 s[0:1], vcc
	s_cbranch_execz .LBB485_23
; %bb.22:
	s_movk_i32 s2, 0xa8
	v_mad_u32_u24 v7, v0, s2, v9
	ds_read_b128 v[10:13], v7
	s_waitcnt lgkmcnt(0)
	v_add_f64 v[7:8], v[10:11], v[12:13]
.LBB485_23:
	s_or_b64 exec, exec, s[0:1]
	s_branch .LBB485_36
.LBB485_24:
                                        ; implicit-def: $vgpr7_vgpr8
	s_cbranch_execz .LBB485_36
; %bb.25:
	s_movk_i32 s0, 0x84
	v_cmp_gt_u32_e32 vcc, s0, v0
	s_and_saveexec_b64 s[0:1], vcc
	s_cbranch_execz .LBB485_27
; %bb.26:
	ds_read_b64 v[7:8], v9 offset:2816
	ds_read_b64 v[10:11], v9
	s_waitcnt lgkmcnt(0)
	v_add_f64 v[7:8], v[7:8], v[10:11]
	ds_write_b64 v9, v[7:8]
.LBB485_27:
	s_or_b64 exec, exec, s[0:1]
	s_movk_i32 s0, 0xb0
	v_cmp_gt_u32_e32 vcc, s0, v0
	s_waitcnt lgkmcnt(0)
	s_barrier
	s_and_saveexec_b64 s[0:1], vcc
	s_cbranch_execz .LBB485_29
; %bb.28:
	ds_read2_b64 v[10:13], v9 offset1:176
	s_waitcnt lgkmcnt(0)
	v_add_f64 v[7:8], v[12:13], v[10:11]
	ds_write_b64 v9, v[7:8]
.LBB485_29:
	s_or_b64 exec, exec, s[0:1]
	s_movk_i32 s0, 0x58
	v_cmp_gt_u32_e32 vcc, s0, v0
	s_waitcnt lgkmcnt(0)
	s_barrier
	s_and_saveexec_b64 s[0:1], vcc
	s_cbranch_execz .LBB485_31
; %bb.30:
	ds_read2_b64 v[10:13], v9 offset1:88
	s_waitcnt lgkmcnt(0)
	v_add_f64 v[7:8], v[12:13], v[10:11]
	ds_write_b64 v9, v[7:8]
.LBB485_31:
	s_or_b64 exec, exec, s[0:1]
	v_cmp_gt_u32_e32 vcc, 44, v0
	s_waitcnt lgkmcnt(0)
	s_barrier
	s_and_saveexec_b64 s[0:1], vcc
	s_cbranch_execz .LBB485_33
; %bb.32:
	ds_read2_b64 v[10:13], v9 offset1:44
	s_waitcnt lgkmcnt(0)
	v_add_f64 v[7:8], v[12:13], v[10:11]
	ds_write_b64 v9, v[7:8]
.LBB485_33:
	s_or_b64 exec, exec, s[0:1]
	v_cmp_gt_u32_e32 vcc, 22, v0
	s_waitcnt lgkmcnt(0)
	s_and_saveexec_b64 s[0:1], vcc
	s_cbranch_execz .LBB485_35
; %bb.34:
	ds_read2_b64 v[5:8], v9 offset1:22
	s_waitcnt lgkmcnt(0)
	v_add_f64 v[5:6], v[5:6], v[7:8]
.LBB485_35:
	s_or_b64 exec, exec, s[0:1]
	v_mov_b32_e32 v8, v6
	v_mov_b32_e32 v7, v5
.LBB485_36:
	v_cmp_gt_u32_e32 vcc, 22, v0
	s_and_b64 exec, exec, vcc
	s_cbranch_execz .LBB485_41
; %bb.37:
	v_cmp_eq_f64_e32 vcc, 0, v[1:2]
	v_mul_f64 v[3:4], v[3:4], v[7:8]
	s_and_saveexec_b64 s[0:1], vcc
	s_xor_b64 s[0:1], exec, s[0:1]
	s_cbranch_execz .LBB485_39
; %bb.38:
	v_mad_u64_u32 v[0:1], s[2:3], s6, 22, v[0:1]
	v_mov_b32_e32 v1, 0
	v_mov_b32_e32 v2, s9
	v_lshlrev_b64 v[0:1], 3, v[0:1]
	v_add_co_u32_e32 v0, vcc, s8, v0
	v_addc_co_u32_e32 v1, vcc, v2, v1, vcc
	global_store_dwordx2 v[0:1], v[3:4], off
                                        ; implicit-def: $vgpr0
                                        ; implicit-def: $vgpr1_vgpr2
                                        ; implicit-def: $vgpr3_vgpr4
.LBB485_39:
	s_andn2_saveexec_b64 s[0:1], s[0:1]
	s_cbranch_execz .LBB485_41
; %bb.40:
	v_mad_u64_u32 v[5:6], s[0:1], s6, 22, v[0:1]
	v_mov_b32_e32 v6, 0
	v_mov_b32_e32 v0, s9
	v_lshlrev_b64 v[5:6], 3, v[5:6]
	v_add_co_u32_e32 v5, vcc, s8, v5
	v_addc_co_u32_e32 v6, vcc, v0, v6, vcc
	global_load_dwordx2 v[7:8], v[5:6], off
	s_waitcnt vmcnt(0)
	v_fma_f64 v[0:1], v[1:2], v[7:8], v[3:4]
	global_store_dwordx2 v[5:6], v[0:1], off
.LBB485_41:
	s_endpgm
	.section	.rodata,"a",@progbits
	.p2align	6, 0x0
	.amdhsa_kernel _ZN9rocsparseL20bsrxmvn_17_32_kernelILj22EdiifddEEvT2_20rocsparse_direction_NS_24const_host_device_scalarIT0_EES1_PKS1_PKT1_SA_S7_PKT3_PKT4_S5_PT5_21rocsparse_index_base_b
		.amdhsa_group_segment_fixed_size 3872
		.amdhsa_private_segment_fixed_size 0
		.amdhsa_kernarg_size 96
		.amdhsa_user_sgpr_count 6
		.amdhsa_user_sgpr_private_segment_buffer 1
		.amdhsa_user_sgpr_dispatch_ptr 0
		.amdhsa_user_sgpr_queue_ptr 0
		.amdhsa_user_sgpr_kernarg_segment_ptr 1
		.amdhsa_user_sgpr_dispatch_id 0
		.amdhsa_user_sgpr_flat_scratch_init 0
		.amdhsa_user_sgpr_private_segment_size 0
		.amdhsa_uses_dynamic_stack 0
		.amdhsa_system_sgpr_private_segment_wavefront_offset 0
		.amdhsa_system_sgpr_workgroup_id_x 1
		.amdhsa_system_sgpr_workgroup_id_y 0
		.amdhsa_system_sgpr_workgroup_id_z 0
		.amdhsa_system_sgpr_workgroup_info 0
		.amdhsa_system_vgpr_workitem_id 0
		.amdhsa_next_free_vgpr 17
		.amdhsa_next_free_sgpr 18
		.amdhsa_reserve_vcc 1
		.amdhsa_reserve_flat_scratch 0
		.amdhsa_float_round_mode_32 0
		.amdhsa_float_round_mode_16_64 0
		.amdhsa_float_denorm_mode_32 3
		.amdhsa_float_denorm_mode_16_64 3
		.amdhsa_dx10_clamp 1
		.amdhsa_ieee_mode 1
		.amdhsa_fp16_overflow 0
		.amdhsa_exception_fp_ieee_invalid_op 0
		.amdhsa_exception_fp_denorm_src 0
		.amdhsa_exception_fp_ieee_div_zero 0
		.amdhsa_exception_fp_ieee_overflow 0
		.amdhsa_exception_fp_ieee_underflow 0
		.amdhsa_exception_fp_ieee_inexact 0
		.amdhsa_exception_int_div_zero 0
	.end_amdhsa_kernel
	.section	.text._ZN9rocsparseL20bsrxmvn_17_32_kernelILj22EdiifddEEvT2_20rocsparse_direction_NS_24const_host_device_scalarIT0_EES1_PKS1_PKT1_SA_S7_PKT3_PKT4_S5_PT5_21rocsparse_index_base_b,"axG",@progbits,_ZN9rocsparseL20bsrxmvn_17_32_kernelILj22EdiifddEEvT2_20rocsparse_direction_NS_24const_host_device_scalarIT0_EES1_PKS1_PKT1_SA_S7_PKT3_PKT4_S5_PT5_21rocsparse_index_base_b,comdat
.Lfunc_end485:
	.size	_ZN9rocsparseL20bsrxmvn_17_32_kernelILj22EdiifddEEvT2_20rocsparse_direction_NS_24const_host_device_scalarIT0_EES1_PKS1_PKT1_SA_S7_PKT3_PKT4_S5_PT5_21rocsparse_index_base_b, .Lfunc_end485-_ZN9rocsparseL20bsrxmvn_17_32_kernelILj22EdiifddEEvT2_20rocsparse_direction_NS_24const_host_device_scalarIT0_EES1_PKS1_PKT1_SA_S7_PKT3_PKT4_S5_PT5_21rocsparse_index_base_b
                                        ; -- End function
	.set _ZN9rocsparseL20bsrxmvn_17_32_kernelILj22EdiifddEEvT2_20rocsparse_direction_NS_24const_host_device_scalarIT0_EES1_PKS1_PKT1_SA_S7_PKT3_PKT4_S5_PT5_21rocsparse_index_base_b.num_vgpr, 17
	.set _ZN9rocsparseL20bsrxmvn_17_32_kernelILj22EdiifddEEvT2_20rocsparse_direction_NS_24const_host_device_scalarIT0_EES1_PKS1_PKT1_SA_S7_PKT3_PKT4_S5_PT5_21rocsparse_index_base_b.num_agpr, 0
	.set _ZN9rocsparseL20bsrxmvn_17_32_kernelILj22EdiifddEEvT2_20rocsparse_direction_NS_24const_host_device_scalarIT0_EES1_PKS1_PKT1_SA_S7_PKT3_PKT4_S5_PT5_21rocsparse_index_base_b.numbered_sgpr, 18
	.set _ZN9rocsparseL20bsrxmvn_17_32_kernelILj22EdiifddEEvT2_20rocsparse_direction_NS_24const_host_device_scalarIT0_EES1_PKS1_PKT1_SA_S7_PKT3_PKT4_S5_PT5_21rocsparse_index_base_b.num_named_barrier, 0
	.set _ZN9rocsparseL20bsrxmvn_17_32_kernelILj22EdiifddEEvT2_20rocsparse_direction_NS_24const_host_device_scalarIT0_EES1_PKS1_PKT1_SA_S7_PKT3_PKT4_S5_PT5_21rocsparse_index_base_b.private_seg_size, 0
	.set _ZN9rocsparseL20bsrxmvn_17_32_kernelILj22EdiifddEEvT2_20rocsparse_direction_NS_24const_host_device_scalarIT0_EES1_PKS1_PKT1_SA_S7_PKT3_PKT4_S5_PT5_21rocsparse_index_base_b.uses_vcc, 1
	.set _ZN9rocsparseL20bsrxmvn_17_32_kernelILj22EdiifddEEvT2_20rocsparse_direction_NS_24const_host_device_scalarIT0_EES1_PKS1_PKT1_SA_S7_PKT3_PKT4_S5_PT5_21rocsparse_index_base_b.uses_flat_scratch, 0
	.set _ZN9rocsparseL20bsrxmvn_17_32_kernelILj22EdiifddEEvT2_20rocsparse_direction_NS_24const_host_device_scalarIT0_EES1_PKS1_PKT1_SA_S7_PKT3_PKT4_S5_PT5_21rocsparse_index_base_b.has_dyn_sized_stack, 0
	.set _ZN9rocsparseL20bsrxmvn_17_32_kernelILj22EdiifddEEvT2_20rocsparse_direction_NS_24const_host_device_scalarIT0_EES1_PKS1_PKT1_SA_S7_PKT3_PKT4_S5_PT5_21rocsparse_index_base_b.has_recursion, 0
	.set _ZN9rocsparseL20bsrxmvn_17_32_kernelILj22EdiifddEEvT2_20rocsparse_direction_NS_24const_host_device_scalarIT0_EES1_PKS1_PKT1_SA_S7_PKT3_PKT4_S5_PT5_21rocsparse_index_base_b.has_indirect_call, 0
	.section	.AMDGPU.csdata,"",@progbits
; Kernel info:
; codeLenInByte = 1340
; TotalNumSgprs: 22
; NumVgprs: 17
; ScratchSize: 0
; MemoryBound: 0
; FloatMode: 240
; IeeeMode: 1
; LDSByteSize: 3872 bytes/workgroup (compile time only)
; SGPRBlocks: 2
; VGPRBlocks: 4
; NumSGPRsForWavesPerEU: 22
; NumVGPRsForWavesPerEU: 17
; Occupancy: 10
; WaveLimiterHint : 1
; COMPUTE_PGM_RSRC2:SCRATCH_EN: 0
; COMPUTE_PGM_RSRC2:USER_SGPR: 6
; COMPUTE_PGM_RSRC2:TRAP_HANDLER: 0
; COMPUTE_PGM_RSRC2:TGID_X_EN: 1
; COMPUTE_PGM_RSRC2:TGID_Y_EN: 0
; COMPUTE_PGM_RSRC2:TGID_Z_EN: 0
; COMPUTE_PGM_RSRC2:TIDIG_COMP_CNT: 0
	.section	.text._ZN9rocsparseL20bsrxmvn_17_32_kernelILj23EdiifddEEvT2_20rocsparse_direction_NS_24const_host_device_scalarIT0_EES1_PKS1_PKT1_SA_S7_PKT3_PKT4_S5_PT5_21rocsparse_index_base_b,"axG",@progbits,_ZN9rocsparseL20bsrxmvn_17_32_kernelILj23EdiifddEEvT2_20rocsparse_direction_NS_24const_host_device_scalarIT0_EES1_PKS1_PKT1_SA_S7_PKT3_PKT4_S5_PT5_21rocsparse_index_base_b,comdat
	.globl	_ZN9rocsparseL20bsrxmvn_17_32_kernelILj23EdiifddEEvT2_20rocsparse_direction_NS_24const_host_device_scalarIT0_EES1_PKS1_PKT1_SA_S7_PKT3_PKT4_S5_PT5_21rocsparse_index_base_b ; -- Begin function _ZN9rocsparseL20bsrxmvn_17_32_kernelILj23EdiifddEEvT2_20rocsparse_direction_NS_24const_host_device_scalarIT0_EES1_PKS1_PKT1_SA_S7_PKT3_PKT4_S5_PT5_21rocsparse_index_base_b
	.p2align	8
	.type	_ZN9rocsparseL20bsrxmvn_17_32_kernelILj23EdiifddEEvT2_20rocsparse_direction_NS_24const_host_device_scalarIT0_EES1_PKS1_PKT1_SA_S7_PKT3_PKT4_S5_PT5_21rocsparse_index_base_b,@function
_ZN9rocsparseL20bsrxmvn_17_32_kernelILj23EdiifddEEvT2_20rocsparse_direction_NS_24const_host_device_scalarIT0_EES1_PKS1_PKT1_SA_S7_PKT3_PKT4_S5_PT5_21rocsparse_index_base_b: ; @_ZN9rocsparseL20bsrxmvn_17_32_kernelILj23EdiifddEEvT2_20rocsparse_direction_NS_24const_host_device_scalarIT0_EES1_PKS1_PKT1_SA_S7_PKT3_PKT4_S5_PT5_21rocsparse_index_base_b
; %bb.0:
	s_load_dwordx2 s[14:15], s[4:5], 0x58
	s_load_dwordx2 s[8:9], s[4:5], 0x8
	s_load_dwordx2 s[0:1], s[4:5], 0x48
	s_waitcnt lgkmcnt(0)
	s_bitcmp1_b32 s15, 0
	s_cselect_b64 s[10:11], -1, 0
	v_mov_b32_e32 v3, s8
	s_xor_b64 s[2:3], s[10:11], -1
	s_and_b64 vcc, exec, s[10:11]
	v_mov_b32_e32 v4, s9
	s_cbranch_vccnz .LBB486_2
; %bb.1:
	v_mov_b32_e32 v1, s8
	v_mov_b32_e32 v2, s9
	flat_load_dwordx2 v[3:4], v[1:2]
.LBB486_2:
	v_mov_b32_e32 v2, s1
	s_andn2_b64 vcc, exec, s[2:3]
	v_mov_b32_e32 v1, s0
	s_cbranch_vccnz .LBB486_4
; %bb.3:
	v_mov_b32_e32 v2, s1
	v_mov_b32_e32 v1, s0
	flat_load_dwordx2 v[1:2], v[1:2]
.LBB486_4:
	s_waitcnt vmcnt(0) lgkmcnt(0)
	v_cmp_neq_f64_e32 vcc, 0, v[3:4]
	v_cmp_neq_f64_e64 s[0:1], 1.0, v[1:2]
	s_or_b64 s[0:1], vcc, s[0:1]
	s_and_saveexec_b64 s[2:3], s[0:1]
	s_cbranch_execz .LBB486_41
; %bb.5:
	s_load_dwordx4 s[0:3], s[4:5], 0x18
	s_load_dwordx2 s[8:9], s[4:5], 0x28
	s_waitcnt lgkmcnt(0)
	s_cmp_eq_u64 s[0:1], 0
	s_cbranch_scc1 .LBB486_7
; %bb.6:
	s_ashr_i32 s7, s6, 31
	s_lshl_b64 s[6:7], s[6:7], 2
	s_add_u32 s0, s0, s6
	s_addc_u32 s1, s1, s7
	s_load_dword s0, s[0:1], 0x0
	s_waitcnt lgkmcnt(0)
	s_sub_i32 s6, s0, s14
.LBB486_7:
	s_load_dword s0, s[4:5], 0x4
	s_load_dwordx2 s[12:13], s[4:5], 0x50
	v_mul_u32_u24_e32 v7, 0xb22, v0
	v_mov_b32_e32 v5, 23
	v_mul_lo_u16_sdwa v8, v7, v5 dst_sel:DWORD dst_unused:UNUSED_PAD src0_sel:WORD_1 src1_sel:DWORD
	s_waitcnt lgkmcnt(0)
	s_cmp_eq_u32 s0, 1
	s_cselect_b64 vcc, -1, 0
	s_cmp_lg_u32 s0, 1
	s_cselect_b64 s[16:17], -1, 0
	s_ashr_i32 s7, s6, 31
	s_lshl_b64 s[0:1], s[6:7], 2
	s_add_u32 s2, s2, s0
	s_addc_u32 s3, s3, s1
	s_load_dword s7, s[2:3], 0x0
	s_add_u32 s2, s2, 4
	s_addc_u32 s3, s3, 0
	s_add_u32 s0, s8, s0
	s_addc_u32 s1, s9, s1
	s_cmp_eq_u64 s[8:9], 0
	s_cselect_b32 s1, s3, s1
	s_cselect_b32 s0, s2, s0
	s_load_dword s0, s[0:1], 0x0
	v_mov_b32_e32 v5, 0
	v_mov_b32_e32 v6, 0
	v_sub_u16_e32 v12, v0, v8
	s_waitcnt lgkmcnt(0)
	s_cmp_ge_i32 s7, s0
	s_cbranch_scc1 .LBB486_12
; %bb.8:
	s_load_dwordx4 s[8:11], s[4:5], 0x30
	s_load_dwordx2 s[2:3], s[4:5], 0x40
	s_sub_i32 s4, s0, s14
	s_mov_b32 s0, 0xffff
	s_movk_i32 s1, 0x211
	v_and_b32_sdwa v5, s0, v7 dst_sel:DWORD dst_unused:UNUSED_PAD src0_sel:DWORD src1_sel:WORD_1
	v_subrev_u32_e32 v6, 23, v5
	v_cmp_gt_u32_e64 s[0:1], s1, v0
	s_sub_i32 s5, s7, s14
	v_cndmask_b32_e64 v5, v6, v5, s[0:1]
	s_mul_i32 s1, s5, 0x844
	s_mul_hi_i32 s0, s5, 0x844
	s_waitcnt lgkmcnt(0)
	s_add_u32 s1, s10, s1
	v_cndmask_b32_e32 v7, v12, v5, vcc
	s_addc_u32 s0, s11, s0
	v_lshlrev_b32_e32 v5, 2, v0
	v_mov_b32_e32 v6, s0
	v_add_co_u32_e32 v8, vcc, s1, v5
	v_addc_co_u32_e32 v9, vcc, 0, v6, vcc
	s_movk_i32 s0, 0x210
	v_mov_b32_e32 v5, 0
	v_cmp_lt_u32_e32 vcc, s0, v0
	v_mov_b32_e32 v6, 0
	v_cndmask_b32_e64 v13, 0, 1, vcc
	s_branch .LBB486_10
.LBB486_9:                              ;   in Loop: Header=BB486_10 Depth=1
	s_or_b64 exec, exec, s[0:1]
	s_add_i32 s5, s5, 1
	s_cmp_lt_i32 s5, s4
	s_cbranch_scc0 .LBB486_12
.LBB486_10:                             ; =>This Inner Loop Header: Depth=1
	v_add_u32_e32 v10, s5, v13
	v_cmp_gt_i32_e32 vcc, s4, v10
	s_and_saveexec_b64 s[0:1], vcc
	s_cbranch_execz .LBB486_9
; %bb.11:                               ;   in Loop: Header=BB486_10 Depth=1
	v_ashrrev_i32_e32 v11, 31, v10
	v_lshlrev_b64 v[10:11], 2, v[10:11]
	v_mov_b32_e32 v14, s9
	v_add_co_u32_e32 v10, vcc, s8, v10
	v_addc_co_u32_e32 v11, vcc, v14, v11, vcc
	global_load_dword v10, v[10:11], off
	v_mov_b32_e32 v15, s3
	global_load_dword v14, v[8:9], off
	s_waitcnt vmcnt(1)
	v_subrev_u32_e32 v10, s14, v10
	v_mad_u64_u32 v[10:11], s[10:11], v10, 23, v[7:8]
	v_ashrrev_i32_e32 v11, 31, v10
	v_lshlrev_b64 v[10:11], 3, v[10:11]
	v_add_co_u32_e32 v10, vcc, s2, v10
	v_addc_co_u32_e32 v11, vcc, v15, v11, vcc
	global_load_dwordx2 v[10:11], v[10:11], off
	s_waitcnt vmcnt(1)
	v_cvt_f64_f32_e32 v[14:15], v14
	v_add_co_u32_e32 v8, vcc, 0x844, v8
	v_addc_co_u32_e32 v9, vcc, 0, v9, vcc
	s_waitcnt vmcnt(0)
	v_fma_f64 v[5:6], v[14:15], v[10:11], v[5:6]
	s_branch .LBB486_9
.LBB486_12:
	v_lshlrev_b32_e32 v9, 3, v0
	s_and_b64 vcc, exec, s[16:17]
	ds_write_b64 v9, v[5:6]
	s_waitcnt lgkmcnt(0)
	s_barrier
	s_cbranch_vccz .LBB486_24
; %bb.13:
	v_cmp_gt_u16_e32 vcc, 7, v12
	s_and_saveexec_b64 s[0:1], vcc
	s_cbranch_execz .LBB486_15
; %bb.14:
	ds_read2_b64 v[13:16], v9 offset1:16
	s_waitcnt lgkmcnt(0)
	v_add_f64 v[7:8], v[15:16], v[13:14]
	ds_write_b64 v9, v[7:8]
.LBB486_15:
	s_or_b64 exec, exec, s[0:1]
	v_cmp_gt_u16_e32 vcc, 8, v12
	s_waitcnt lgkmcnt(0)
	s_barrier
	s_and_saveexec_b64 s[0:1], vcc
	s_cbranch_execz .LBB486_17
; %bb.16:
	ds_read2_b64 v[13:16], v9 offset1:8
	s_waitcnt lgkmcnt(0)
	v_add_f64 v[7:8], v[15:16], v[13:14]
	ds_write_b64 v9, v[7:8]
.LBB486_17:
	s_or_b64 exec, exec, s[0:1]
	v_cmp_gt_u16_e32 vcc, 4, v12
	s_waitcnt lgkmcnt(0)
	s_barrier
	;; [unrolled: 12-line block ×3, first 2 shown]
	s_and_saveexec_b64 s[0:1], vcc
	s_cbranch_execz .LBB486_21
; %bb.20:
	ds_read2_b64 v[10:13], v9 offset1:2
	s_waitcnt lgkmcnt(0)
	v_add_f64 v[7:8], v[12:13], v[10:11]
	ds_write_b64 v9, v[7:8]
.LBB486_21:
	s_or_b64 exec, exec, s[0:1]
	v_mov_b32_e32 v8, v6
	v_cmp_gt_u32_e32 vcc, 23, v0
	v_mov_b32_e32 v7, v5
	s_waitcnt lgkmcnt(0)
	s_barrier
	s_and_saveexec_b64 s[0:1], vcc
	s_cbranch_execz .LBB486_23
; %bb.22:
	s_movk_i32 s2, 0xb0
	v_mad_u32_u24 v7, v0, s2, v9
	ds_read2_b64 v[10:13], v7 offset1:1
	s_waitcnt lgkmcnt(0)
	v_add_f64 v[7:8], v[10:11], v[12:13]
.LBB486_23:
	s_or_b64 exec, exec, s[0:1]
	s_branch .LBB486_36
.LBB486_24:
                                        ; implicit-def: $vgpr7_vgpr8
	s_cbranch_execz .LBB486_36
; %bb.25:
	s_movk_i32 s0, 0xa1
	v_cmp_gt_u32_e32 vcc, s0, v0
	s_and_saveexec_b64 s[0:1], vcc
	s_cbranch_execz .LBB486_27
; %bb.26:
	ds_read_b64 v[7:8], v9 offset:2944
	ds_read_b64 v[10:11], v9
	s_waitcnt lgkmcnt(0)
	v_add_f64 v[7:8], v[7:8], v[10:11]
	ds_write_b64 v9, v[7:8]
.LBB486_27:
	s_or_b64 exec, exec, s[0:1]
	s_movk_i32 s0, 0xb8
	v_cmp_gt_u32_e32 vcc, s0, v0
	s_waitcnt lgkmcnt(0)
	s_barrier
	s_and_saveexec_b64 s[0:1], vcc
	s_cbranch_execz .LBB486_29
; %bb.28:
	ds_read2_b64 v[10:13], v9 offset1:184
	s_waitcnt lgkmcnt(0)
	v_add_f64 v[7:8], v[12:13], v[10:11]
	ds_write_b64 v9, v[7:8]
.LBB486_29:
	s_or_b64 exec, exec, s[0:1]
	s_movk_i32 s0, 0x5c
	v_cmp_gt_u32_e32 vcc, s0, v0
	s_waitcnt lgkmcnt(0)
	s_barrier
	s_and_saveexec_b64 s[0:1], vcc
	s_cbranch_execz .LBB486_31
; %bb.30:
	ds_read2_b64 v[10:13], v9 offset1:92
	s_waitcnt lgkmcnt(0)
	v_add_f64 v[7:8], v[12:13], v[10:11]
	ds_write_b64 v9, v[7:8]
.LBB486_31:
	s_or_b64 exec, exec, s[0:1]
	v_cmp_gt_u32_e32 vcc, 46, v0
	s_waitcnt lgkmcnt(0)
	s_barrier
	s_and_saveexec_b64 s[0:1], vcc
	s_cbranch_execz .LBB486_33
; %bb.32:
	ds_read2_b64 v[10:13], v9 offset1:46
	s_waitcnt lgkmcnt(0)
	v_add_f64 v[7:8], v[12:13], v[10:11]
	ds_write_b64 v9, v[7:8]
.LBB486_33:
	s_or_b64 exec, exec, s[0:1]
	v_cmp_gt_u32_e32 vcc, 23, v0
	s_waitcnt lgkmcnt(0)
	s_and_saveexec_b64 s[0:1], vcc
	s_cbranch_execz .LBB486_35
; %bb.34:
	ds_read2_b64 v[5:8], v9 offset1:23
	s_waitcnt lgkmcnt(0)
	v_add_f64 v[5:6], v[5:6], v[7:8]
.LBB486_35:
	s_or_b64 exec, exec, s[0:1]
	v_mov_b32_e32 v8, v6
	v_mov_b32_e32 v7, v5
.LBB486_36:
	v_cmp_gt_u32_e32 vcc, 23, v0
	s_and_b64 exec, exec, vcc
	s_cbranch_execz .LBB486_41
; %bb.37:
	v_cmp_eq_f64_e32 vcc, 0, v[1:2]
	v_mul_f64 v[3:4], v[3:4], v[7:8]
	s_and_saveexec_b64 s[0:1], vcc
	s_xor_b64 s[0:1], exec, s[0:1]
	s_cbranch_execz .LBB486_39
; %bb.38:
	v_mad_u64_u32 v[0:1], s[2:3], s6, 23, v[0:1]
	v_mov_b32_e32 v1, 0
	v_mov_b32_e32 v2, s13
	v_lshlrev_b64 v[0:1], 3, v[0:1]
	v_add_co_u32_e32 v0, vcc, s12, v0
	v_addc_co_u32_e32 v1, vcc, v2, v1, vcc
	global_store_dwordx2 v[0:1], v[3:4], off
                                        ; implicit-def: $vgpr0
                                        ; implicit-def: $vgpr1_vgpr2
                                        ; implicit-def: $vgpr3_vgpr4
.LBB486_39:
	s_andn2_saveexec_b64 s[0:1], s[0:1]
	s_cbranch_execz .LBB486_41
; %bb.40:
	v_mad_u64_u32 v[5:6], s[0:1], s6, 23, v[0:1]
	v_mov_b32_e32 v6, 0
	v_mov_b32_e32 v0, s13
	v_lshlrev_b64 v[5:6], 3, v[5:6]
	v_add_co_u32_e32 v5, vcc, s12, v5
	v_addc_co_u32_e32 v6, vcc, v0, v6, vcc
	global_load_dwordx2 v[7:8], v[5:6], off
	s_waitcnt vmcnt(0)
	v_fma_f64 v[0:1], v[1:2], v[7:8], v[3:4]
	global_store_dwordx2 v[5:6], v[0:1], off
.LBB486_41:
	s_endpgm
	.section	.rodata,"a",@progbits
	.p2align	6, 0x0
	.amdhsa_kernel _ZN9rocsparseL20bsrxmvn_17_32_kernelILj23EdiifddEEvT2_20rocsparse_direction_NS_24const_host_device_scalarIT0_EES1_PKS1_PKT1_SA_S7_PKT3_PKT4_S5_PT5_21rocsparse_index_base_b
		.amdhsa_group_segment_fixed_size 4232
		.amdhsa_private_segment_fixed_size 0
		.amdhsa_kernarg_size 96
		.amdhsa_user_sgpr_count 6
		.amdhsa_user_sgpr_private_segment_buffer 1
		.amdhsa_user_sgpr_dispatch_ptr 0
		.amdhsa_user_sgpr_queue_ptr 0
		.amdhsa_user_sgpr_kernarg_segment_ptr 1
		.amdhsa_user_sgpr_dispatch_id 0
		.amdhsa_user_sgpr_flat_scratch_init 0
		.amdhsa_user_sgpr_private_segment_size 0
		.amdhsa_uses_dynamic_stack 0
		.amdhsa_system_sgpr_private_segment_wavefront_offset 0
		.amdhsa_system_sgpr_workgroup_id_x 1
		.amdhsa_system_sgpr_workgroup_id_y 0
		.amdhsa_system_sgpr_workgroup_id_z 0
		.amdhsa_system_sgpr_workgroup_info 0
		.amdhsa_system_vgpr_workitem_id 0
		.amdhsa_next_free_vgpr 25
		.amdhsa_next_free_sgpr 61
		.amdhsa_reserve_vcc 1
		.amdhsa_reserve_flat_scratch 0
		.amdhsa_float_round_mode_32 0
		.amdhsa_float_round_mode_16_64 0
		.amdhsa_float_denorm_mode_32 3
		.amdhsa_float_denorm_mode_16_64 3
		.amdhsa_dx10_clamp 1
		.amdhsa_ieee_mode 1
		.amdhsa_fp16_overflow 0
		.amdhsa_exception_fp_ieee_invalid_op 0
		.amdhsa_exception_fp_denorm_src 0
		.amdhsa_exception_fp_ieee_div_zero 0
		.amdhsa_exception_fp_ieee_overflow 0
		.amdhsa_exception_fp_ieee_underflow 0
		.amdhsa_exception_fp_ieee_inexact 0
		.amdhsa_exception_int_div_zero 0
	.end_amdhsa_kernel
	.section	.text._ZN9rocsparseL20bsrxmvn_17_32_kernelILj23EdiifddEEvT2_20rocsparse_direction_NS_24const_host_device_scalarIT0_EES1_PKS1_PKT1_SA_S7_PKT3_PKT4_S5_PT5_21rocsparse_index_base_b,"axG",@progbits,_ZN9rocsparseL20bsrxmvn_17_32_kernelILj23EdiifddEEvT2_20rocsparse_direction_NS_24const_host_device_scalarIT0_EES1_PKS1_PKT1_SA_S7_PKT3_PKT4_S5_PT5_21rocsparse_index_base_b,comdat
.Lfunc_end486:
	.size	_ZN9rocsparseL20bsrxmvn_17_32_kernelILj23EdiifddEEvT2_20rocsparse_direction_NS_24const_host_device_scalarIT0_EES1_PKS1_PKT1_SA_S7_PKT3_PKT4_S5_PT5_21rocsparse_index_base_b, .Lfunc_end486-_ZN9rocsparseL20bsrxmvn_17_32_kernelILj23EdiifddEEvT2_20rocsparse_direction_NS_24const_host_device_scalarIT0_EES1_PKS1_PKT1_SA_S7_PKT3_PKT4_S5_PT5_21rocsparse_index_base_b
                                        ; -- End function
	.set _ZN9rocsparseL20bsrxmvn_17_32_kernelILj23EdiifddEEvT2_20rocsparse_direction_NS_24const_host_device_scalarIT0_EES1_PKS1_PKT1_SA_S7_PKT3_PKT4_S5_PT5_21rocsparse_index_base_b.num_vgpr, 17
	.set _ZN9rocsparseL20bsrxmvn_17_32_kernelILj23EdiifddEEvT2_20rocsparse_direction_NS_24const_host_device_scalarIT0_EES1_PKS1_PKT1_SA_S7_PKT3_PKT4_S5_PT5_21rocsparse_index_base_b.num_agpr, 0
	.set _ZN9rocsparseL20bsrxmvn_17_32_kernelILj23EdiifddEEvT2_20rocsparse_direction_NS_24const_host_device_scalarIT0_EES1_PKS1_PKT1_SA_S7_PKT3_PKT4_S5_PT5_21rocsparse_index_base_b.numbered_sgpr, 18
	.set _ZN9rocsparseL20bsrxmvn_17_32_kernelILj23EdiifddEEvT2_20rocsparse_direction_NS_24const_host_device_scalarIT0_EES1_PKS1_PKT1_SA_S7_PKT3_PKT4_S5_PT5_21rocsparse_index_base_b.num_named_barrier, 0
	.set _ZN9rocsparseL20bsrxmvn_17_32_kernelILj23EdiifddEEvT2_20rocsparse_direction_NS_24const_host_device_scalarIT0_EES1_PKS1_PKT1_SA_S7_PKT3_PKT4_S5_PT5_21rocsparse_index_base_b.private_seg_size, 0
	.set _ZN9rocsparseL20bsrxmvn_17_32_kernelILj23EdiifddEEvT2_20rocsparse_direction_NS_24const_host_device_scalarIT0_EES1_PKS1_PKT1_SA_S7_PKT3_PKT4_S5_PT5_21rocsparse_index_base_b.uses_vcc, 1
	.set _ZN9rocsparseL20bsrxmvn_17_32_kernelILj23EdiifddEEvT2_20rocsparse_direction_NS_24const_host_device_scalarIT0_EES1_PKS1_PKT1_SA_S7_PKT3_PKT4_S5_PT5_21rocsparse_index_base_b.uses_flat_scratch, 0
	.set _ZN9rocsparseL20bsrxmvn_17_32_kernelILj23EdiifddEEvT2_20rocsparse_direction_NS_24const_host_device_scalarIT0_EES1_PKS1_PKT1_SA_S7_PKT3_PKT4_S5_PT5_21rocsparse_index_base_b.has_dyn_sized_stack, 0
	.set _ZN9rocsparseL20bsrxmvn_17_32_kernelILj23EdiifddEEvT2_20rocsparse_direction_NS_24const_host_device_scalarIT0_EES1_PKS1_PKT1_SA_S7_PKT3_PKT4_S5_PT5_21rocsparse_index_base_b.has_recursion, 0
	.set _ZN9rocsparseL20bsrxmvn_17_32_kernelILj23EdiifddEEvT2_20rocsparse_direction_NS_24const_host_device_scalarIT0_EES1_PKS1_PKT1_SA_S7_PKT3_PKT4_S5_PT5_21rocsparse_index_base_b.has_indirect_call, 0
	.section	.AMDGPU.csdata,"",@progbits
; Kernel info:
; codeLenInByte = 1344
; TotalNumSgprs: 22
; NumVgprs: 17
; ScratchSize: 0
; MemoryBound: 0
; FloatMode: 240
; IeeeMode: 1
; LDSByteSize: 4232 bytes/workgroup (compile time only)
; SGPRBlocks: 8
; VGPRBlocks: 6
; NumSGPRsForWavesPerEU: 65
; NumVGPRsForWavesPerEU: 25
; Occupancy: 9
; WaveLimiterHint : 1
; COMPUTE_PGM_RSRC2:SCRATCH_EN: 0
; COMPUTE_PGM_RSRC2:USER_SGPR: 6
; COMPUTE_PGM_RSRC2:TRAP_HANDLER: 0
; COMPUTE_PGM_RSRC2:TGID_X_EN: 1
; COMPUTE_PGM_RSRC2:TGID_Y_EN: 0
; COMPUTE_PGM_RSRC2:TGID_Z_EN: 0
; COMPUTE_PGM_RSRC2:TIDIG_COMP_CNT: 0
	.section	.text._ZN9rocsparseL20bsrxmvn_17_32_kernelILj24EdiifddEEvT2_20rocsparse_direction_NS_24const_host_device_scalarIT0_EES1_PKS1_PKT1_SA_S7_PKT3_PKT4_S5_PT5_21rocsparse_index_base_b,"axG",@progbits,_ZN9rocsparseL20bsrxmvn_17_32_kernelILj24EdiifddEEvT2_20rocsparse_direction_NS_24const_host_device_scalarIT0_EES1_PKS1_PKT1_SA_S7_PKT3_PKT4_S5_PT5_21rocsparse_index_base_b,comdat
	.globl	_ZN9rocsparseL20bsrxmvn_17_32_kernelILj24EdiifddEEvT2_20rocsparse_direction_NS_24const_host_device_scalarIT0_EES1_PKS1_PKT1_SA_S7_PKT3_PKT4_S5_PT5_21rocsparse_index_base_b ; -- Begin function _ZN9rocsparseL20bsrxmvn_17_32_kernelILj24EdiifddEEvT2_20rocsparse_direction_NS_24const_host_device_scalarIT0_EES1_PKS1_PKT1_SA_S7_PKT3_PKT4_S5_PT5_21rocsparse_index_base_b
	.p2align	8
	.type	_ZN9rocsparseL20bsrxmvn_17_32_kernelILj24EdiifddEEvT2_20rocsparse_direction_NS_24const_host_device_scalarIT0_EES1_PKS1_PKT1_SA_S7_PKT3_PKT4_S5_PT5_21rocsparse_index_base_b,@function
_ZN9rocsparseL20bsrxmvn_17_32_kernelILj24EdiifddEEvT2_20rocsparse_direction_NS_24const_host_device_scalarIT0_EES1_PKS1_PKT1_SA_S7_PKT3_PKT4_S5_PT5_21rocsparse_index_base_b: ; @_ZN9rocsparseL20bsrxmvn_17_32_kernelILj24EdiifddEEvT2_20rocsparse_direction_NS_24const_host_device_scalarIT0_EES1_PKS1_PKT1_SA_S7_PKT3_PKT4_S5_PT5_21rocsparse_index_base_b
; %bb.0:
	s_load_dwordx2 s[14:15], s[4:5], 0x58
	s_load_dwordx2 s[8:9], s[4:5], 0x8
	;; [unrolled: 1-line block ×3, first 2 shown]
	s_waitcnt lgkmcnt(0)
	s_bitcmp1_b32 s15, 0
	s_cselect_b64 s[10:11], -1, 0
	v_mov_b32_e32 v3, s8
	s_xor_b64 s[2:3], s[10:11], -1
	s_and_b64 vcc, exec, s[10:11]
	v_mov_b32_e32 v4, s9
	s_cbranch_vccnz .LBB487_2
; %bb.1:
	v_mov_b32_e32 v1, s8
	v_mov_b32_e32 v2, s9
	flat_load_dwordx2 v[3:4], v[1:2]
.LBB487_2:
	v_mov_b32_e32 v2, s1
	s_andn2_b64 vcc, exec, s[2:3]
	v_mov_b32_e32 v1, s0
	s_cbranch_vccnz .LBB487_4
; %bb.3:
	v_mov_b32_e32 v2, s1
	v_mov_b32_e32 v1, s0
	flat_load_dwordx2 v[1:2], v[1:2]
.LBB487_4:
	s_waitcnt vmcnt(0) lgkmcnt(0)
	v_cmp_neq_f64_e32 vcc, 0, v[3:4]
	v_cmp_neq_f64_e64 s[0:1], 1.0, v[1:2]
	s_or_b64 s[0:1], vcc, s[0:1]
	s_and_saveexec_b64 s[2:3], s[0:1]
	s_cbranch_execz .LBB487_41
; %bb.5:
	s_load_dwordx4 s[0:3], s[4:5], 0x18
	s_load_dwordx2 s[8:9], s[4:5], 0x28
	s_waitcnt lgkmcnt(0)
	s_cmp_eq_u64 s[0:1], 0
	s_cbranch_scc1 .LBB487_7
; %bb.6:
	s_ashr_i32 s7, s6, 31
	s_lshl_b64 s[6:7], s[6:7], 2
	s_add_u32 s0, s0, s6
	s_addc_u32 s1, s1, s7
	s_load_dword s0, s[0:1], 0x0
	s_waitcnt lgkmcnt(0)
	s_sub_i32 s6, s0, s14
.LBB487_7:
	s_load_dword s0, s[4:5], 0x4
	s_load_dwordx2 s[12:13], s[4:5], 0x50
	v_mul_u32_u24_e32 v7, 0xaab, v0
	v_mov_b32_e32 v5, 24
	v_mul_lo_u16_sdwa v8, v7, v5 dst_sel:DWORD dst_unused:UNUSED_PAD src0_sel:WORD_1 src1_sel:DWORD
	s_waitcnt lgkmcnt(0)
	s_cmp_eq_u32 s0, 1
	s_cselect_b64 vcc, -1, 0
	s_cmp_lg_u32 s0, 1
	s_cselect_b64 s[16:17], -1, 0
	s_ashr_i32 s7, s6, 31
	s_lshl_b64 s[0:1], s[6:7], 2
	s_add_u32 s2, s2, s0
	s_addc_u32 s3, s3, s1
	s_load_dword s7, s[2:3], 0x0
	s_add_u32 s2, s2, 4
	s_addc_u32 s3, s3, 0
	s_add_u32 s0, s8, s0
	s_addc_u32 s1, s9, s1
	s_cmp_eq_u64 s[8:9], 0
	s_cselect_b32 s1, s3, s1
	s_cselect_b32 s0, s2, s0
	s_load_dword s0, s[0:1], 0x0
	v_mov_b32_e32 v5, 0
	v_mov_b32_e32 v6, 0
	v_sub_u16_e32 v12, v0, v8
	s_waitcnt lgkmcnt(0)
	s_cmp_ge_i32 s7, s0
	s_cbranch_scc1 .LBB487_12
; %bb.8:
	s_load_dwordx4 s[8:11], s[4:5], 0x30
	s_load_dwordx2 s[2:3], s[4:5], 0x40
	s_sub_i32 s4, s0, s14
	s_mov_b32 s0, 0xffff
	s_movk_i32 s1, 0x240
	v_and_b32_sdwa v5, s0, v7 dst_sel:DWORD dst_unused:UNUSED_PAD src0_sel:DWORD src1_sel:WORD_1
	v_subrev_u32_e32 v6, 24, v5
	v_cmp_gt_u32_e64 s[0:1], s1, v0
	s_sub_i32 s5, s7, s14
	v_cndmask_b32_e64 v5, v6, v5, s[0:1]
	s_mul_i32 s1, s5, 0x900
	s_mul_hi_i32 s0, s5, 0x900
	s_waitcnt lgkmcnt(0)
	s_add_u32 s1, s10, s1
	v_cndmask_b32_e32 v7, v12, v5, vcc
	s_addc_u32 s0, s11, s0
	v_lshlrev_b32_e32 v5, 2, v0
	v_mov_b32_e32 v6, s0
	v_add_co_u32_e32 v8, vcc, s1, v5
	v_addc_co_u32_e32 v9, vcc, 0, v6, vcc
	s_movk_i32 s0, 0x23f
	v_mov_b32_e32 v5, 0
	v_cmp_lt_u32_e32 vcc, s0, v0
	v_mov_b32_e32 v6, 0
	v_cndmask_b32_e64 v13, 0, 1, vcc
	s_branch .LBB487_10
.LBB487_9:                              ;   in Loop: Header=BB487_10 Depth=1
	s_or_b64 exec, exec, s[0:1]
	s_add_i32 s5, s5, 1
	s_cmp_lt_i32 s5, s4
	s_cbranch_scc0 .LBB487_12
.LBB487_10:                             ; =>This Inner Loop Header: Depth=1
	v_add_u32_e32 v10, s5, v13
	v_cmp_gt_i32_e32 vcc, s4, v10
	s_and_saveexec_b64 s[0:1], vcc
	s_cbranch_execz .LBB487_9
; %bb.11:                               ;   in Loop: Header=BB487_10 Depth=1
	v_ashrrev_i32_e32 v11, 31, v10
	v_lshlrev_b64 v[10:11], 2, v[10:11]
	v_mov_b32_e32 v14, s9
	v_add_co_u32_e32 v10, vcc, s8, v10
	v_addc_co_u32_e32 v11, vcc, v14, v11, vcc
	global_load_dword v10, v[10:11], off
	v_mov_b32_e32 v15, s3
	global_load_dword v14, v[8:9], off
	s_waitcnt vmcnt(1)
	v_subrev_u32_e32 v10, s14, v10
	v_mad_u64_u32 v[10:11], s[10:11], v10, 24, v[7:8]
	v_ashrrev_i32_e32 v11, 31, v10
	v_lshlrev_b64 v[10:11], 3, v[10:11]
	v_add_co_u32_e32 v10, vcc, s2, v10
	v_addc_co_u32_e32 v11, vcc, v15, v11, vcc
	global_load_dwordx2 v[10:11], v[10:11], off
	s_waitcnt vmcnt(1)
	v_cvt_f64_f32_e32 v[14:15], v14
	v_add_co_u32_e32 v8, vcc, 0x900, v8
	v_addc_co_u32_e32 v9, vcc, 0, v9, vcc
	s_waitcnt vmcnt(0)
	v_fma_f64 v[5:6], v[14:15], v[10:11], v[5:6]
	s_branch .LBB487_9
.LBB487_12:
	v_lshlrev_b32_e32 v9, 3, v0
	s_and_b64 vcc, exec, s[16:17]
	ds_write_b64 v9, v[5:6]
	s_waitcnt lgkmcnt(0)
	s_barrier
	s_cbranch_vccz .LBB487_24
; %bb.13:
	v_cmp_gt_u16_e32 vcc, 8, v12
	s_and_saveexec_b64 s[0:1], vcc
	s_cbranch_execz .LBB487_15
; %bb.14:
	ds_read2_b64 v[13:16], v9 offset1:16
	s_waitcnt lgkmcnt(0)
	v_add_f64 v[7:8], v[15:16], v[13:14]
	ds_write_b64 v9, v[7:8]
.LBB487_15:
	s_or_b64 exec, exec, s[0:1]
	s_waitcnt lgkmcnt(0)
	s_barrier
	s_and_saveexec_b64 s[0:1], vcc
	s_cbranch_execz .LBB487_17
; %bb.16:
	ds_read2_b64 v[13:16], v9 offset1:8
	s_waitcnt lgkmcnt(0)
	v_add_f64 v[7:8], v[15:16], v[13:14]
	ds_write_b64 v9, v[7:8]
.LBB487_17:
	s_or_b64 exec, exec, s[0:1]
	v_cmp_gt_u16_e32 vcc, 4, v12
	s_waitcnt lgkmcnt(0)
	s_barrier
	s_and_saveexec_b64 s[0:1], vcc
	s_cbranch_execz .LBB487_19
; %bb.18:
	ds_read2_b64 v[13:16], v9 offset1:4
	s_waitcnt lgkmcnt(0)
	v_add_f64 v[7:8], v[15:16], v[13:14]
	ds_write_b64 v9, v[7:8]
.LBB487_19:
	s_or_b64 exec, exec, s[0:1]
	v_cmp_gt_u16_e32 vcc, 2, v12
	s_waitcnt lgkmcnt(0)
	s_barrier
	s_and_saveexec_b64 s[0:1], vcc
	s_cbranch_execz .LBB487_21
; %bb.20:
	ds_read2_b64 v[10:13], v9 offset1:2
	s_waitcnt lgkmcnt(0)
	v_add_f64 v[7:8], v[12:13], v[10:11]
	ds_write_b64 v9, v[7:8]
.LBB487_21:
	s_or_b64 exec, exec, s[0:1]
	v_mov_b32_e32 v8, v6
	v_cmp_gt_u32_e32 vcc, 24, v0
	v_mov_b32_e32 v7, v5
	s_waitcnt lgkmcnt(0)
	s_barrier
	s_and_saveexec_b64 s[0:1], vcc
	s_cbranch_execz .LBB487_23
; %bb.22:
	s_movk_i32 s2, 0xb8
	v_mad_u32_u24 v7, v0, s2, v9
	ds_read_b128 v[10:13], v7
	s_waitcnt lgkmcnt(0)
	v_add_f64 v[7:8], v[10:11], v[12:13]
.LBB487_23:
	s_or_b64 exec, exec, s[0:1]
	s_branch .LBB487_36
.LBB487_24:
                                        ; implicit-def: $vgpr7_vgpr8
	s_cbranch_execz .LBB487_36
; %bb.25:
	s_movk_i32 s0, 0xc0
	v_cmp_gt_u32_e32 vcc, s0, v0
	s_and_saveexec_b64 s[0:1], vcc
	s_cbranch_execz .LBB487_27
; %bb.26:
	ds_read2st64_b64 v[10:13], v9 offset1:6
	s_waitcnt lgkmcnt(0)
	v_add_f64 v[7:8], v[12:13], v[10:11]
	ds_write_b64 v9, v[7:8]
.LBB487_27:
	s_or_b64 exec, exec, s[0:1]
	s_waitcnt lgkmcnt(0)
	s_barrier
	s_and_saveexec_b64 s[0:1], vcc
	s_cbranch_execz .LBB487_29
; %bb.28:
	ds_read2st64_b64 v[10:13], v9 offset1:3
	s_waitcnt lgkmcnt(0)
	v_add_f64 v[7:8], v[12:13], v[10:11]
	ds_write_b64 v9, v[7:8]
.LBB487_29:
	s_or_b64 exec, exec, s[0:1]
	s_movk_i32 s0, 0x60
	v_cmp_gt_u32_e32 vcc, s0, v0
	s_waitcnt lgkmcnt(0)
	s_barrier
	s_and_saveexec_b64 s[0:1], vcc
	s_cbranch_execz .LBB487_31
; %bb.30:
	ds_read2_b64 v[10:13], v9 offset1:96
	s_waitcnt lgkmcnt(0)
	v_add_f64 v[7:8], v[12:13], v[10:11]
	ds_write_b64 v9, v[7:8]
.LBB487_31:
	s_or_b64 exec, exec, s[0:1]
	v_cmp_gt_u32_e32 vcc, 48, v0
	s_waitcnt lgkmcnt(0)
	s_barrier
	s_and_saveexec_b64 s[0:1], vcc
	s_cbranch_execz .LBB487_33
; %bb.32:
	ds_read2_b64 v[10:13], v9 offset1:48
	s_waitcnt lgkmcnt(0)
	v_add_f64 v[7:8], v[12:13], v[10:11]
	ds_write_b64 v9, v[7:8]
.LBB487_33:
	s_or_b64 exec, exec, s[0:1]
	v_cmp_gt_u32_e32 vcc, 24, v0
	s_waitcnt lgkmcnt(0)
	s_and_saveexec_b64 s[0:1], vcc
	s_cbranch_execz .LBB487_35
; %bb.34:
	ds_read2_b64 v[5:8], v9 offset1:24
	s_waitcnt lgkmcnt(0)
	v_add_f64 v[5:6], v[5:6], v[7:8]
.LBB487_35:
	s_or_b64 exec, exec, s[0:1]
	v_mov_b32_e32 v8, v6
	v_mov_b32_e32 v7, v5
.LBB487_36:
	v_cmp_gt_u32_e32 vcc, 24, v0
	s_and_b64 exec, exec, vcc
	s_cbranch_execz .LBB487_41
; %bb.37:
	v_cmp_eq_f64_e32 vcc, 0, v[1:2]
	v_mul_f64 v[3:4], v[3:4], v[7:8]
	s_and_saveexec_b64 s[0:1], vcc
	s_xor_b64 s[0:1], exec, s[0:1]
	s_cbranch_execz .LBB487_39
; %bb.38:
	v_mad_u64_u32 v[0:1], s[2:3], s6, 24, v[0:1]
	v_mov_b32_e32 v1, 0
	v_mov_b32_e32 v2, s13
	v_lshlrev_b64 v[0:1], 3, v[0:1]
	v_add_co_u32_e32 v0, vcc, s12, v0
	v_addc_co_u32_e32 v1, vcc, v2, v1, vcc
	global_store_dwordx2 v[0:1], v[3:4], off
                                        ; implicit-def: $vgpr0
                                        ; implicit-def: $vgpr1_vgpr2
                                        ; implicit-def: $vgpr3_vgpr4
.LBB487_39:
	s_andn2_saveexec_b64 s[0:1], s[0:1]
	s_cbranch_execz .LBB487_41
; %bb.40:
	v_mad_u64_u32 v[5:6], s[0:1], s6, 24, v[0:1]
	v_mov_b32_e32 v6, 0
	v_mov_b32_e32 v0, s13
	v_lshlrev_b64 v[5:6], 3, v[5:6]
	v_add_co_u32_e32 v5, vcc, s12, v5
	v_addc_co_u32_e32 v6, vcc, v0, v6, vcc
	global_load_dwordx2 v[7:8], v[5:6], off
	s_waitcnt vmcnt(0)
	v_fma_f64 v[0:1], v[1:2], v[7:8], v[3:4]
	global_store_dwordx2 v[5:6], v[0:1], off
.LBB487_41:
	s_endpgm
	.section	.rodata,"a",@progbits
	.p2align	6, 0x0
	.amdhsa_kernel _ZN9rocsparseL20bsrxmvn_17_32_kernelILj24EdiifddEEvT2_20rocsparse_direction_NS_24const_host_device_scalarIT0_EES1_PKS1_PKT1_SA_S7_PKT3_PKT4_S5_PT5_21rocsparse_index_base_b
		.amdhsa_group_segment_fixed_size 4608
		.amdhsa_private_segment_fixed_size 0
		.amdhsa_kernarg_size 96
		.amdhsa_user_sgpr_count 6
		.amdhsa_user_sgpr_private_segment_buffer 1
		.amdhsa_user_sgpr_dispatch_ptr 0
		.amdhsa_user_sgpr_queue_ptr 0
		.amdhsa_user_sgpr_kernarg_segment_ptr 1
		.amdhsa_user_sgpr_dispatch_id 0
		.amdhsa_user_sgpr_flat_scratch_init 0
		.amdhsa_user_sgpr_private_segment_size 0
		.amdhsa_uses_dynamic_stack 0
		.amdhsa_system_sgpr_private_segment_wavefront_offset 0
		.amdhsa_system_sgpr_workgroup_id_x 1
		.amdhsa_system_sgpr_workgroup_id_y 0
		.amdhsa_system_sgpr_workgroup_id_z 0
		.amdhsa_system_sgpr_workgroup_info 0
		.amdhsa_system_vgpr_workitem_id 0
		.amdhsa_next_free_vgpr 25
		.amdhsa_next_free_sgpr 61
		.amdhsa_reserve_vcc 1
		.amdhsa_reserve_flat_scratch 0
		.amdhsa_float_round_mode_32 0
		.amdhsa_float_round_mode_16_64 0
		.amdhsa_float_denorm_mode_32 3
		.amdhsa_float_denorm_mode_16_64 3
		.amdhsa_dx10_clamp 1
		.amdhsa_ieee_mode 1
		.amdhsa_fp16_overflow 0
		.amdhsa_exception_fp_ieee_invalid_op 0
		.amdhsa_exception_fp_denorm_src 0
		.amdhsa_exception_fp_ieee_div_zero 0
		.amdhsa_exception_fp_ieee_overflow 0
		.amdhsa_exception_fp_ieee_underflow 0
		.amdhsa_exception_fp_ieee_inexact 0
		.amdhsa_exception_int_div_zero 0
	.end_amdhsa_kernel
	.section	.text._ZN9rocsparseL20bsrxmvn_17_32_kernelILj24EdiifddEEvT2_20rocsparse_direction_NS_24const_host_device_scalarIT0_EES1_PKS1_PKT1_SA_S7_PKT3_PKT4_S5_PT5_21rocsparse_index_base_b,"axG",@progbits,_ZN9rocsparseL20bsrxmvn_17_32_kernelILj24EdiifddEEvT2_20rocsparse_direction_NS_24const_host_device_scalarIT0_EES1_PKS1_PKT1_SA_S7_PKT3_PKT4_S5_PT5_21rocsparse_index_base_b,comdat
.Lfunc_end487:
	.size	_ZN9rocsparseL20bsrxmvn_17_32_kernelILj24EdiifddEEvT2_20rocsparse_direction_NS_24const_host_device_scalarIT0_EES1_PKS1_PKT1_SA_S7_PKT3_PKT4_S5_PT5_21rocsparse_index_base_b, .Lfunc_end487-_ZN9rocsparseL20bsrxmvn_17_32_kernelILj24EdiifddEEvT2_20rocsparse_direction_NS_24const_host_device_scalarIT0_EES1_PKS1_PKT1_SA_S7_PKT3_PKT4_S5_PT5_21rocsparse_index_base_b
                                        ; -- End function
	.set _ZN9rocsparseL20bsrxmvn_17_32_kernelILj24EdiifddEEvT2_20rocsparse_direction_NS_24const_host_device_scalarIT0_EES1_PKS1_PKT1_SA_S7_PKT3_PKT4_S5_PT5_21rocsparse_index_base_b.num_vgpr, 17
	.set _ZN9rocsparseL20bsrxmvn_17_32_kernelILj24EdiifddEEvT2_20rocsparse_direction_NS_24const_host_device_scalarIT0_EES1_PKS1_PKT1_SA_S7_PKT3_PKT4_S5_PT5_21rocsparse_index_base_b.num_agpr, 0
	.set _ZN9rocsparseL20bsrxmvn_17_32_kernelILj24EdiifddEEvT2_20rocsparse_direction_NS_24const_host_device_scalarIT0_EES1_PKS1_PKT1_SA_S7_PKT3_PKT4_S5_PT5_21rocsparse_index_base_b.numbered_sgpr, 18
	.set _ZN9rocsparseL20bsrxmvn_17_32_kernelILj24EdiifddEEvT2_20rocsparse_direction_NS_24const_host_device_scalarIT0_EES1_PKS1_PKT1_SA_S7_PKT3_PKT4_S5_PT5_21rocsparse_index_base_b.num_named_barrier, 0
	.set _ZN9rocsparseL20bsrxmvn_17_32_kernelILj24EdiifddEEvT2_20rocsparse_direction_NS_24const_host_device_scalarIT0_EES1_PKS1_PKT1_SA_S7_PKT3_PKT4_S5_PT5_21rocsparse_index_base_b.private_seg_size, 0
	.set _ZN9rocsparseL20bsrxmvn_17_32_kernelILj24EdiifddEEvT2_20rocsparse_direction_NS_24const_host_device_scalarIT0_EES1_PKS1_PKT1_SA_S7_PKT3_PKT4_S5_PT5_21rocsparse_index_base_b.uses_vcc, 1
	.set _ZN9rocsparseL20bsrxmvn_17_32_kernelILj24EdiifddEEvT2_20rocsparse_direction_NS_24const_host_device_scalarIT0_EES1_PKS1_PKT1_SA_S7_PKT3_PKT4_S5_PT5_21rocsparse_index_base_b.uses_flat_scratch, 0
	.set _ZN9rocsparseL20bsrxmvn_17_32_kernelILj24EdiifddEEvT2_20rocsparse_direction_NS_24const_host_device_scalarIT0_EES1_PKS1_PKT1_SA_S7_PKT3_PKT4_S5_PT5_21rocsparse_index_base_b.has_dyn_sized_stack, 0
	.set _ZN9rocsparseL20bsrxmvn_17_32_kernelILj24EdiifddEEvT2_20rocsparse_direction_NS_24const_host_device_scalarIT0_EES1_PKS1_PKT1_SA_S7_PKT3_PKT4_S5_PT5_21rocsparse_index_base_b.has_recursion, 0
	.set _ZN9rocsparseL20bsrxmvn_17_32_kernelILj24EdiifddEEvT2_20rocsparse_direction_NS_24const_host_device_scalarIT0_EES1_PKS1_PKT1_SA_S7_PKT3_PKT4_S5_PT5_21rocsparse_index_base_b.has_indirect_call, 0
	.section	.AMDGPU.csdata,"",@progbits
; Kernel info:
; codeLenInByte = 1324
; TotalNumSgprs: 22
; NumVgprs: 17
; ScratchSize: 0
; MemoryBound: 0
; FloatMode: 240
; IeeeMode: 1
; LDSByteSize: 4608 bytes/workgroup (compile time only)
; SGPRBlocks: 8
; VGPRBlocks: 6
; NumSGPRsForWavesPerEU: 65
; NumVGPRsForWavesPerEU: 25
; Occupancy: 9
; WaveLimiterHint : 1
; COMPUTE_PGM_RSRC2:SCRATCH_EN: 0
; COMPUTE_PGM_RSRC2:USER_SGPR: 6
; COMPUTE_PGM_RSRC2:TRAP_HANDLER: 0
; COMPUTE_PGM_RSRC2:TGID_X_EN: 1
; COMPUTE_PGM_RSRC2:TGID_Y_EN: 0
; COMPUTE_PGM_RSRC2:TGID_Z_EN: 0
; COMPUTE_PGM_RSRC2:TIDIG_COMP_CNT: 0
	.section	.text._ZN9rocsparseL20bsrxmvn_17_32_kernelILj25EdiifddEEvT2_20rocsparse_direction_NS_24const_host_device_scalarIT0_EES1_PKS1_PKT1_SA_S7_PKT3_PKT4_S5_PT5_21rocsparse_index_base_b,"axG",@progbits,_ZN9rocsparseL20bsrxmvn_17_32_kernelILj25EdiifddEEvT2_20rocsparse_direction_NS_24const_host_device_scalarIT0_EES1_PKS1_PKT1_SA_S7_PKT3_PKT4_S5_PT5_21rocsparse_index_base_b,comdat
	.globl	_ZN9rocsparseL20bsrxmvn_17_32_kernelILj25EdiifddEEvT2_20rocsparse_direction_NS_24const_host_device_scalarIT0_EES1_PKS1_PKT1_SA_S7_PKT3_PKT4_S5_PT5_21rocsparse_index_base_b ; -- Begin function _ZN9rocsparseL20bsrxmvn_17_32_kernelILj25EdiifddEEvT2_20rocsparse_direction_NS_24const_host_device_scalarIT0_EES1_PKS1_PKT1_SA_S7_PKT3_PKT4_S5_PT5_21rocsparse_index_base_b
	.p2align	8
	.type	_ZN9rocsparseL20bsrxmvn_17_32_kernelILj25EdiifddEEvT2_20rocsparse_direction_NS_24const_host_device_scalarIT0_EES1_PKS1_PKT1_SA_S7_PKT3_PKT4_S5_PT5_21rocsparse_index_base_b,@function
_ZN9rocsparseL20bsrxmvn_17_32_kernelILj25EdiifddEEvT2_20rocsparse_direction_NS_24const_host_device_scalarIT0_EES1_PKS1_PKT1_SA_S7_PKT3_PKT4_S5_PT5_21rocsparse_index_base_b: ; @_ZN9rocsparseL20bsrxmvn_17_32_kernelILj25EdiifddEEvT2_20rocsparse_direction_NS_24const_host_device_scalarIT0_EES1_PKS1_PKT1_SA_S7_PKT3_PKT4_S5_PT5_21rocsparse_index_base_b
; %bb.0:
	s_load_dwordx2 s[14:15], s[4:5], 0x58
	s_load_dwordx2 s[8:9], s[4:5], 0x8
	;; [unrolled: 1-line block ×3, first 2 shown]
	s_waitcnt lgkmcnt(0)
	s_bitcmp1_b32 s15, 0
	s_cselect_b64 s[10:11], -1, 0
	v_mov_b32_e32 v3, s8
	s_xor_b64 s[2:3], s[10:11], -1
	s_and_b64 vcc, exec, s[10:11]
	v_mov_b32_e32 v4, s9
	s_cbranch_vccnz .LBB488_2
; %bb.1:
	v_mov_b32_e32 v1, s8
	v_mov_b32_e32 v2, s9
	flat_load_dwordx2 v[3:4], v[1:2]
.LBB488_2:
	v_mov_b32_e32 v2, s1
	s_andn2_b64 vcc, exec, s[2:3]
	v_mov_b32_e32 v1, s0
	s_cbranch_vccnz .LBB488_4
; %bb.3:
	v_mov_b32_e32 v2, s1
	v_mov_b32_e32 v1, s0
	flat_load_dwordx2 v[1:2], v[1:2]
.LBB488_4:
	s_waitcnt vmcnt(0) lgkmcnt(0)
	v_cmp_neq_f64_e32 vcc, 0, v[3:4]
	v_cmp_neq_f64_e64 s[0:1], 1.0, v[1:2]
	s_or_b64 s[0:1], vcc, s[0:1]
	s_and_saveexec_b64 s[2:3], s[0:1]
	s_cbranch_execz .LBB488_41
; %bb.5:
	s_load_dwordx4 s[0:3], s[4:5], 0x18
	s_load_dwordx2 s[8:9], s[4:5], 0x28
	s_waitcnt lgkmcnt(0)
	s_cmp_eq_u64 s[0:1], 0
	s_cbranch_scc1 .LBB488_7
; %bb.6:
	s_ashr_i32 s7, s6, 31
	s_lshl_b64 s[6:7], s[6:7], 2
	s_add_u32 s0, s0, s6
	s_addc_u32 s1, s1, s7
	s_load_dword s0, s[0:1], 0x0
	s_waitcnt lgkmcnt(0)
	s_sub_i32 s6, s0, s14
.LBB488_7:
	s_load_dword s0, s[4:5], 0x4
	s_load_dwordx2 s[12:13], s[4:5], 0x50
	v_mul_u32_u24_e32 v7, 0xa3e, v0
	v_mov_b32_e32 v5, 25
	v_mul_lo_u16_sdwa v8, v7, v5 dst_sel:DWORD dst_unused:UNUSED_PAD src0_sel:WORD_1 src1_sel:DWORD
	s_waitcnt lgkmcnt(0)
	s_cmp_eq_u32 s0, 1
	s_cselect_b64 vcc, -1, 0
	s_cmp_lg_u32 s0, 1
	s_cselect_b64 s[16:17], -1, 0
	s_ashr_i32 s7, s6, 31
	s_lshl_b64 s[0:1], s[6:7], 2
	s_add_u32 s2, s2, s0
	s_addc_u32 s3, s3, s1
	s_load_dword s7, s[2:3], 0x0
	s_add_u32 s2, s2, 4
	s_addc_u32 s3, s3, 0
	s_add_u32 s0, s8, s0
	s_addc_u32 s1, s9, s1
	s_cmp_eq_u64 s[8:9], 0
	s_cselect_b32 s1, s3, s1
	s_cselect_b32 s0, s2, s0
	s_load_dword s0, s[0:1], 0x0
	v_mov_b32_e32 v5, 0
	v_mov_b32_e32 v6, 0
	v_sub_u16_e32 v12, v0, v8
	s_waitcnt lgkmcnt(0)
	s_cmp_ge_i32 s7, s0
	s_cbranch_scc1 .LBB488_12
; %bb.8:
	s_load_dwordx4 s[8:11], s[4:5], 0x30
	s_load_dwordx2 s[2:3], s[4:5], 0x40
	s_sub_i32 s4, s0, s14
	s_mov_b32 s0, 0xffff
	s_movk_i32 s1, 0x271
	v_and_b32_sdwa v5, s0, v7 dst_sel:DWORD dst_unused:UNUSED_PAD src0_sel:DWORD src1_sel:WORD_1
	v_subrev_u32_e32 v6, 25, v5
	v_cmp_gt_u32_e64 s[0:1], s1, v0
	s_sub_i32 s5, s7, s14
	v_cndmask_b32_e64 v5, v6, v5, s[0:1]
	s_mul_i32 s1, s5, 0x9c4
	s_mul_hi_i32 s0, s5, 0x9c4
	s_waitcnt lgkmcnt(0)
	s_add_u32 s1, s10, s1
	v_cndmask_b32_e32 v7, v12, v5, vcc
	s_addc_u32 s0, s11, s0
	v_lshlrev_b32_e32 v5, 2, v0
	v_mov_b32_e32 v6, s0
	v_add_co_u32_e32 v8, vcc, s1, v5
	v_addc_co_u32_e32 v9, vcc, 0, v6, vcc
	s_movk_i32 s0, 0x270
	v_mov_b32_e32 v5, 0
	v_cmp_lt_u32_e32 vcc, s0, v0
	v_mov_b32_e32 v6, 0
	v_cndmask_b32_e64 v13, 0, 1, vcc
	s_branch .LBB488_10
.LBB488_9:                              ;   in Loop: Header=BB488_10 Depth=1
	s_or_b64 exec, exec, s[0:1]
	s_add_i32 s5, s5, 1
	s_cmp_lt_i32 s5, s4
	s_cbranch_scc0 .LBB488_12
.LBB488_10:                             ; =>This Inner Loop Header: Depth=1
	v_add_u32_e32 v10, s5, v13
	v_cmp_gt_i32_e32 vcc, s4, v10
	s_and_saveexec_b64 s[0:1], vcc
	s_cbranch_execz .LBB488_9
; %bb.11:                               ;   in Loop: Header=BB488_10 Depth=1
	v_ashrrev_i32_e32 v11, 31, v10
	v_lshlrev_b64 v[10:11], 2, v[10:11]
	v_mov_b32_e32 v14, s9
	v_add_co_u32_e32 v10, vcc, s8, v10
	v_addc_co_u32_e32 v11, vcc, v14, v11, vcc
	global_load_dword v10, v[10:11], off
	v_mov_b32_e32 v15, s3
	global_load_dword v14, v[8:9], off
	s_waitcnt vmcnt(1)
	v_subrev_u32_e32 v10, s14, v10
	v_mad_u64_u32 v[10:11], s[10:11], v10, 25, v[7:8]
	v_ashrrev_i32_e32 v11, 31, v10
	v_lshlrev_b64 v[10:11], 3, v[10:11]
	v_add_co_u32_e32 v10, vcc, s2, v10
	v_addc_co_u32_e32 v11, vcc, v15, v11, vcc
	global_load_dwordx2 v[10:11], v[10:11], off
	s_waitcnt vmcnt(1)
	v_cvt_f64_f32_e32 v[14:15], v14
	v_add_co_u32_e32 v8, vcc, 0x9c4, v8
	v_addc_co_u32_e32 v9, vcc, 0, v9, vcc
	s_waitcnt vmcnt(0)
	v_fma_f64 v[5:6], v[14:15], v[10:11], v[5:6]
	s_branch .LBB488_9
.LBB488_12:
	v_lshlrev_b32_e32 v9, 3, v0
	s_and_b64 vcc, exec, s[16:17]
	ds_write_b64 v9, v[5:6]
	s_waitcnt lgkmcnt(0)
	s_barrier
	s_cbranch_vccz .LBB488_24
; %bb.13:
	v_cmp_gt_u16_e32 vcc, 9, v12
	s_and_saveexec_b64 s[0:1], vcc
	s_cbranch_execz .LBB488_15
; %bb.14:
	ds_read2_b64 v[13:16], v9 offset1:16
	s_waitcnt lgkmcnt(0)
	v_add_f64 v[7:8], v[15:16], v[13:14]
	ds_write_b64 v9, v[7:8]
.LBB488_15:
	s_or_b64 exec, exec, s[0:1]
	v_cmp_gt_u16_e32 vcc, 8, v12
	s_waitcnt lgkmcnt(0)
	s_barrier
	s_and_saveexec_b64 s[0:1], vcc
	s_cbranch_execz .LBB488_17
; %bb.16:
	ds_read2_b64 v[13:16], v9 offset1:8
	s_waitcnt lgkmcnt(0)
	v_add_f64 v[7:8], v[15:16], v[13:14]
	ds_write_b64 v9, v[7:8]
.LBB488_17:
	s_or_b64 exec, exec, s[0:1]
	v_cmp_gt_u16_e32 vcc, 4, v12
	s_waitcnt lgkmcnt(0)
	s_barrier
	;; [unrolled: 12-line block ×3, first 2 shown]
	s_and_saveexec_b64 s[0:1], vcc
	s_cbranch_execz .LBB488_21
; %bb.20:
	ds_read2_b64 v[10:13], v9 offset1:2
	s_waitcnt lgkmcnt(0)
	v_add_f64 v[7:8], v[12:13], v[10:11]
	ds_write_b64 v9, v[7:8]
.LBB488_21:
	s_or_b64 exec, exec, s[0:1]
	v_mov_b32_e32 v8, v6
	v_cmp_gt_u32_e32 vcc, 25, v0
	v_mov_b32_e32 v7, v5
	s_waitcnt lgkmcnt(0)
	s_barrier
	s_and_saveexec_b64 s[0:1], vcc
	s_cbranch_execz .LBB488_23
; %bb.22:
	s_movk_i32 s2, 0xc0
	v_mad_u32_u24 v7, v0, s2, v9
	ds_read2_b64 v[10:13], v7 offset1:1
	s_waitcnt lgkmcnt(0)
	v_add_f64 v[7:8], v[10:11], v[12:13]
.LBB488_23:
	s_or_b64 exec, exec, s[0:1]
	s_branch .LBB488_36
.LBB488_24:
                                        ; implicit-def: $vgpr7_vgpr8
	s_cbranch_execz .LBB488_36
; %bb.25:
	s_movk_i32 s0, 0xe1
	v_cmp_gt_u32_e32 vcc, s0, v0
	s_and_saveexec_b64 s[0:1], vcc
	s_cbranch_execz .LBB488_27
; %bb.26:
	ds_read_b64 v[7:8], v9 offset:3200
	ds_read_b64 v[10:11], v9
	s_waitcnt lgkmcnt(0)
	v_add_f64 v[7:8], v[7:8], v[10:11]
	ds_write_b64 v9, v[7:8]
.LBB488_27:
	s_or_b64 exec, exec, s[0:1]
	s_movk_i32 s0, 0xc8
	v_cmp_gt_u32_e32 vcc, s0, v0
	s_waitcnt lgkmcnt(0)
	s_barrier
	s_and_saveexec_b64 s[0:1], vcc
	s_cbranch_execz .LBB488_29
; %bb.28:
	ds_read2_b64 v[10:13], v9 offset1:200
	s_waitcnt lgkmcnt(0)
	v_add_f64 v[7:8], v[12:13], v[10:11]
	ds_write_b64 v9, v[7:8]
.LBB488_29:
	s_or_b64 exec, exec, s[0:1]
	s_movk_i32 s0, 0x64
	v_cmp_gt_u32_e32 vcc, s0, v0
	s_waitcnt lgkmcnt(0)
	s_barrier
	s_and_saveexec_b64 s[0:1], vcc
	s_cbranch_execz .LBB488_31
; %bb.30:
	ds_read2_b64 v[10:13], v9 offset1:100
	s_waitcnt lgkmcnt(0)
	v_add_f64 v[7:8], v[12:13], v[10:11]
	ds_write_b64 v9, v[7:8]
.LBB488_31:
	s_or_b64 exec, exec, s[0:1]
	v_cmp_gt_u32_e32 vcc, 50, v0
	s_waitcnt lgkmcnt(0)
	s_barrier
	s_and_saveexec_b64 s[0:1], vcc
	s_cbranch_execz .LBB488_33
; %bb.32:
	ds_read2_b64 v[10:13], v9 offset1:50
	s_waitcnt lgkmcnt(0)
	v_add_f64 v[7:8], v[12:13], v[10:11]
	ds_write_b64 v9, v[7:8]
.LBB488_33:
	s_or_b64 exec, exec, s[0:1]
	v_cmp_gt_u32_e32 vcc, 25, v0
	s_waitcnt lgkmcnt(0)
	s_and_saveexec_b64 s[0:1], vcc
	s_cbranch_execz .LBB488_35
; %bb.34:
	ds_read2_b64 v[5:8], v9 offset1:25
	s_waitcnt lgkmcnt(0)
	v_add_f64 v[5:6], v[5:6], v[7:8]
.LBB488_35:
	s_or_b64 exec, exec, s[0:1]
	v_mov_b32_e32 v8, v6
	v_mov_b32_e32 v7, v5
.LBB488_36:
	v_cmp_gt_u32_e32 vcc, 25, v0
	s_and_b64 exec, exec, vcc
	s_cbranch_execz .LBB488_41
; %bb.37:
	v_cmp_eq_f64_e32 vcc, 0, v[1:2]
	v_mul_f64 v[3:4], v[3:4], v[7:8]
	s_and_saveexec_b64 s[0:1], vcc
	s_xor_b64 s[0:1], exec, s[0:1]
	s_cbranch_execz .LBB488_39
; %bb.38:
	v_mad_u64_u32 v[0:1], s[2:3], s6, 25, v[0:1]
	v_mov_b32_e32 v1, 0
	v_mov_b32_e32 v2, s13
	v_lshlrev_b64 v[0:1], 3, v[0:1]
	v_add_co_u32_e32 v0, vcc, s12, v0
	v_addc_co_u32_e32 v1, vcc, v2, v1, vcc
	global_store_dwordx2 v[0:1], v[3:4], off
                                        ; implicit-def: $vgpr0
                                        ; implicit-def: $vgpr1_vgpr2
                                        ; implicit-def: $vgpr3_vgpr4
.LBB488_39:
	s_andn2_saveexec_b64 s[0:1], s[0:1]
	s_cbranch_execz .LBB488_41
; %bb.40:
	v_mad_u64_u32 v[5:6], s[0:1], s6, 25, v[0:1]
	v_mov_b32_e32 v6, 0
	v_mov_b32_e32 v0, s13
	v_lshlrev_b64 v[5:6], 3, v[5:6]
	v_add_co_u32_e32 v5, vcc, s12, v5
	v_addc_co_u32_e32 v6, vcc, v0, v6, vcc
	global_load_dwordx2 v[7:8], v[5:6], off
	s_waitcnt vmcnt(0)
	v_fma_f64 v[0:1], v[1:2], v[7:8], v[3:4]
	global_store_dwordx2 v[5:6], v[0:1], off
.LBB488_41:
	s_endpgm
	.section	.rodata,"a",@progbits
	.p2align	6, 0x0
	.amdhsa_kernel _ZN9rocsparseL20bsrxmvn_17_32_kernelILj25EdiifddEEvT2_20rocsparse_direction_NS_24const_host_device_scalarIT0_EES1_PKS1_PKT1_SA_S7_PKT3_PKT4_S5_PT5_21rocsparse_index_base_b
		.amdhsa_group_segment_fixed_size 5000
		.amdhsa_private_segment_fixed_size 0
		.amdhsa_kernarg_size 96
		.amdhsa_user_sgpr_count 6
		.amdhsa_user_sgpr_private_segment_buffer 1
		.amdhsa_user_sgpr_dispatch_ptr 0
		.amdhsa_user_sgpr_queue_ptr 0
		.amdhsa_user_sgpr_kernarg_segment_ptr 1
		.amdhsa_user_sgpr_dispatch_id 0
		.amdhsa_user_sgpr_flat_scratch_init 0
		.amdhsa_user_sgpr_private_segment_size 0
		.amdhsa_uses_dynamic_stack 0
		.amdhsa_system_sgpr_private_segment_wavefront_offset 0
		.amdhsa_system_sgpr_workgroup_id_x 1
		.amdhsa_system_sgpr_workgroup_id_y 0
		.amdhsa_system_sgpr_workgroup_id_z 0
		.amdhsa_system_sgpr_workgroup_info 0
		.amdhsa_system_vgpr_workitem_id 0
		.amdhsa_next_free_vgpr 17
		.amdhsa_next_free_sgpr 18
		.amdhsa_reserve_vcc 1
		.amdhsa_reserve_flat_scratch 0
		.amdhsa_float_round_mode_32 0
		.amdhsa_float_round_mode_16_64 0
		.amdhsa_float_denorm_mode_32 3
		.amdhsa_float_denorm_mode_16_64 3
		.amdhsa_dx10_clamp 1
		.amdhsa_ieee_mode 1
		.amdhsa_fp16_overflow 0
		.amdhsa_exception_fp_ieee_invalid_op 0
		.amdhsa_exception_fp_denorm_src 0
		.amdhsa_exception_fp_ieee_div_zero 0
		.amdhsa_exception_fp_ieee_overflow 0
		.amdhsa_exception_fp_ieee_underflow 0
		.amdhsa_exception_fp_ieee_inexact 0
		.amdhsa_exception_int_div_zero 0
	.end_amdhsa_kernel
	.section	.text._ZN9rocsparseL20bsrxmvn_17_32_kernelILj25EdiifddEEvT2_20rocsparse_direction_NS_24const_host_device_scalarIT0_EES1_PKS1_PKT1_SA_S7_PKT3_PKT4_S5_PT5_21rocsparse_index_base_b,"axG",@progbits,_ZN9rocsparseL20bsrxmvn_17_32_kernelILj25EdiifddEEvT2_20rocsparse_direction_NS_24const_host_device_scalarIT0_EES1_PKS1_PKT1_SA_S7_PKT3_PKT4_S5_PT5_21rocsparse_index_base_b,comdat
.Lfunc_end488:
	.size	_ZN9rocsparseL20bsrxmvn_17_32_kernelILj25EdiifddEEvT2_20rocsparse_direction_NS_24const_host_device_scalarIT0_EES1_PKS1_PKT1_SA_S7_PKT3_PKT4_S5_PT5_21rocsparse_index_base_b, .Lfunc_end488-_ZN9rocsparseL20bsrxmvn_17_32_kernelILj25EdiifddEEvT2_20rocsparse_direction_NS_24const_host_device_scalarIT0_EES1_PKS1_PKT1_SA_S7_PKT3_PKT4_S5_PT5_21rocsparse_index_base_b
                                        ; -- End function
	.set _ZN9rocsparseL20bsrxmvn_17_32_kernelILj25EdiifddEEvT2_20rocsparse_direction_NS_24const_host_device_scalarIT0_EES1_PKS1_PKT1_SA_S7_PKT3_PKT4_S5_PT5_21rocsparse_index_base_b.num_vgpr, 17
	.set _ZN9rocsparseL20bsrxmvn_17_32_kernelILj25EdiifddEEvT2_20rocsparse_direction_NS_24const_host_device_scalarIT0_EES1_PKS1_PKT1_SA_S7_PKT3_PKT4_S5_PT5_21rocsparse_index_base_b.num_agpr, 0
	.set _ZN9rocsparseL20bsrxmvn_17_32_kernelILj25EdiifddEEvT2_20rocsparse_direction_NS_24const_host_device_scalarIT0_EES1_PKS1_PKT1_SA_S7_PKT3_PKT4_S5_PT5_21rocsparse_index_base_b.numbered_sgpr, 18
	.set _ZN9rocsparseL20bsrxmvn_17_32_kernelILj25EdiifddEEvT2_20rocsparse_direction_NS_24const_host_device_scalarIT0_EES1_PKS1_PKT1_SA_S7_PKT3_PKT4_S5_PT5_21rocsparse_index_base_b.num_named_barrier, 0
	.set _ZN9rocsparseL20bsrxmvn_17_32_kernelILj25EdiifddEEvT2_20rocsparse_direction_NS_24const_host_device_scalarIT0_EES1_PKS1_PKT1_SA_S7_PKT3_PKT4_S5_PT5_21rocsparse_index_base_b.private_seg_size, 0
	.set _ZN9rocsparseL20bsrxmvn_17_32_kernelILj25EdiifddEEvT2_20rocsparse_direction_NS_24const_host_device_scalarIT0_EES1_PKS1_PKT1_SA_S7_PKT3_PKT4_S5_PT5_21rocsparse_index_base_b.uses_vcc, 1
	.set _ZN9rocsparseL20bsrxmvn_17_32_kernelILj25EdiifddEEvT2_20rocsparse_direction_NS_24const_host_device_scalarIT0_EES1_PKS1_PKT1_SA_S7_PKT3_PKT4_S5_PT5_21rocsparse_index_base_b.uses_flat_scratch, 0
	.set _ZN9rocsparseL20bsrxmvn_17_32_kernelILj25EdiifddEEvT2_20rocsparse_direction_NS_24const_host_device_scalarIT0_EES1_PKS1_PKT1_SA_S7_PKT3_PKT4_S5_PT5_21rocsparse_index_base_b.has_dyn_sized_stack, 0
	.set _ZN9rocsparseL20bsrxmvn_17_32_kernelILj25EdiifddEEvT2_20rocsparse_direction_NS_24const_host_device_scalarIT0_EES1_PKS1_PKT1_SA_S7_PKT3_PKT4_S5_PT5_21rocsparse_index_base_b.has_recursion, 0
	.set _ZN9rocsparseL20bsrxmvn_17_32_kernelILj25EdiifddEEvT2_20rocsparse_direction_NS_24const_host_device_scalarIT0_EES1_PKS1_PKT1_SA_S7_PKT3_PKT4_S5_PT5_21rocsparse_index_base_b.has_indirect_call, 0
	.section	.AMDGPU.csdata,"",@progbits
; Kernel info:
; codeLenInByte = 1344
; TotalNumSgprs: 22
; NumVgprs: 17
; ScratchSize: 0
; MemoryBound: 0
; FloatMode: 240
; IeeeMode: 1
; LDSByteSize: 5000 bytes/workgroup (compile time only)
; SGPRBlocks: 2
; VGPRBlocks: 4
; NumSGPRsForWavesPerEU: 22
; NumVGPRsForWavesPerEU: 17
; Occupancy: 10
; WaveLimiterHint : 1
; COMPUTE_PGM_RSRC2:SCRATCH_EN: 0
; COMPUTE_PGM_RSRC2:USER_SGPR: 6
; COMPUTE_PGM_RSRC2:TRAP_HANDLER: 0
; COMPUTE_PGM_RSRC2:TGID_X_EN: 1
; COMPUTE_PGM_RSRC2:TGID_Y_EN: 0
; COMPUTE_PGM_RSRC2:TGID_Z_EN: 0
; COMPUTE_PGM_RSRC2:TIDIG_COMP_CNT: 0
	.section	.text._ZN9rocsparseL20bsrxmvn_17_32_kernelILj26EdiifddEEvT2_20rocsparse_direction_NS_24const_host_device_scalarIT0_EES1_PKS1_PKT1_SA_S7_PKT3_PKT4_S5_PT5_21rocsparse_index_base_b,"axG",@progbits,_ZN9rocsparseL20bsrxmvn_17_32_kernelILj26EdiifddEEvT2_20rocsparse_direction_NS_24const_host_device_scalarIT0_EES1_PKS1_PKT1_SA_S7_PKT3_PKT4_S5_PT5_21rocsparse_index_base_b,comdat
	.globl	_ZN9rocsparseL20bsrxmvn_17_32_kernelILj26EdiifddEEvT2_20rocsparse_direction_NS_24const_host_device_scalarIT0_EES1_PKS1_PKT1_SA_S7_PKT3_PKT4_S5_PT5_21rocsparse_index_base_b ; -- Begin function _ZN9rocsparseL20bsrxmvn_17_32_kernelILj26EdiifddEEvT2_20rocsparse_direction_NS_24const_host_device_scalarIT0_EES1_PKS1_PKT1_SA_S7_PKT3_PKT4_S5_PT5_21rocsparse_index_base_b
	.p2align	8
	.type	_ZN9rocsparseL20bsrxmvn_17_32_kernelILj26EdiifddEEvT2_20rocsparse_direction_NS_24const_host_device_scalarIT0_EES1_PKS1_PKT1_SA_S7_PKT3_PKT4_S5_PT5_21rocsparse_index_base_b,@function
_ZN9rocsparseL20bsrxmvn_17_32_kernelILj26EdiifddEEvT2_20rocsparse_direction_NS_24const_host_device_scalarIT0_EES1_PKS1_PKT1_SA_S7_PKT3_PKT4_S5_PT5_21rocsparse_index_base_b: ; @_ZN9rocsparseL20bsrxmvn_17_32_kernelILj26EdiifddEEvT2_20rocsparse_direction_NS_24const_host_device_scalarIT0_EES1_PKS1_PKT1_SA_S7_PKT3_PKT4_S5_PT5_21rocsparse_index_base_b
; %bb.0:
	s_load_dwordx2 s[14:15], s[4:5], 0x58
	s_load_dwordx2 s[8:9], s[4:5], 0x8
	;; [unrolled: 1-line block ×3, first 2 shown]
	s_waitcnt lgkmcnt(0)
	s_bitcmp1_b32 s15, 0
	s_cselect_b64 s[10:11], -1, 0
	v_mov_b32_e32 v3, s8
	s_xor_b64 s[2:3], s[10:11], -1
	s_and_b64 vcc, exec, s[10:11]
	v_mov_b32_e32 v4, s9
	s_cbranch_vccnz .LBB489_2
; %bb.1:
	v_mov_b32_e32 v1, s8
	v_mov_b32_e32 v2, s9
	flat_load_dwordx2 v[3:4], v[1:2]
.LBB489_2:
	v_mov_b32_e32 v2, s1
	s_andn2_b64 vcc, exec, s[2:3]
	v_mov_b32_e32 v1, s0
	s_cbranch_vccnz .LBB489_4
; %bb.3:
	v_mov_b32_e32 v2, s1
	v_mov_b32_e32 v1, s0
	flat_load_dwordx2 v[1:2], v[1:2]
.LBB489_4:
	s_waitcnt vmcnt(0) lgkmcnt(0)
	v_cmp_neq_f64_e32 vcc, 0, v[3:4]
	v_cmp_neq_f64_e64 s[0:1], 1.0, v[1:2]
	s_or_b64 s[0:1], vcc, s[0:1]
	s_and_saveexec_b64 s[2:3], s[0:1]
	s_cbranch_execz .LBB489_41
; %bb.5:
	s_load_dwordx4 s[0:3], s[4:5], 0x18
	s_load_dwordx2 s[8:9], s[4:5], 0x28
	s_waitcnt lgkmcnt(0)
	s_cmp_eq_u64 s[0:1], 0
	s_cbranch_scc1 .LBB489_7
; %bb.6:
	s_ashr_i32 s7, s6, 31
	s_lshl_b64 s[6:7], s[6:7], 2
	s_add_u32 s0, s0, s6
	s_addc_u32 s1, s1, s7
	s_load_dword s0, s[0:1], 0x0
	s_waitcnt lgkmcnt(0)
	s_sub_i32 s6, s0, s14
.LBB489_7:
	s_load_dword s0, s[4:5], 0x4
	s_load_dwordx2 s[12:13], s[4:5], 0x50
	v_mul_u32_u24_e32 v7, 0x9d9, v0
	v_mov_b32_e32 v5, 26
	v_mul_lo_u16_sdwa v8, v7, v5 dst_sel:DWORD dst_unused:UNUSED_PAD src0_sel:WORD_1 src1_sel:DWORD
	s_waitcnt lgkmcnt(0)
	s_cmp_eq_u32 s0, 1
	s_cselect_b64 vcc, -1, 0
	s_cmp_lg_u32 s0, 1
	s_cselect_b64 s[16:17], -1, 0
	s_ashr_i32 s7, s6, 31
	s_lshl_b64 s[0:1], s[6:7], 2
	s_add_u32 s2, s2, s0
	s_addc_u32 s3, s3, s1
	s_load_dword s7, s[2:3], 0x0
	s_add_u32 s2, s2, 4
	s_addc_u32 s3, s3, 0
	s_add_u32 s0, s8, s0
	s_addc_u32 s1, s9, s1
	s_cmp_eq_u64 s[8:9], 0
	s_cselect_b32 s1, s3, s1
	s_cselect_b32 s0, s2, s0
	s_load_dword s0, s[0:1], 0x0
	v_mov_b32_e32 v5, 0
	v_mov_b32_e32 v6, 0
	v_sub_u16_e32 v12, v0, v8
	s_waitcnt lgkmcnt(0)
	s_cmp_ge_i32 s7, s0
	s_cbranch_scc1 .LBB489_12
; %bb.8:
	s_load_dwordx4 s[8:11], s[4:5], 0x30
	s_load_dwordx2 s[2:3], s[4:5], 0x40
	s_sub_i32 s4, s0, s14
	s_mov_b32 s0, 0xffff
	s_movk_i32 s1, 0x2a4
	v_and_b32_sdwa v5, s0, v7 dst_sel:DWORD dst_unused:UNUSED_PAD src0_sel:DWORD src1_sel:WORD_1
	v_subrev_u32_e32 v6, 26, v5
	v_cmp_gt_u32_e64 s[0:1], s1, v0
	s_sub_i32 s5, s7, s14
	v_cndmask_b32_e64 v5, v6, v5, s[0:1]
	s_mul_i32 s1, s5, 0xa90
	s_mul_hi_i32 s0, s5, 0xa90
	s_waitcnt lgkmcnt(0)
	s_add_u32 s1, s10, s1
	v_cndmask_b32_e32 v7, v12, v5, vcc
	s_addc_u32 s0, s11, s0
	v_lshlrev_b32_e32 v5, 2, v0
	v_mov_b32_e32 v6, s0
	v_add_co_u32_e32 v8, vcc, s1, v5
	v_addc_co_u32_e32 v9, vcc, 0, v6, vcc
	s_movk_i32 s0, 0x2a3
	v_mov_b32_e32 v5, 0
	v_cmp_lt_u32_e32 vcc, s0, v0
	v_mov_b32_e32 v6, 0
	v_cndmask_b32_e64 v13, 0, 1, vcc
	s_branch .LBB489_10
.LBB489_9:                              ;   in Loop: Header=BB489_10 Depth=1
	s_or_b64 exec, exec, s[0:1]
	s_add_i32 s5, s5, 1
	s_cmp_lt_i32 s5, s4
	s_cbranch_scc0 .LBB489_12
.LBB489_10:                             ; =>This Inner Loop Header: Depth=1
	v_add_u32_e32 v10, s5, v13
	v_cmp_gt_i32_e32 vcc, s4, v10
	s_and_saveexec_b64 s[0:1], vcc
	s_cbranch_execz .LBB489_9
; %bb.11:                               ;   in Loop: Header=BB489_10 Depth=1
	v_ashrrev_i32_e32 v11, 31, v10
	v_lshlrev_b64 v[10:11], 2, v[10:11]
	v_mov_b32_e32 v14, s9
	v_add_co_u32_e32 v10, vcc, s8, v10
	v_addc_co_u32_e32 v11, vcc, v14, v11, vcc
	global_load_dword v10, v[10:11], off
	v_mov_b32_e32 v15, s3
	global_load_dword v14, v[8:9], off
	s_waitcnt vmcnt(1)
	v_subrev_u32_e32 v10, s14, v10
	v_mad_u64_u32 v[10:11], s[10:11], v10, 26, v[7:8]
	v_ashrrev_i32_e32 v11, 31, v10
	v_lshlrev_b64 v[10:11], 3, v[10:11]
	v_add_co_u32_e32 v10, vcc, s2, v10
	v_addc_co_u32_e32 v11, vcc, v15, v11, vcc
	global_load_dwordx2 v[10:11], v[10:11], off
	s_waitcnt vmcnt(1)
	v_cvt_f64_f32_e32 v[14:15], v14
	v_add_co_u32_e32 v8, vcc, 0xa90, v8
	v_addc_co_u32_e32 v9, vcc, 0, v9, vcc
	s_waitcnt vmcnt(0)
	v_fma_f64 v[5:6], v[14:15], v[10:11], v[5:6]
	s_branch .LBB489_9
.LBB489_12:
	v_lshlrev_b32_e32 v9, 3, v0
	s_and_b64 vcc, exec, s[16:17]
	ds_write_b64 v9, v[5:6]
	s_waitcnt lgkmcnt(0)
	s_barrier
	s_cbranch_vccz .LBB489_24
; %bb.13:
	v_cmp_gt_u16_e32 vcc, 10, v12
	s_and_saveexec_b64 s[0:1], vcc
	s_cbranch_execz .LBB489_15
; %bb.14:
	ds_read2_b64 v[13:16], v9 offset1:16
	s_waitcnt lgkmcnt(0)
	v_add_f64 v[7:8], v[15:16], v[13:14]
	ds_write_b64 v9, v[7:8]
.LBB489_15:
	s_or_b64 exec, exec, s[0:1]
	v_cmp_gt_u16_e32 vcc, 8, v12
	s_waitcnt lgkmcnt(0)
	s_barrier
	s_and_saveexec_b64 s[0:1], vcc
	s_cbranch_execz .LBB489_17
; %bb.16:
	ds_read2_b64 v[13:16], v9 offset1:8
	s_waitcnt lgkmcnt(0)
	v_add_f64 v[7:8], v[15:16], v[13:14]
	ds_write_b64 v9, v[7:8]
.LBB489_17:
	s_or_b64 exec, exec, s[0:1]
	v_cmp_gt_u16_e32 vcc, 4, v12
	s_waitcnt lgkmcnt(0)
	s_barrier
	;; [unrolled: 12-line block ×3, first 2 shown]
	s_and_saveexec_b64 s[0:1], vcc
	s_cbranch_execz .LBB489_21
; %bb.20:
	ds_read2_b64 v[10:13], v9 offset1:2
	s_waitcnt lgkmcnt(0)
	v_add_f64 v[7:8], v[12:13], v[10:11]
	ds_write_b64 v9, v[7:8]
.LBB489_21:
	s_or_b64 exec, exec, s[0:1]
	v_mov_b32_e32 v8, v6
	v_cmp_gt_u32_e32 vcc, 26, v0
	v_mov_b32_e32 v7, v5
	s_waitcnt lgkmcnt(0)
	s_barrier
	s_and_saveexec_b64 s[0:1], vcc
	s_cbranch_execz .LBB489_23
; %bb.22:
	s_movk_i32 s2, 0xc8
	v_mad_u32_u24 v7, v0, s2, v9
	ds_read_b128 v[10:13], v7
	s_waitcnt lgkmcnt(0)
	v_add_f64 v[7:8], v[10:11], v[12:13]
.LBB489_23:
	s_or_b64 exec, exec, s[0:1]
	s_branch .LBB489_36
.LBB489_24:
                                        ; implicit-def: $vgpr7_vgpr8
	s_cbranch_execz .LBB489_36
; %bb.25:
	s_movk_i32 s0, 0x104
	v_cmp_gt_u32_e32 vcc, s0, v0
	s_and_saveexec_b64 s[0:1], vcc
	s_cbranch_execz .LBB489_27
; %bb.26:
	ds_read_b64 v[7:8], v9 offset:3328
	ds_read_b64 v[10:11], v9
	s_waitcnt lgkmcnt(0)
	v_add_f64 v[7:8], v[7:8], v[10:11]
	ds_write_b64 v9, v[7:8]
.LBB489_27:
	s_or_b64 exec, exec, s[0:1]
	s_movk_i32 s0, 0xd0
	v_cmp_gt_u32_e32 vcc, s0, v0
	s_waitcnt lgkmcnt(0)
	s_barrier
	s_and_saveexec_b64 s[0:1], vcc
	s_cbranch_execz .LBB489_29
; %bb.28:
	ds_read2_b64 v[10:13], v9 offset1:208
	s_waitcnt lgkmcnt(0)
	v_add_f64 v[7:8], v[12:13], v[10:11]
	ds_write_b64 v9, v[7:8]
.LBB489_29:
	s_or_b64 exec, exec, s[0:1]
	s_movk_i32 s0, 0x68
	v_cmp_gt_u32_e32 vcc, s0, v0
	s_waitcnt lgkmcnt(0)
	s_barrier
	s_and_saveexec_b64 s[0:1], vcc
	s_cbranch_execz .LBB489_31
; %bb.30:
	ds_read2_b64 v[10:13], v9 offset1:104
	s_waitcnt lgkmcnt(0)
	v_add_f64 v[7:8], v[12:13], v[10:11]
	ds_write_b64 v9, v[7:8]
.LBB489_31:
	s_or_b64 exec, exec, s[0:1]
	v_cmp_gt_u32_e32 vcc, 52, v0
	s_waitcnt lgkmcnt(0)
	s_barrier
	s_and_saveexec_b64 s[0:1], vcc
	s_cbranch_execz .LBB489_33
; %bb.32:
	ds_read2_b64 v[10:13], v9 offset1:52
	s_waitcnt lgkmcnt(0)
	v_add_f64 v[7:8], v[12:13], v[10:11]
	ds_write_b64 v9, v[7:8]
.LBB489_33:
	s_or_b64 exec, exec, s[0:1]
	v_cmp_gt_u32_e32 vcc, 26, v0
	s_waitcnt lgkmcnt(0)
	s_and_saveexec_b64 s[0:1], vcc
	s_cbranch_execz .LBB489_35
; %bb.34:
	ds_read2_b64 v[5:8], v9 offset1:26
	s_waitcnt lgkmcnt(0)
	v_add_f64 v[5:6], v[5:6], v[7:8]
.LBB489_35:
	s_or_b64 exec, exec, s[0:1]
	v_mov_b32_e32 v8, v6
	v_mov_b32_e32 v7, v5
.LBB489_36:
	v_cmp_gt_u32_e32 vcc, 26, v0
	s_and_b64 exec, exec, vcc
	s_cbranch_execz .LBB489_41
; %bb.37:
	v_cmp_eq_f64_e32 vcc, 0, v[1:2]
	v_mul_f64 v[3:4], v[3:4], v[7:8]
	s_and_saveexec_b64 s[0:1], vcc
	s_xor_b64 s[0:1], exec, s[0:1]
	s_cbranch_execz .LBB489_39
; %bb.38:
	v_mad_u64_u32 v[0:1], s[2:3], s6, 26, v[0:1]
	v_mov_b32_e32 v1, 0
	v_mov_b32_e32 v2, s13
	v_lshlrev_b64 v[0:1], 3, v[0:1]
	v_add_co_u32_e32 v0, vcc, s12, v0
	v_addc_co_u32_e32 v1, vcc, v2, v1, vcc
	global_store_dwordx2 v[0:1], v[3:4], off
                                        ; implicit-def: $vgpr0
                                        ; implicit-def: $vgpr1_vgpr2
                                        ; implicit-def: $vgpr3_vgpr4
.LBB489_39:
	s_andn2_saveexec_b64 s[0:1], s[0:1]
	s_cbranch_execz .LBB489_41
; %bb.40:
	v_mad_u64_u32 v[5:6], s[0:1], s6, 26, v[0:1]
	v_mov_b32_e32 v6, 0
	v_mov_b32_e32 v0, s13
	v_lshlrev_b64 v[5:6], 3, v[5:6]
	v_add_co_u32_e32 v5, vcc, s12, v5
	v_addc_co_u32_e32 v6, vcc, v0, v6, vcc
	global_load_dwordx2 v[7:8], v[5:6], off
	s_waitcnt vmcnt(0)
	v_fma_f64 v[0:1], v[1:2], v[7:8], v[3:4]
	global_store_dwordx2 v[5:6], v[0:1], off
.LBB489_41:
	s_endpgm
	.section	.rodata,"a",@progbits
	.p2align	6, 0x0
	.amdhsa_kernel _ZN9rocsparseL20bsrxmvn_17_32_kernelILj26EdiifddEEvT2_20rocsparse_direction_NS_24const_host_device_scalarIT0_EES1_PKS1_PKT1_SA_S7_PKT3_PKT4_S5_PT5_21rocsparse_index_base_b
		.amdhsa_group_segment_fixed_size 5408
		.amdhsa_private_segment_fixed_size 0
		.amdhsa_kernarg_size 96
		.amdhsa_user_sgpr_count 6
		.amdhsa_user_sgpr_private_segment_buffer 1
		.amdhsa_user_sgpr_dispatch_ptr 0
		.amdhsa_user_sgpr_queue_ptr 0
		.amdhsa_user_sgpr_kernarg_segment_ptr 1
		.amdhsa_user_sgpr_dispatch_id 0
		.amdhsa_user_sgpr_flat_scratch_init 0
		.amdhsa_user_sgpr_private_segment_size 0
		.amdhsa_uses_dynamic_stack 0
		.amdhsa_system_sgpr_private_segment_wavefront_offset 0
		.amdhsa_system_sgpr_workgroup_id_x 1
		.amdhsa_system_sgpr_workgroup_id_y 0
		.amdhsa_system_sgpr_workgroup_id_z 0
		.amdhsa_system_sgpr_workgroup_info 0
		.amdhsa_system_vgpr_workitem_id 0
		.amdhsa_next_free_vgpr 25
		.amdhsa_next_free_sgpr 61
		.amdhsa_reserve_vcc 1
		.amdhsa_reserve_flat_scratch 0
		.amdhsa_float_round_mode_32 0
		.amdhsa_float_round_mode_16_64 0
		.amdhsa_float_denorm_mode_32 3
		.amdhsa_float_denorm_mode_16_64 3
		.amdhsa_dx10_clamp 1
		.amdhsa_ieee_mode 1
		.amdhsa_fp16_overflow 0
		.amdhsa_exception_fp_ieee_invalid_op 0
		.amdhsa_exception_fp_denorm_src 0
		.amdhsa_exception_fp_ieee_div_zero 0
		.amdhsa_exception_fp_ieee_overflow 0
		.amdhsa_exception_fp_ieee_underflow 0
		.amdhsa_exception_fp_ieee_inexact 0
		.amdhsa_exception_int_div_zero 0
	.end_amdhsa_kernel
	.section	.text._ZN9rocsparseL20bsrxmvn_17_32_kernelILj26EdiifddEEvT2_20rocsparse_direction_NS_24const_host_device_scalarIT0_EES1_PKS1_PKT1_SA_S7_PKT3_PKT4_S5_PT5_21rocsparse_index_base_b,"axG",@progbits,_ZN9rocsparseL20bsrxmvn_17_32_kernelILj26EdiifddEEvT2_20rocsparse_direction_NS_24const_host_device_scalarIT0_EES1_PKS1_PKT1_SA_S7_PKT3_PKT4_S5_PT5_21rocsparse_index_base_b,comdat
.Lfunc_end489:
	.size	_ZN9rocsparseL20bsrxmvn_17_32_kernelILj26EdiifddEEvT2_20rocsparse_direction_NS_24const_host_device_scalarIT0_EES1_PKS1_PKT1_SA_S7_PKT3_PKT4_S5_PT5_21rocsparse_index_base_b, .Lfunc_end489-_ZN9rocsparseL20bsrxmvn_17_32_kernelILj26EdiifddEEvT2_20rocsparse_direction_NS_24const_host_device_scalarIT0_EES1_PKS1_PKT1_SA_S7_PKT3_PKT4_S5_PT5_21rocsparse_index_base_b
                                        ; -- End function
	.set _ZN9rocsparseL20bsrxmvn_17_32_kernelILj26EdiifddEEvT2_20rocsparse_direction_NS_24const_host_device_scalarIT0_EES1_PKS1_PKT1_SA_S7_PKT3_PKT4_S5_PT5_21rocsparse_index_base_b.num_vgpr, 17
	.set _ZN9rocsparseL20bsrxmvn_17_32_kernelILj26EdiifddEEvT2_20rocsparse_direction_NS_24const_host_device_scalarIT0_EES1_PKS1_PKT1_SA_S7_PKT3_PKT4_S5_PT5_21rocsparse_index_base_b.num_agpr, 0
	.set _ZN9rocsparseL20bsrxmvn_17_32_kernelILj26EdiifddEEvT2_20rocsparse_direction_NS_24const_host_device_scalarIT0_EES1_PKS1_PKT1_SA_S7_PKT3_PKT4_S5_PT5_21rocsparse_index_base_b.numbered_sgpr, 18
	.set _ZN9rocsparseL20bsrxmvn_17_32_kernelILj26EdiifddEEvT2_20rocsparse_direction_NS_24const_host_device_scalarIT0_EES1_PKS1_PKT1_SA_S7_PKT3_PKT4_S5_PT5_21rocsparse_index_base_b.num_named_barrier, 0
	.set _ZN9rocsparseL20bsrxmvn_17_32_kernelILj26EdiifddEEvT2_20rocsparse_direction_NS_24const_host_device_scalarIT0_EES1_PKS1_PKT1_SA_S7_PKT3_PKT4_S5_PT5_21rocsparse_index_base_b.private_seg_size, 0
	.set _ZN9rocsparseL20bsrxmvn_17_32_kernelILj26EdiifddEEvT2_20rocsparse_direction_NS_24const_host_device_scalarIT0_EES1_PKS1_PKT1_SA_S7_PKT3_PKT4_S5_PT5_21rocsparse_index_base_b.uses_vcc, 1
	.set _ZN9rocsparseL20bsrxmvn_17_32_kernelILj26EdiifddEEvT2_20rocsparse_direction_NS_24const_host_device_scalarIT0_EES1_PKS1_PKT1_SA_S7_PKT3_PKT4_S5_PT5_21rocsparse_index_base_b.uses_flat_scratch, 0
	.set _ZN9rocsparseL20bsrxmvn_17_32_kernelILj26EdiifddEEvT2_20rocsparse_direction_NS_24const_host_device_scalarIT0_EES1_PKS1_PKT1_SA_S7_PKT3_PKT4_S5_PT5_21rocsparse_index_base_b.has_dyn_sized_stack, 0
	.set _ZN9rocsparseL20bsrxmvn_17_32_kernelILj26EdiifddEEvT2_20rocsparse_direction_NS_24const_host_device_scalarIT0_EES1_PKS1_PKT1_SA_S7_PKT3_PKT4_S5_PT5_21rocsparse_index_base_b.has_recursion, 0
	.set _ZN9rocsparseL20bsrxmvn_17_32_kernelILj26EdiifddEEvT2_20rocsparse_direction_NS_24const_host_device_scalarIT0_EES1_PKS1_PKT1_SA_S7_PKT3_PKT4_S5_PT5_21rocsparse_index_base_b.has_indirect_call, 0
	.section	.AMDGPU.csdata,"",@progbits
; Kernel info:
; codeLenInByte = 1344
; TotalNumSgprs: 22
; NumVgprs: 17
; ScratchSize: 0
; MemoryBound: 0
; FloatMode: 240
; IeeeMode: 1
; LDSByteSize: 5408 bytes/workgroup (compile time only)
; SGPRBlocks: 8
; VGPRBlocks: 6
; NumSGPRsForWavesPerEU: 65
; NumVGPRsForWavesPerEU: 25
; Occupancy: 9
; WaveLimiterHint : 1
; COMPUTE_PGM_RSRC2:SCRATCH_EN: 0
; COMPUTE_PGM_RSRC2:USER_SGPR: 6
; COMPUTE_PGM_RSRC2:TRAP_HANDLER: 0
; COMPUTE_PGM_RSRC2:TGID_X_EN: 1
; COMPUTE_PGM_RSRC2:TGID_Y_EN: 0
; COMPUTE_PGM_RSRC2:TGID_Z_EN: 0
; COMPUTE_PGM_RSRC2:TIDIG_COMP_CNT: 0
	.section	.text._ZN9rocsparseL20bsrxmvn_17_32_kernelILj27EdiifddEEvT2_20rocsparse_direction_NS_24const_host_device_scalarIT0_EES1_PKS1_PKT1_SA_S7_PKT3_PKT4_S5_PT5_21rocsparse_index_base_b,"axG",@progbits,_ZN9rocsparseL20bsrxmvn_17_32_kernelILj27EdiifddEEvT2_20rocsparse_direction_NS_24const_host_device_scalarIT0_EES1_PKS1_PKT1_SA_S7_PKT3_PKT4_S5_PT5_21rocsparse_index_base_b,comdat
	.globl	_ZN9rocsparseL20bsrxmvn_17_32_kernelILj27EdiifddEEvT2_20rocsparse_direction_NS_24const_host_device_scalarIT0_EES1_PKS1_PKT1_SA_S7_PKT3_PKT4_S5_PT5_21rocsparse_index_base_b ; -- Begin function _ZN9rocsparseL20bsrxmvn_17_32_kernelILj27EdiifddEEvT2_20rocsparse_direction_NS_24const_host_device_scalarIT0_EES1_PKS1_PKT1_SA_S7_PKT3_PKT4_S5_PT5_21rocsparse_index_base_b
	.p2align	8
	.type	_ZN9rocsparseL20bsrxmvn_17_32_kernelILj27EdiifddEEvT2_20rocsparse_direction_NS_24const_host_device_scalarIT0_EES1_PKS1_PKT1_SA_S7_PKT3_PKT4_S5_PT5_21rocsparse_index_base_b,@function
_ZN9rocsparseL20bsrxmvn_17_32_kernelILj27EdiifddEEvT2_20rocsparse_direction_NS_24const_host_device_scalarIT0_EES1_PKS1_PKT1_SA_S7_PKT3_PKT4_S5_PT5_21rocsparse_index_base_b: ; @_ZN9rocsparseL20bsrxmvn_17_32_kernelILj27EdiifddEEvT2_20rocsparse_direction_NS_24const_host_device_scalarIT0_EES1_PKS1_PKT1_SA_S7_PKT3_PKT4_S5_PT5_21rocsparse_index_base_b
; %bb.0:
	s_load_dwordx2 s[14:15], s[4:5], 0x58
	s_load_dwordx2 s[8:9], s[4:5], 0x8
	s_load_dwordx2 s[0:1], s[4:5], 0x48
	s_waitcnt lgkmcnt(0)
	s_bitcmp1_b32 s15, 0
	s_cselect_b64 s[10:11], -1, 0
	v_mov_b32_e32 v3, s8
	s_xor_b64 s[2:3], s[10:11], -1
	s_and_b64 vcc, exec, s[10:11]
	v_mov_b32_e32 v4, s9
	s_cbranch_vccnz .LBB490_2
; %bb.1:
	v_mov_b32_e32 v1, s8
	v_mov_b32_e32 v2, s9
	flat_load_dwordx2 v[3:4], v[1:2]
.LBB490_2:
	v_mov_b32_e32 v2, s1
	s_andn2_b64 vcc, exec, s[2:3]
	v_mov_b32_e32 v1, s0
	s_cbranch_vccnz .LBB490_4
; %bb.3:
	v_mov_b32_e32 v2, s1
	v_mov_b32_e32 v1, s0
	flat_load_dwordx2 v[1:2], v[1:2]
.LBB490_4:
	s_waitcnt vmcnt(0) lgkmcnt(0)
	v_cmp_neq_f64_e32 vcc, 0, v[3:4]
	v_cmp_neq_f64_e64 s[0:1], 1.0, v[1:2]
	s_or_b64 s[0:1], vcc, s[0:1]
	s_and_saveexec_b64 s[2:3], s[0:1]
	s_cbranch_execz .LBB490_41
; %bb.5:
	s_load_dwordx4 s[0:3], s[4:5], 0x18
	s_load_dwordx2 s[8:9], s[4:5], 0x28
	s_waitcnt lgkmcnt(0)
	s_cmp_eq_u64 s[0:1], 0
	s_cbranch_scc1 .LBB490_7
; %bb.6:
	s_ashr_i32 s7, s6, 31
	s_lshl_b64 s[6:7], s[6:7], 2
	s_add_u32 s0, s0, s6
	s_addc_u32 s1, s1, s7
	s_load_dword s0, s[0:1], 0x0
	s_waitcnt lgkmcnt(0)
	s_sub_i32 s6, s0, s14
.LBB490_7:
	s_load_dword s0, s[4:5], 0x4
	s_load_dwordx2 s[12:13], s[4:5], 0x50
	v_mul_u32_u24_e32 v7, 0x97c, v0
	v_mov_b32_e32 v5, 27
	v_mul_lo_u16_sdwa v8, v7, v5 dst_sel:DWORD dst_unused:UNUSED_PAD src0_sel:WORD_1 src1_sel:DWORD
	s_waitcnt lgkmcnt(0)
	s_cmp_eq_u32 s0, 1
	s_cselect_b64 vcc, -1, 0
	s_cmp_lg_u32 s0, 1
	s_cselect_b64 s[16:17], -1, 0
	s_ashr_i32 s7, s6, 31
	s_lshl_b64 s[0:1], s[6:7], 2
	s_add_u32 s2, s2, s0
	s_addc_u32 s3, s3, s1
	s_load_dword s7, s[2:3], 0x0
	s_add_u32 s2, s2, 4
	s_addc_u32 s3, s3, 0
	s_add_u32 s0, s8, s0
	s_addc_u32 s1, s9, s1
	s_cmp_eq_u64 s[8:9], 0
	s_cselect_b32 s1, s3, s1
	s_cselect_b32 s0, s2, s0
	s_load_dword s0, s[0:1], 0x0
	v_mov_b32_e32 v5, 0
	v_mov_b32_e32 v6, 0
	v_sub_u16_e32 v12, v0, v8
	s_waitcnt lgkmcnt(0)
	s_cmp_ge_i32 s7, s0
	s_cbranch_scc1 .LBB490_12
; %bb.8:
	s_load_dwordx4 s[8:11], s[4:5], 0x30
	s_load_dwordx2 s[2:3], s[4:5], 0x40
	s_sub_i32 s4, s0, s14
	s_mov_b32 s0, 0xffff
	s_movk_i32 s1, 0x2d9
	v_and_b32_sdwa v5, s0, v7 dst_sel:DWORD dst_unused:UNUSED_PAD src0_sel:DWORD src1_sel:WORD_1
	v_subrev_u32_e32 v6, 27, v5
	v_cmp_gt_u32_e64 s[0:1], s1, v0
	s_sub_i32 s5, s7, s14
	v_cndmask_b32_e64 v5, v6, v5, s[0:1]
	s_mul_i32 s1, s5, 0xb64
	s_mul_hi_i32 s0, s5, 0xb64
	s_waitcnt lgkmcnt(0)
	s_add_u32 s1, s10, s1
	v_cndmask_b32_e32 v7, v12, v5, vcc
	s_addc_u32 s0, s11, s0
	v_lshlrev_b32_e32 v5, 2, v0
	v_mov_b32_e32 v6, s0
	v_add_co_u32_e32 v8, vcc, s1, v5
	v_addc_co_u32_e32 v9, vcc, 0, v6, vcc
	s_movk_i32 s0, 0x2d8
	v_mov_b32_e32 v5, 0
	v_cmp_lt_u32_e32 vcc, s0, v0
	v_mov_b32_e32 v6, 0
	v_cndmask_b32_e64 v13, 0, 1, vcc
	s_branch .LBB490_10
.LBB490_9:                              ;   in Loop: Header=BB490_10 Depth=1
	s_or_b64 exec, exec, s[0:1]
	s_add_i32 s5, s5, 1
	s_cmp_lt_i32 s5, s4
	s_cbranch_scc0 .LBB490_12
.LBB490_10:                             ; =>This Inner Loop Header: Depth=1
	v_add_u32_e32 v10, s5, v13
	v_cmp_gt_i32_e32 vcc, s4, v10
	s_and_saveexec_b64 s[0:1], vcc
	s_cbranch_execz .LBB490_9
; %bb.11:                               ;   in Loop: Header=BB490_10 Depth=1
	v_ashrrev_i32_e32 v11, 31, v10
	v_lshlrev_b64 v[10:11], 2, v[10:11]
	v_mov_b32_e32 v14, s9
	v_add_co_u32_e32 v10, vcc, s8, v10
	v_addc_co_u32_e32 v11, vcc, v14, v11, vcc
	global_load_dword v10, v[10:11], off
	v_mov_b32_e32 v15, s3
	global_load_dword v14, v[8:9], off
	s_waitcnt vmcnt(1)
	v_subrev_u32_e32 v10, s14, v10
	v_mad_u64_u32 v[10:11], s[10:11], v10, 27, v[7:8]
	v_ashrrev_i32_e32 v11, 31, v10
	v_lshlrev_b64 v[10:11], 3, v[10:11]
	v_add_co_u32_e32 v10, vcc, s2, v10
	v_addc_co_u32_e32 v11, vcc, v15, v11, vcc
	global_load_dwordx2 v[10:11], v[10:11], off
	s_waitcnt vmcnt(1)
	v_cvt_f64_f32_e32 v[14:15], v14
	v_add_co_u32_e32 v8, vcc, 0xb64, v8
	v_addc_co_u32_e32 v9, vcc, 0, v9, vcc
	s_waitcnt vmcnt(0)
	v_fma_f64 v[5:6], v[14:15], v[10:11], v[5:6]
	s_branch .LBB490_9
.LBB490_12:
	v_lshlrev_b32_e32 v9, 3, v0
	s_and_b64 vcc, exec, s[16:17]
	ds_write_b64 v9, v[5:6]
	s_waitcnt lgkmcnt(0)
	s_barrier
	s_cbranch_vccz .LBB490_24
; %bb.13:
	v_cmp_gt_u16_e32 vcc, 11, v12
	s_and_saveexec_b64 s[0:1], vcc
	s_cbranch_execz .LBB490_15
; %bb.14:
	ds_read2_b64 v[13:16], v9 offset1:16
	s_waitcnt lgkmcnt(0)
	v_add_f64 v[7:8], v[15:16], v[13:14]
	ds_write_b64 v9, v[7:8]
.LBB490_15:
	s_or_b64 exec, exec, s[0:1]
	v_cmp_gt_u16_e32 vcc, 8, v12
	s_waitcnt lgkmcnt(0)
	s_barrier
	s_and_saveexec_b64 s[0:1], vcc
	s_cbranch_execz .LBB490_17
; %bb.16:
	ds_read2_b64 v[13:16], v9 offset1:8
	s_waitcnt lgkmcnt(0)
	v_add_f64 v[7:8], v[15:16], v[13:14]
	ds_write_b64 v9, v[7:8]
.LBB490_17:
	s_or_b64 exec, exec, s[0:1]
	v_cmp_gt_u16_e32 vcc, 4, v12
	s_waitcnt lgkmcnt(0)
	s_barrier
	;; [unrolled: 12-line block ×3, first 2 shown]
	s_and_saveexec_b64 s[0:1], vcc
	s_cbranch_execz .LBB490_21
; %bb.20:
	ds_read2_b64 v[10:13], v9 offset1:2
	s_waitcnt lgkmcnt(0)
	v_add_f64 v[7:8], v[12:13], v[10:11]
	ds_write_b64 v9, v[7:8]
.LBB490_21:
	s_or_b64 exec, exec, s[0:1]
	v_mov_b32_e32 v8, v6
	v_cmp_gt_u32_e32 vcc, 27, v0
	v_mov_b32_e32 v7, v5
	s_waitcnt lgkmcnt(0)
	s_barrier
	s_and_saveexec_b64 s[0:1], vcc
	s_cbranch_execz .LBB490_23
; %bb.22:
	s_movk_i32 s2, 0xd0
	v_mad_u32_u24 v7, v0, s2, v9
	ds_read2_b64 v[10:13], v7 offset1:1
	s_waitcnt lgkmcnt(0)
	v_add_f64 v[7:8], v[10:11], v[12:13]
.LBB490_23:
	s_or_b64 exec, exec, s[0:1]
	s_branch .LBB490_36
.LBB490_24:
                                        ; implicit-def: $vgpr7_vgpr8
	s_cbranch_execz .LBB490_36
; %bb.25:
	s_movk_i32 s0, 0x129
	v_cmp_gt_u32_e32 vcc, s0, v0
	s_and_saveexec_b64 s[0:1], vcc
	s_cbranch_execz .LBB490_27
; %bb.26:
	ds_read_b64 v[7:8], v9 offset:3456
	ds_read_b64 v[10:11], v9
	s_waitcnt lgkmcnt(0)
	v_add_f64 v[7:8], v[7:8], v[10:11]
	ds_write_b64 v9, v[7:8]
.LBB490_27:
	s_or_b64 exec, exec, s[0:1]
	s_movk_i32 s0, 0xd8
	v_cmp_gt_u32_e32 vcc, s0, v0
	s_waitcnt lgkmcnt(0)
	s_barrier
	s_and_saveexec_b64 s[0:1], vcc
	s_cbranch_execz .LBB490_29
; %bb.28:
	ds_read2_b64 v[10:13], v9 offset1:216
	s_waitcnt lgkmcnt(0)
	v_add_f64 v[7:8], v[12:13], v[10:11]
	ds_write_b64 v9, v[7:8]
.LBB490_29:
	s_or_b64 exec, exec, s[0:1]
	s_movk_i32 s0, 0x6c
	v_cmp_gt_u32_e32 vcc, s0, v0
	s_waitcnt lgkmcnt(0)
	s_barrier
	s_and_saveexec_b64 s[0:1], vcc
	s_cbranch_execz .LBB490_31
; %bb.30:
	ds_read2_b64 v[10:13], v9 offset1:108
	s_waitcnt lgkmcnt(0)
	v_add_f64 v[7:8], v[12:13], v[10:11]
	ds_write_b64 v9, v[7:8]
.LBB490_31:
	s_or_b64 exec, exec, s[0:1]
	v_cmp_gt_u32_e32 vcc, 54, v0
	s_waitcnt lgkmcnt(0)
	s_barrier
	s_and_saveexec_b64 s[0:1], vcc
	s_cbranch_execz .LBB490_33
; %bb.32:
	ds_read2_b64 v[10:13], v9 offset1:54
	s_waitcnt lgkmcnt(0)
	v_add_f64 v[7:8], v[12:13], v[10:11]
	ds_write_b64 v9, v[7:8]
.LBB490_33:
	s_or_b64 exec, exec, s[0:1]
	v_cmp_gt_u32_e32 vcc, 27, v0
	s_waitcnt lgkmcnt(0)
	s_and_saveexec_b64 s[0:1], vcc
	s_cbranch_execz .LBB490_35
; %bb.34:
	ds_read2_b64 v[5:8], v9 offset1:27
	s_waitcnt lgkmcnt(0)
	v_add_f64 v[5:6], v[5:6], v[7:8]
.LBB490_35:
	s_or_b64 exec, exec, s[0:1]
	v_mov_b32_e32 v8, v6
	v_mov_b32_e32 v7, v5
.LBB490_36:
	v_cmp_gt_u32_e32 vcc, 27, v0
	s_and_b64 exec, exec, vcc
	s_cbranch_execz .LBB490_41
; %bb.37:
	v_cmp_eq_f64_e32 vcc, 0, v[1:2]
	v_mul_f64 v[3:4], v[3:4], v[7:8]
	s_and_saveexec_b64 s[0:1], vcc
	s_xor_b64 s[0:1], exec, s[0:1]
	s_cbranch_execz .LBB490_39
; %bb.38:
	v_mad_u64_u32 v[0:1], s[2:3], s6, 27, v[0:1]
	v_mov_b32_e32 v1, 0
	v_mov_b32_e32 v2, s13
	v_lshlrev_b64 v[0:1], 3, v[0:1]
	v_add_co_u32_e32 v0, vcc, s12, v0
	v_addc_co_u32_e32 v1, vcc, v2, v1, vcc
	global_store_dwordx2 v[0:1], v[3:4], off
                                        ; implicit-def: $vgpr0
                                        ; implicit-def: $vgpr1_vgpr2
                                        ; implicit-def: $vgpr3_vgpr4
.LBB490_39:
	s_andn2_saveexec_b64 s[0:1], s[0:1]
	s_cbranch_execz .LBB490_41
; %bb.40:
	v_mad_u64_u32 v[5:6], s[0:1], s6, 27, v[0:1]
	v_mov_b32_e32 v6, 0
	v_mov_b32_e32 v0, s13
	v_lshlrev_b64 v[5:6], 3, v[5:6]
	v_add_co_u32_e32 v5, vcc, s12, v5
	v_addc_co_u32_e32 v6, vcc, v0, v6, vcc
	global_load_dwordx2 v[7:8], v[5:6], off
	s_waitcnt vmcnt(0)
	v_fma_f64 v[0:1], v[1:2], v[7:8], v[3:4]
	global_store_dwordx2 v[5:6], v[0:1], off
.LBB490_41:
	s_endpgm
	.section	.rodata,"a",@progbits
	.p2align	6, 0x0
	.amdhsa_kernel _ZN9rocsparseL20bsrxmvn_17_32_kernelILj27EdiifddEEvT2_20rocsparse_direction_NS_24const_host_device_scalarIT0_EES1_PKS1_PKT1_SA_S7_PKT3_PKT4_S5_PT5_21rocsparse_index_base_b
		.amdhsa_group_segment_fixed_size 5832
		.amdhsa_private_segment_fixed_size 0
		.amdhsa_kernarg_size 96
		.amdhsa_user_sgpr_count 6
		.amdhsa_user_sgpr_private_segment_buffer 1
		.amdhsa_user_sgpr_dispatch_ptr 0
		.amdhsa_user_sgpr_queue_ptr 0
		.amdhsa_user_sgpr_kernarg_segment_ptr 1
		.amdhsa_user_sgpr_dispatch_id 0
		.amdhsa_user_sgpr_flat_scratch_init 0
		.amdhsa_user_sgpr_private_segment_size 0
		.amdhsa_uses_dynamic_stack 0
		.amdhsa_system_sgpr_private_segment_wavefront_offset 0
		.amdhsa_system_sgpr_workgroup_id_x 1
		.amdhsa_system_sgpr_workgroup_id_y 0
		.amdhsa_system_sgpr_workgroup_id_z 0
		.amdhsa_system_sgpr_workgroup_info 0
		.amdhsa_system_vgpr_workitem_id 0
		.amdhsa_next_free_vgpr 25
		.amdhsa_next_free_sgpr 61
		.amdhsa_reserve_vcc 1
		.amdhsa_reserve_flat_scratch 0
		.amdhsa_float_round_mode_32 0
		.amdhsa_float_round_mode_16_64 0
		.amdhsa_float_denorm_mode_32 3
		.amdhsa_float_denorm_mode_16_64 3
		.amdhsa_dx10_clamp 1
		.amdhsa_ieee_mode 1
		.amdhsa_fp16_overflow 0
		.amdhsa_exception_fp_ieee_invalid_op 0
		.amdhsa_exception_fp_denorm_src 0
		.amdhsa_exception_fp_ieee_div_zero 0
		.amdhsa_exception_fp_ieee_overflow 0
		.amdhsa_exception_fp_ieee_underflow 0
		.amdhsa_exception_fp_ieee_inexact 0
		.amdhsa_exception_int_div_zero 0
	.end_amdhsa_kernel
	.section	.text._ZN9rocsparseL20bsrxmvn_17_32_kernelILj27EdiifddEEvT2_20rocsparse_direction_NS_24const_host_device_scalarIT0_EES1_PKS1_PKT1_SA_S7_PKT3_PKT4_S5_PT5_21rocsparse_index_base_b,"axG",@progbits,_ZN9rocsparseL20bsrxmvn_17_32_kernelILj27EdiifddEEvT2_20rocsparse_direction_NS_24const_host_device_scalarIT0_EES1_PKS1_PKT1_SA_S7_PKT3_PKT4_S5_PT5_21rocsparse_index_base_b,comdat
.Lfunc_end490:
	.size	_ZN9rocsparseL20bsrxmvn_17_32_kernelILj27EdiifddEEvT2_20rocsparse_direction_NS_24const_host_device_scalarIT0_EES1_PKS1_PKT1_SA_S7_PKT3_PKT4_S5_PT5_21rocsparse_index_base_b, .Lfunc_end490-_ZN9rocsparseL20bsrxmvn_17_32_kernelILj27EdiifddEEvT2_20rocsparse_direction_NS_24const_host_device_scalarIT0_EES1_PKS1_PKT1_SA_S7_PKT3_PKT4_S5_PT5_21rocsparse_index_base_b
                                        ; -- End function
	.set _ZN9rocsparseL20bsrxmvn_17_32_kernelILj27EdiifddEEvT2_20rocsparse_direction_NS_24const_host_device_scalarIT0_EES1_PKS1_PKT1_SA_S7_PKT3_PKT4_S5_PT5_21rocsparse_index_base_b.num_vgpr, 17
	.set _ZN9rocsparseL20bsrxmvn_17_32_kernelILj27EdiifddEEvT2_20rocsparse_direction_NS_24const_host_device_scalarIT0_EES1_PKS1_PKT1_SA_S7_PKT3_PKT4_S5_PT5_21rocsparse_index_base_b.num_agpr, 0
	.set _ZN9rocsparseL20bsrxmvn_17_32_kernelILj27EdiifddEEvT2_20rocsparse_direction_NS_24const_host_device_scalarIT0_EES1_PKS1_PKT1_SA_S7_PKT3_PKT4_S5_PT5_21rocsparse_index_base_b.numbered_sgpr, 18
	.set _ZN9rocsparseL20bsrxmvn_17_32_kernelILj27EdiifddEEvT2_20rocsparse_direction_NS_24const_host_device_scalarIT0_EES1_PKS1_PKT1_SA_S7_PKT3_PKT4_S5_PT5_21rocsparse_index_base_b.num_named_barrier, 0
	.set _ZN9rocsparseL20bsrxmvn_17_32_kernelILj27EdiifddEEvT2_20rocsparse_direction_NS_24const_host_device_scalarIT0_EES1_PKS1_PKT1_SA_S7_PKT3_PKT4_S5_PT5_21rocsparse_index_base_b.private_seg_size, 0
	.set _ZN9rocsparseL20bsrxmvn_17_32_kernelILj27EdiifddEEvT2_20rocsparse_direction_NS_24const_host_device_scalarIT0_EES1_PKS1_PKT1_SA_S7_PKT3_PKT4_S5_PT5_21rocsparse_index_base_b.uses_vcc, 1
	.set _ZN9rocsparseL20bsrxmvn_17_32_kernelILj27EdiifddEEvT2_20rocsparse_direction_NS_24const_host_device_scalarIT0_EES1_PKS1_PKT1_SA_S7_PKT3_PKT4_S5_PT5_21rocsparse_index_base_b.uses_flat_scratch, 0
	.set _ZN9rocsparseL20bsrxmvn_17_32_kernelILj27EdiifddEEvT2_20rocsparse_direction_NS_24const_host_device_scalarIT0_EES1_PKS1_PKT1_SA_S7_PKT3_PKT4_S5_PT5_21rocsparse_index_base_b.has_dyn_sized_stack, 0
	.set _ZN9rocsparseL20bsrxmvn_17_32_kernelILj27EdiifddEEvT2_20rocsparse_direction_NS_24const_host_device_scalarIT0_EES1_PKS1_PKT1_SA_S7_PKT3_PKT4_S5_PT5_21rocsparse_index_base_b.has_recursion, 0
	.set _ZN9rocsparseL20bsrxmvn_17_32_kernelILj27EdiifddEEvT2_20rocsparse_direction_NS_24const_host_device_scalarIT0_EES1_PKS1_PKT1_SA_S7_PKT3_PKT4_S5_PT5_21rocsparse_index_base_b.has_indirect_call, 0
	.section	.AMDGPU.csdata,"",@progbits
; Kernel info:
; codeLenInByte = 1344
; TotalNumSgprs: 22
; NumVgprs: 17
; ScratchSize: 0
; MemoryBound: 0
; FloatMode: 240
; IeeeMode: 1
; LDSByteSize: 5832 bytes/workgroup (compile time only)
; SGPRBlocks: 8
; VGPRBlocks: 6
; NumSGPRsForWavesPerEU: 65
; NumVGPRsForWavesPerEU: 25
; Occupancy: 9
; WaveLimiterHint : 1
; COMPUTE_PGM_RSRC2:SCRATCH_EN: 0
; COMPUTE_PGM_RSRC2:USER_SGPR: 6
; COMPUTE_PGM_RSRC2:TRAP_HANDLER: 0
; COMPUTE_PGM_RSRC2:TGID_X_EN: 1
; COMPUTE_PGM_RSRC2:TGID_Y_EN: 0
; COMPUTE_PGM_RSRC2:TGID_Z_EN: 0
; COMPUTE_PGM_RSRC2:TIDIG_COMP_CNT: 0
	.section	.text._ZN9rocsparseL20bsrxmvn_17_32_kernelILj28EdiifddEEvT2_20rocsparse_direction_NS_24const_host_device_scalarIT0_EES1_PKS1_PKT1_SA_S7_PKT3_PKT4_S5_PT5_21rocsparse_index_base_b,"axG",@progbits,_ZN9rocsparseL20bsrxmvn_17_32_kernelILj28EdiifddEEvT2_20rocsparse_direction_NS_24const_host_device_scalarIT0_EES1_PKS1_PKT1_SA_S7_PKT3_PKT4_S5_PT5_21rocsparse_index_base_b,comdat
	.globl	_ZN9rocsparseL20bsrxmvn_17_32_kernelILj28EdiifddEEvT2_20rocsparse_direction_NS_24const_host_device_scalarIT0_EES1_PKS1_PKT1_SA_S7_PKT3_PKT4_S5_PT5_21rocsparse_index_base_b ; -- Begin function _ZN9rocsparseL20bsrxmvn_17_32_kernelILj28EdiifddEEvT2_20rocsparse_direction_NS_24const_host_device_scalarIT0_EES1_PKS1_PKT1_SA_S7_PKT3_PKT4_S5_PT5_21rocsparse_index_base_b
	.p2align	8
	.type	_ZN9rocsparseL20bsrxmvn_17_32_kernelILj28EdiifddEEvT2_20rocsparse_direction_NS_24const_host_device_scalarIT0_EES1_PKS1_PKT1_SA_S7_PKT3_PKT4_S5_PT5_21rocsparse_index_base_b,@function
_ZN9rocsparseL20bsrxmvn_17_32_kernelILj28EdiifddEEvT2_20rocsparse_direction_NS_24const_host_device_scalarIT0_EES1_PKS1_PKT1_SA_S7_PKT3_PKT4_S5_PT5_21rocsparse_index_base_b: ; @_ZN9rocsparseL20bsrxmvn_17_32_kernelILj28EdiifddEEvT2_20rocsparse_direction_NS_24const_host_device_scalarIT0_EES1_PKS1_PKT1_SA_S7_PKT3_PKT4_S5_PT5_21rocsparse_index_base_b
; %bb.0:
	s_load_dwordx2 s[14:15], s[4:5], 0x58
	s_load_dwordx2 s[8:9], s[4:5], 0x8
	;; [unrolled: 1-line block ×3, first 2 shown]
	s_waitcnt lgkmcnt(0)
	s_bitcmp1_b32 s15, 0
	s_cselect_b64 s[10:11], -1, 0
	v_mov_b32_e32 v3, s8
	s_xor_b64 s[2:3], s[10:11], -1
	s_and_b64 vcc, exec, s[10:11]
	v_mov_b32_e32 v4, s9
	s_cbranch_vccnz .LBB491_2
; %bb.1:
	v_mov_b32_e32 v1, s8
	v_mov_b32_e32 v2, s9
	flat_load_dwordx2 v[3:4], v[1:2]
.LBB491_2:
	v_mov_b32_e32 v2, s1
	s_andn2_b64 vcc, exec, s[2:3]
	v_mov_b32_e32 v1, s0
	s_cbranch_vccnz .LBB491_4
; %bb.3:
	v_mov_b32_e32 v2, s1
	v_mov_b32_e32 v1, s0
	flat_load_dwordx2 v[1:2], v[1:2]
.LBB491_4:
	s_waitcnt vmcnt(0) lgkmcnt(0)
	v_cmp_neq_f64_e32 vcc, 0, v[3:4]
	v_cmp_neq_f64_e64 s[0:1], 1.0, v[1:2]
	s_or_b64 s[0:1], vcc, s[0:1]
	s_and_saveexec_b64 s[2:3], s[0:1]
	s_cbranch_execz .LBB491_41
; %bb.5:
	s_load_dwordx4 s[0:3], s[4:5], 0x18
	s_load_dwordx2 s[8:9], s[4:5], 0x28
	s_waitcnt lgkmcnt(0)
	s_cmp_eq_u64 s[0:1], 0
	s_cbranch_scc1 .LBB491_7
; %bb.6:
	s_ashr_i32 s7, s6, 31
	s_lshl_b64 s[6:7], s[6:7], 2
	s_add_u32 s0, s0, s6
	s_addc_u32 s1, s1, s7
	s_load_dword s0, s[0:1], 0x0
	s_waitcnt lgkmcnt(0)
	s_sub_i32 s6, s0, s14
.LBB491_7:
	s_load_dword s0, s[4:5], 0x4
	s_load_dwordx2 s[12:13], s[4:5], 0x50
	v_mul_u32_u24_e32 v7, 0x925, v0
	v_mov_b32_e32 v5, 28
	v_mul_lo_u16_sdwa v8, v7, v5 dst_sel:DWORD dst_unused:UNUSED_PAD src0_sel:WORD_1 src1_sel:DWORD
	s_waitcnt lgkmcnt(0)
	s_cmp_eq_u32 s0, 1
	s_cselect_b64 vcc, -1, 0
	s_cmp_lg_u32 s0, 1
	s_cselect_b64 s[16:17], -1, 0
	s_ashr_i32 s7, s6, 31
	s_lshl_b64 s[0:1], s[6:7], 2
	s_add_u32 s2, s2, s0
	s_addc_u32 s3, s3, s1
	s_load_dword s7, s[2:3], 0x0
	s_add_u32 s2, s2, 4
	s_addc_u32 s3, s3, 0
	s_add_u32 s0, s8, s0
	s_addc_u32 s1, s9, s1
	s_cmp_eq_u64 s[8:9], 0
	s_cselect_b32 s1, s3, s1
	s_cselect_b32 s0, s2, s0
	s_load_dword s0, s[0:1], 0x0
	v_mov_b32_e32 v5, 0
	v_mov_b32_e32 v6, 0
	v_sub_u16_e32 v12, v0, v8
	s_waitcnt lgkmcnt(0)
	s_cmp_ge_i32 s7, s0
	s_cbranch_scc1 .LBB491_12
; %bb.8:
	s_load_dwordx4 s[8:11], s[4:5], 0x30
	s_load_dwordx2 s[2:3], s[4:5], 0x40
	s_sub_i32 s4, s0, s14
	s_mov_b32 s0, 0xffff
	s_movk_i32 s1, 0x310
	v_and_b32_sdwa v5, s0, v7 dst_sel:DWORD dst_unused:UNUSED_PAD src0_sel:DWORD src1_sel:WORD_1
	v_subrev_u32_e32 v6, 28, v5
	v_cmp_gt_u32_e64 s[0:1], s1, v0
	s_sub_i32 s5, s7, s14
	v_cndmask_b32_e64 v5, v6, v5, s[0:1]
	s_mul_i32 s1, s5, 0xc40
	s_mul_hi_i32 s0, s5, 0xc40
	s_waitcnt lgkmcnt(0)
	s_add_u32 s1, s10, s1
	v_cndmask_b32_e32 v7, v12, v5, vcc
	s_addc_u32 s0, s11, s0
	v_lshlrev_b32_e32 v5, 2, v0
	v_mov_b32_e32 v6, s0
	v_add_co_u32_e32 v8, vcc, s1, v5
	v_addc_co_u32_e32 v9, vcc, 0, v6, vcc
	s_movk_i32 s0, 0x30f
	v_mov_b32_e32 v5, 0
	v_cmp_lt_u32_e32 vcc, s0, v0
	v_mov_b32_e32 v6, 0
	v_cndmask_b32_e64 v13, 0, 1, vcc
	s_branch .LBB491_10
.LBB491_9:                              ;   in Loop: Header=BB491_10 Depth=1
	s_or_b64 exec, exec, s[0:1]
	s_add_i32 s5, s5, 1
	s_cmp_lt_i32 s5, s4
	s_cbranch_scc0 .LBB491_12
.LBB491_10:                             ; =>This Inner Loop Header: Depth=1
	v_add_u32_e32 v10, s5, v13
	v_cmp_gt_i32_e32 vcc, s4, v10
	s_and_saveexec_b64 s[0:1], vcc
	s_cbranch_execz .LBB491_9
; %bb.11:                               ;   in Loop: Header=BB491_10 Depth=1
	v_ashrrev_i32_e32 v11, 31, v10
	v_lshlrev_b64 v[10:11], 2, v[10:11]
	v_mov_b32_e32 v14, s9
	v_add_co_u32_e32 v10, vcc, s8, v10
	v_addc_co_u32_e32 v11, vcc, v14, v11, vcc
	global_load_dword v10, v[10:11], off
	v_mov_b32_e32 v15, s3
	global_load_dword v14, v[8:9], off
	s_waitcnt vmcnt(1)
	v_subrev_u32_e32 v10, s14, v10
	v_mad_u64_u32 v[10:11], s[10:11], v10, 28, v[7:8]
	v_ashrrev_i32_e32 v11, 31, v10
	v_lshlrev_b64 v[10:11], 3, v[10:11]
	v_add_co_u32_e32 v10, vcc, s2, v10
	v_addc_co_u32_e32 v11, vcc, v15, v11, vcc
	global_load_dwordx2 v[10:11], v[10:11], off
	s_waitcnt vmcnt(1)
	v_cvt_f64_f32_e32 v[14:15], v14
	v_add_co_u32_e32 v8, vcc, 0xc40, v8
	v_addc_co_u32_e32 v9, vcc, 0, v9, vcc
	s_waitcnt vmcnt(0)
	v_fma_f64 v[5:6], v[14:15], v[10:11], v[5:6]
	s_branch .LBB491_9
.LBB491_12:
	v_lshlrev_b32_e32 v9, 3, v0
	s_and_b64 vcc, exec, s[16:17]
	ds_write_b64 v9, v[5:6]
	s_waitcnt lgkmcnt(0)
	s_barrier
	s_cbranch_vccz .LBB491_24
; %bb.13:
	v_cmp_gt_u16_e32 vcc, 12, v12
	s_and_saveexec_b64 s[0:1], vcc
	s_cbranch_execz .LBB491_15
; %bb.14:
	ds_read2_b64 v[13:16], v9 offset1:16
	s_waitcnt lgkmcnt(0)
	v_add_f64 v[7:8], v[15:16], v[13:14]
	ds_write_b64 v9, v[7:8]
.LBB491_15:
	s_or_b64 exec, exec, s[0:1]
	v_cmp_gt_u16_e32 vcc, 8, v12
	s_waitcnt lgkmcnt(0)
	s_barrier
	s_and_saveexec_b64 s[0:1], vcc
	s_cbranch_execz .LBB491_17
; %bb.16:
	ds_read2_b64 v[13:16], v9 offset1:8
	s_waitcnt lgkmcnt(0)
	v_add_f64 v[7:8], v[15:16], v[13:14]
	ds_write_b64 v9, v[7:8]
.LBB491_17:
	s_or_b64 exec, exec, s[0:1]
	v_cmp_gt_u16_e32 vcc, 4, v12
	s_waitcnt lgkmcnt(0)
	s_barrier
	;; [unrolled: 12-line block ×3, first 2 shown]
	s_and_saveexec_b64 s[0:1], vcc
	s_cbranch_execz .LBB491_21
; %bb.20:
	ds_read2_b64 v[10:13], v9 offset1:2
	s_waitcnt lgkmcnt(0)
	v_add_f64 v[7:8], v[12:13], v[10:11]
	ds_write_b64 v9, v[7:8]
.LBB491_21:
	s_or_b64 exec, exec, s[0:1]
	v_mov_b32_e32 v8, v6
	v_cmp_gt_u32_e32 vcc, 28, v0
	v_mov_b32_e32 v7, v5
	s_waitcnt lgkmcnt(0)
	s_barrier
	s_and_saveexec_b64 s[0:1], vcc
	s_cbranch_execz .LBB491_23
; %bb.22:
	s_movk_i32 s2, 0xd8
	v_mad_u32_u24 v7, v0, s2, v9
	ds_read_b128 v[10:13], v7
	s_waitcnt lgkmcnt(0)
	v_add_f64 v[7:8], v[10:11], v[12:13]
.LBB491_23:
	s_or_b64 exec, exec, s[0:1]
	s_branch .LBB491_36
.LBB491_24:
                                        ; implicit-def: $vgpr7_vgpr8
	s_cbranch_execz .LBB491_36
; %bb.25:
	s_movk_i32 s0, 0x150
	v_cmp_gt_u32_e32 vcc, s0, v0
	s_and_saveexec_b64 s[0:1], vcc
	s_cbranch_execz .LBB491_27
; %bb.26:
	ds_read2st64_b64 v[10:13], v9 offset1:7
	s_waitcnt lgkmcnt(0)
	v_add_f64 v[7:8], v[12:13], v[10:11]
	ds_write_b64 v9, v[7:8]
.LBB491_27:
	s_or_b64 exec, exec, s[0:1]
	s_movk_i32 s0, 0xe0
	v_cmp_gt_u32_e32 vcc, s0, v0
	s_waitcnt lgkmcnt(0)
	s_barrier
	s_and_saveexec_b64 s[0:1], vcc
	s_cbranch_execz .LBB491_29
; %bb.28:
	ds_read2_b64 v[10:13], v9 offset1:224
	s_waitcnt lgkmcnt(0)
	v_add_f64 v[7:8], v[12:13], v[10:11]
	ds_write_b64 v9, v[7:8]
.LBB491_29:
	s_or_b64 exec, exec, s[0:1]
	s_movk_i32 s0, 0x70
	v_cmp_gt_u32_e32 vcc, s0, v0
	s_waitcnt lgkmcnt(0)
	s_barrier
	s_and_saveexec_b64 s[0:1], vcc
	s_cbranch_execz .LBB491_31
; %bb.30:
	ds_read2_b64 v[10:13], v9 offset1:112
	s_waitcnt lgkmcnt(0)
	v_add_f64 v[7:8], v[12:13], v[10:11]
	ds_write_b64 v9, v[7:8]
.LBB491_31:
	s_or_b64 exec, exec, s[0:1]
	v_cmp_gt_u32_e32 vcc, 56, v0
	s_waitcnt lgkmcnt(0)
	s_barrier
	s_and_saveexec_b64 s[0:1], vcc
	s_cbranch_execz .LBB491_33
; %bb.32:
	ds_read2_b64 v[10:13], v9 offset1:56
	s_waitcnt lgkmcnt(0)
	v_add_f64 v[7:8], v[12:13], v[10:11]
	ds_write_b64 v9, v[7:8]
.LBB491_33:
	s_or_b64 exec, exec, s[0:1]
	v_cmp_gt_u32_e32 vcc, 28, v0
	s_waitcnt lgkmcnt(0)
	s_and_saveexec_b64 s[0:1], vcc
	s_cbranch_execz .LBB491_35
; %bb.34:
	ds_read2_b64 v[5:8], v9 offset1:28
	s_waitcnt lgkmcnt(0)
	v_add_f64 v[5:6], v[5:6], v[7:8]
.LBB491_35:
	s_or_b64 exec, exec, s[0:1]
	v_mov_b32_e32 v8, v6
	v_mov_b32_e32 v7, v5
.LBB491_36:
	v_cmp_gt_u32_e32 vcc, 28, v0
	s_and_b64 exec, exec, vcc
	s_cbranch_execz .LBB491_41
; %bb.37:
	v_cmp_eq_f64_e32 vcc, 0, v[1:2]
	v_mul_f64 v[3:4], v[3:4], v[7:8]
	s_and_saveexec_b64 s[0:1], vcc
	s_xor_b64 s[0:1], exec, s[0:1]
	s_cbranch_execz .LBB491_39
; %bb.38:
	v_mad_u64_u32 v[0:1], s[2:3], s6, 28, v[0:1]
	v_mov_b32_e32 v1, 0
	v_mov_b32_e32 v2, s13
	v_lshlrev_b64 v[0:1], 3, v[0:1]
	v_add_co_u32_e32 v0, vcc, s12, v0
	v_addc_co_u32_e32 v1, vcc, v2, v1, vcc
	global_store_dwordx2 v[0:1], v[3:4], off
                                        ; implicit-def: $vgpr0
                                        ; implicit-def: $vgpr1_vgpr2
                                        ; implicit-def: $vgpr3_vgpr4
.LBB491_39:
	s_andn2_saveexec_b64 s[0:1], s[0:1]
	s_cbranch_execz .LBB491_41
; %bb.40:
	v_mad_u64_u32 v[5:6], s[0:1], s6, 28, v[0:1]
	v_mov_b32_e32 v6, 0
	v_mov_b32_e32 v0, s13
	v_lshlrev_b64 v[5:6], 3, v[5:6]
	v_add_co_u32_e32 v5, vcc, s12, v5
	v_addc_co_u32_e32 v6, vcc, v0, v6, vcc
	global_load_dwordx2 v[7:8], v[5:6], off
	s_waitcnt vmcnt(0)
	v_fma_f64 v[0:1], v[1:2], v[7:8], v[3:4]
	global_store_dwordx2 v[5:6], v[0:1], off
.LBB491_41:
	s_endpgm
	.section	.rodata,"a",@progbits
	.p2align	6, 0x0
	.amdhsa_kernel _ZN9rocsparseL20bsrxmvn_17_32_kernelILj28EdiifddEEvT2_20rocsparse_direction_NS_24const_host_device_scalarIT0_EES1_PKS1_PKT1_SA_S7_PKT3_PKT4_S5_PT5_21rocsparse_index_base_b
		.amdhsa_group_segment_fixed_size 6272
		.amdhsa_private_segment_fixed_size 0
		.amdhsa_kernarg_size 96
		.amdhsa_user_sgpr_count 6
		.amdhsa_user_sgpr_private_segment_buffer 1
		.amdhsa_user_sgpr_dispatch_ptr 0
		.amdhsa_user_sgpr_queue_ptr 0
		.amdhsa_user_sgpr_kernarg_segment_ptr 1
		.amdhsa_user_sgpr_dispatch_id 0
		.amdhsa_user_sgpr_flat_scratch_init 0
		.amdhsa_user_sgpr_private_segment_size 0
		.amdhsa_uses_dynamic_stack 0
		.amdhsa_system_sgpr_private_segment_wavefront_offset 0
		.amdhsa_system_sgpr_workgroup_id_x 1
		.amdhsa_system_sgpr_workgroup_id_y 0
		.amdhsa_system_sgpr_workgroup_id_z 0
		.amdhsa_system_sgpr_workgroup_info 0
		.amdhsa_system_vgpr_workitem_id 0
		.amdhsa_next_free_vgpr 17
		.amdhsa_next_free_sgpr 18
		.amdhsa_reserve_vcc 1
		.amdhsa_reserve_flat_scratch 0
		.amdhsa_float_round_mode_32 0
		.amdhsa_float_round_mode_16_64 0
		.amdhsa_float_denorm_mode_32 3
		.amdhsa_float_denorm_mode_16_64 3
		.amdhsa_dx10_clamp 1
		.amdhsa_ieee_mode 1
		.amdhsa_fp16_overflow 0
		.amdhsa_exception_fp_ieee_invalid_op 0
		.amdhsa_exception_fp_denorm_src 0
		.amdhsa_exception_fp_ieee_div_zero 0
		.amdhsa_exception_fp_ieee_overflow 0
		.amdhsa_exception_fp_ieee_underflow 0
		.amdhsa_exception_fp_ieee_inexact 0
		.amdhsa_exception_int_div_zero 0
	.end_amdhsa_kernel
	.section	.text._ZN9rocsparseL20bsrxmvn_17_32_kernelILj28EdiifddEEvT2_20rocsparse_direction_NS_24const_host_device_scalarIT0_EES1_PKS1_PKT1_SA_S7_PKT3_PKT4_S5_PT5_21rocsparse_index_base_b,"axG",@progbits,_ZN9rocsparseL20bsrxmvn_17_32_kernelILj28EdiifddEEvT2_20rocsparse_direction_NS_24const_host_device_scalarIT0_EES1_PKS1_PKT1_SA_S7_PKT3_PKT4_S5_PT5_21rocsparse_index_base_b,comdat
.Lfunc_end491:
	.size	_ZN9rocsparseL20bsrxmvn_17_32_kernelILj28EdiifddEEvT2_20rocsparse_direction_NS_24const_host_device_scalarIT0_EES1_PKS1_PKT1_SA_S7_PKT3_PKT4_S5_PT5_21rocsparse_index_base_b, .Lfunc_end491-_ZN9rocsparseL20bsrxmvn_17_32_kernelILj28EdiifddEEvT2_20rocsparse_direction_NS_24const_host_device_scalarIT0_EES1_PKS1_PKT1_SA_S7_PKT3_PKT4_S5_PT5_21rocsparse_index_base_b
                                        ; -- End function
	.set _ZN9rocsparseL20bsrxmvn_17_32_kernelILj28EdiifddEEvT2_20rocsparse_direction_NS_24const_host_device_scalarIT0_EES1_PKS1_PKT1_SA_S7_PKT3_PKT4_S5_PT5_21rocsparse_index_base_b.num_vgpr, 17
	.set _ZN9rocsparseL20bsrxmvn_17_32_kernelILj28EdiifddEEvT2_20rocsparse_direction_NS_24const_host_device_scalarIT0_EES1_PKS1_PKT1_SA_S7_PKT3_PKT4_S5_PT5_21rocsparse_index_base_b.num_agpr, 0
	.set _ZN9rocsparseL20bsrxmvn_17_32_kernelILj28EdiifddEEvT2_20rocsparse_direction_NS_24const_host_device_scalarIT0_EES1_PKS1_PKT1_SA_S7_PKT3_PKT4_S5_PT5_21rocsparse_index_base_b.numbered_sgpr, 18
	.set _ZN9rocsparseL20bsrxmvn_17_32_kernelILj28EdiifddEEvT2_20rocsparse_direction_NS_24const_host_device_scalarIT0_EES1_PKS1_PKT1_SA_S7_PKT3_PKT4_S5_PT5_21rocsparse_index_base_b.num_named_barrier, 0
	.set _ZN9rocsparseL20bsrxmvn_17_32_kernelILj28EdiifddEEvT2_20rocsparse_direction_NS_24const_host_device_scalarIT0_EES1_PKS1_PKT1_SA_S7_PKT3_PKT4_S5_PT5_21rocsparse_index_base_b.private_seg_size, 0
	.set _ZN9rocsparseL20bsrxmvn_17_32_kernelILj28EdiifddEEvT2_20rocsparse_direction_NS_24const_host_device_scalarIT0_EES1_PKS1_PKT1_SA_S7_PKT3_PKT4_S5_PT5_21rocsparse_index_base_b.uses_vcc, 1
	.set _ZN9rocsparseL20bsrxmvn_17_32_kernelILj28EdiifddEEvT2_20rocsparse_direction_NS_24const_host_device_scalarIT0_EES1_PKS1_PKT1_SA_S7_PKT3_PKT4_S5_PT5_21rocsparse_index_base_b.uses_flat_scratch, 0
	.set _ZN9rocsparseL20bsrxmvn_17_32_kernelILj28EdiifddEEvT2_20rocsparse_direction_NS_24const_host_device_scalarIT0_EES1_PKS1_PKT1_SA_S7_PKT3_PKT4_S5_PT5_21rocsparse_index_base_b.has_dyn_sized_stack, 0
	.set _ZN9rocsparseL20bsrxmvn_17_32_kernelILj28EdiifddEEvT2_20rocsparse_direction_NS_24const_host_device_scalarIT0_EES1_PKS1_PKT1_SA_S7_PKT3_PKT4_S5_PT5_21rocsparse_index_base_b.has_recursion, 0
	.set _ZN9rocsparseL20bsrxmvn_17_32_kernelILj28EdiifddEEvT2_20rocsparse_direction_NS_24const_host_device_scalarIT0_EES1_PKS1_PKT1_SA_S7_PKT3_PKT4_S5_PT5_21rocsparse_index_base_b.has_indirect_call, 0
	.section	.AMDGPU.csdata,"",@progbits
; Kernel info:
; codeLenInByte = 1336
; TotalNumSgprs: 22
; NumVgprs: 17
; ScratchSize: 0
; MemoryBound: 0
; FloatMode: 240
; IeeeMode: 1
; LDSByteSize: 6272 bytes/workgroup (compile time only)
; SGPRBlocks: 2
; VGPRBlocks: 4
; NumSGPRsForWavesPerEU: 22
; NumVGPRsForWavesPerEU: 17
; Occupancy: 10
; WaveLimiterHint : 1
; COMPUTE_PGM_RSRC2:SCRATCH_EN: 0
; COMPUTE_PGM_RSRC2:USER_SGPR: 6
; COMPUTE_PGM_RSRC2:TRAP_HANDLER: 0
; COMPUTE_PGM_RSRC2:TGID_X_EN: 1
; COMPUTE_PGM_RSRC2:TGID_Y_EN: 0
; COMPUTE_PGM_RSRC2:TGID_Z_EN: 0
; COMPUTE_PGM_RSRC2:TIDIG_COMP_CNT: 0
	.section	.text._ZN9rocsparseL20bsrxmvn_17_32_kernelILj29EdiifddEEvT2_20rocsparse_direction_NS_24const_host_device_scalarIT0_EES1_PKS1_PKT1_SA_S7_PKT3_PKT4_S5_PT5_21rocsparse_index_base_b,"axG",@progbits,_ZN9rocsparseL20bsrxmvn_17_32_kernelILj29EdiifddEEvT2_20rocsparse_direction_NS_24const_host_device_scalarIT0_EES1_PKS1_PKT1_SA_S7_PKT3_PKT4_S5_PT5_21rocsparse_index_base_b,comdat
	.globl	_ZN9rocsparseL20bsrxmvn_17_32_kernelILj29EdiifddEEvT2_20rocsparse_direction_NS_24const_host_device_scalarIT0_EES1_PKS1_PKT1_SA_S7_PKT3_PKT4_S5_PT5_21rocsparse_index_base_b ; -- Begin function _ZN9rocsparseL20bsrxmvn_17_32_kernelILj29EdiifddEEvT2_20rocsparse_direction_NS_24const_host_device_scalarIT0_EES1_PKS1_PKT1_SA_S7_PKT3_PKT4_S5_PT5_21rocsparse_index_base_b
	.p2align	8
	.type	_ZN9rocsparseL20bsrxmvn_17_32_kernelILj29EdiifddEEvT2_20rocsparse_direction_NS_24const_host_device_scalarIT0_EES1_PKS1_PKT1_SA_S7_PKT3_PKT4_S5_PT5_21rocsparse_index_base_b,@function
_ZN9rocsparseL20bsrxmvn_17_32_kernelILj29EdiifddEEvT2_20rocsparse_direction_NS_24const_host_device_scalarIT0_EES1_PKS1_PKT1_SA_S7_PKT3_PKT4_S5_PT5_21rocsparse_index_base_b: ; @_ZN9rocsparseL20bsrxmvn_17_32_kernelILj29EdiifddEEvT2_20rocsparse_direction_NS_24const_host_device_scalarIT0_EES1_PKS1_PKT1_SA_S7_PKT3_PKT4_S5_PT5_21rocsparse_index_base_b
; %bb.0:
	s_load_dwordx2 s[14:15], s[4:5], 0x58
	s_load_dwordx2 s[8:9], s[4:5], 0x8
	;; [unrolled: 1-line block ×3, first 2 shown]
	s_waitcnt lgkmcnt(0)
	s_bitcmp1_b32 s15, 0
	s_cselect_b64 s[10:11], -1, 0
	v_mov_b32_e32 v3, s8
	s_xor_b64 s[2:3], s[10:11], -1
	s_and_b64 vcc, exec, s[10:11]
	v_mov_b32_e32 v4, s9
	s_cbranch_vccnz .LBB492_2
; %bb.1:
	v_mov_b32_e32 v1, s8
	v_mov_b32_e32 v2, s9
	flat_load_dwordx2 v[3:4], v[1:2]
.LBB492_2:
	v_mov_b32_e32 v2, s1
	s_andn2_b64 vcc, exec, s[2:3]
	v_mov_b32_e32 v1, s0
	s_cbranch_vccnz .LBB492_4
; %bb.3:
	v_mov_b32_e32 v2, s1
	v_mov_b32_e32 v1, s0
	flat_load_dwordx2 v[1:2], v[1:2]
.LBB492_4:
	s_waitcnt vmcnt(0) lgkmcnt(0)
	v_cmp_neq_f64_e32 vcc, 0, v[3:4]
	v_cmp_neq_f64_e64 s[0:1], 1.0, v[1:2]
	s_or_b64 s[0:1], vcc, s[0:1]
	s_and_saveexec_b64 s[2:3], s[0:1]
	s_cbranch_execz .LBB492_41
; %bb.5:
	s_load_dwordx4 s[0:3], s[4:5], 0x18
	s_load_dwordx2 s[8:9], s[4:5], 0x28
	s_waitcnt lgkmcnt(0)
	s_cmp_eq_u64 s[0:1], 0
	s_cbranch_scc1 .LBB492_7
; %bb.6:
	s_ashr_i32 s7, s6, 31
	s_lshl_b64 s[6:7], s[6:7], 2
	s_add_u32 s0, s0, s6
	s_addc_u32 s1, s1, s7
	s_load_dword s0, s[0:1], 0x0
	s_waitcnt lgkmcnt(0)
	s_sub_i32 s6, s0, s14
.LBB492_7:
	s_load_dword s0, s[4:5], 0x4
	s_load_dwordx2 s[12:13], s[4:5], 0x50
	v_mul_u32_u24_e32 v7, 0x8d4, v0
	v_mov_b32_e32 v5, 29
	v_mul_lo_u16_sdwa v8, v7, v5 dst_sel:DWORD dst_unused:UNUSED_PAD src0_sel:WORD_1 src1_sel:DWORD
	s_waitcnt lgkmcnt(0)
	s_cmp_eq_u32 s0, 1
	s_cselect_b64 vcc, -1, 0
	s_cmp_lg_u32 s0, 1
	s_cselect_b64 s[16:17], -1, 0
	s_ashr_i32 s7, s6, 31
	s_lshl_b64 s[0:1], s[6:7], 2
	s_add_u32 s2, s2, s0
	s_addc_u32 s3, s3, s1
	s_load_dword s7, s[2:3], 0x0
	s_add_u32 s2, s2, 4
	s_addc_u32 s3, s3, 0
	s_add_u32 s0, s8, s0
	s_addc_u32 s1, s9, s1
	s_cmp_eq_u64 s[8:9], 0
	s_cselect_b32 s1, s3, s1
	s_cselect_b32 s0, s2, s0
	s_load_dword s0, s[0:1], 0x0
	v_mov_b32_e32 v5, 0
	v_mov_b32_e32 v6, 0
	v_sub_u16_e32 v12, v0, v8
	s_waitcnt lgkmcnt(0)
	s_cmp_ge_i32 s7, s0
	s_cbranch_scc1 .LBB492_12
; %bb.8:
	s_load_dwordx4 s[8:11], s[4:5], 0x30
	s_load_dwordx2 s[2:3], s[4:5], 0x40
	s_sub_i32 s4, s0, s14
	s_mov_b32 s0, 0xffff
	s_movk_i32 s1, 0x349
	v_and_b32_sdwa v5, s0, v7 dst_sel:DWORD dst_unused:UNUSED_PAD src0_sel:DWORD src1_sel:WORD_1
	v_subrev_u32_e32 v6, 29, v5
	v_cmp_gt_u32_e64 s[0:1], s1, v0
	s_sub_i32 s5, s7, s14
	v_cndmask_b32_e64 v5, v6, v5, s[0:1]
	s_mul_i32 s1, s5, 0xd24
	s_mul_hi_i32 s0, s5, 0xd24
	s_waitcnt lgkmcnt(0)
	s_add_u32 s1, s10, s1
	v_cndmask_b32_e32 v7, v12, v5, vcc
	s_addc_u32 s0, s11, s0
	v_lshlrev_b32_e32 v5, 2, v0
	v_mov_b32_e32 v6, s0
	v_add_co_u32_e32 v8, vcc, s1, v5
	v_addc_co_u32_e32 v9, vcc, 0, v6, vcc
	s_movk_i32 s0, 0x348
	v_mov_b32_e32 v5, 0
	v_cmp_lt_u32_e32 vcc, s0, v0
	v_mov_b32_e32 v6, 0
	v_cndmask_b32_e64 v13, 0, 1, vcc
	s_branch .LBB492_10
.LBB492_9:                              ;   in Loop: Header=BB492_10 Depth=1
	s_or_b64 exec, exec, s[0:1]
	s_add_i32 s5, s5, 1
	s_cmp_lt_i32 s5, s4
	s_cbranch_scc0 .LBB492_12
.LBB492_10:                             ; =>This Inner Loop Header: Depth=1
	v_add_u32_e32 v10, s5, v13
	v_cmp_gt_i32_e32 vcc, s4, v10
	s_and_saveexec_b64 s[0:1], vcc
	s_cbranch_execz .LBB492_9
; %bb.11:                               ;   in Loop: Header=BB492_10 Depth=1
	v_ashrrev_i32_e32 v11, 31, v10
	v_lshlrev_b64 v[10:11], 2, v[10:11]
	v_mov_b32_e32 v14, s9
	v_add_co_u32_e32 v10, vcc, s8, v10
	v_addc_co_u32_e32 v11, vcc, v14, v11, vcc
	global_load_dword v10, v[10:11], off
	v_mov_b32_e32 v15, s3
	global_load_dword v14, v[8:9], off
	s_waitcnt vmcnt(1)
	v_subrev_u32_e32 v10, s14, v10
	v_mad_u64_u32 v[10:11], s[10:11], v10, 29, v[7:8]
	v_ashrrev_i32_e32 v11, 31, v10
	v_lshlrev_b64 v[10:11], 3, v[10:11]
	v_add_co_u32_e32 v10, vcc, s2, v10
	v_addc_co_u32_e32 v11, vcc, v15, v11, vcc
	global_load_dwordx2 v[10:11], v[10:11], off
	s_waitcnt vmcnt(1)
	v_cvt_f64_f32_e32 v[14:15], v14
	v_add_co_u32_e32 v8, vcc, 0xd24, v8
	v_addc_co_u32_e32 v9, vcc, 0, v9, vcc
	s_waitcnt vmcnt(0)
	v_fma_f64 v[5:6], v[14:15], v[10:11], v[5:6]
	s_branch .LBB492_9
.LBB492_12:
	v_lshlrev_b32_e32 v9, 3, v0
	s_and_b64 vcc, exec, s[16:17]
	ds_write_b64 v9, v[5:6]
	s_waitcnt lgkmcnt(0)
	s_barrier
	s_cbranch_vccz .LBB492_24
; %bb.13:
	v_cmp_gt_u16_e32 vcc, 13, v12
	s_and_saveexec_b64 s[0:1], vcc
	s_cbranch_execz .LBB492_15
; %bb.14:
	ds_read2_b64 v[13:16], v9 offset1:16
	s_waitcnt lgkmcnt(0)
	v_add_f64 v[7:8], v[15:16], v[13:14]
	ds_write_b64 v9, v[7:8]
.LBB492_15:
	s_or_b64 exec, exec, s[0:1]
	v_cmp_gt_u16_e32 vcc, 8, v12
	s_waitcnt lgkmcnt(0)
	s_barrier
	s_and_saveexec_b64 s[0:1], vcc
	s_cbranch_execz .LBB492_17
; %bb.16:
	ds_read2_b64 v[13:16], v9 offset1:8
	s_waitcnt lgkmcnt(0)
	v_add_f64 v[7:8], v[15:16], v[13:14]
	ds_write_b64 v9, v[7:8]
.LBB492_17:
	s_or_b64 exec, exec, s[0:1]
	v_cmp_gt_u16_e32 vcc, 4, v12
	s_waitcnt lgkmcnt(0)
	s_barrier
	;; [unrolled: 12-line block ×3, first 2 shown]
	s_and_saveexec_b64 s[0:1], vcc
	s_cbranch_execz .LBB492_21
; %bb.20:
	ds_read2_b64 v[10:13], v9 offset1:2
	s_waitcnt lgkmcnt(0)
	v_add_f64 v[7:8], v[12:13], v[10:11]
	ds_write_b64 v9, v[7:8]
.LBB492_21:
	s_or_b64 exec, exec, s[0:1]
	v_mov_b32_e32 v8, v6
	v_cmp_gt_u32_e32 vcc, 29, v0
	v_mov_b32_e32 v7, v5
	s_waitcnt lgkmcnt(0)
	s_barrier
	s_and_saveexec_b64 s[0:1], vcc
	s_cbranch_execz .LBB492_23
; %bb.22:
	s_movk_i32 s2, 0xe0
	v_mad_u32_u24 v7, v0, s2, v9
	ds_read2_b64 v[10:13], v7 offset1:1
	s_waitcnt lgkmcnt(0)
	v_add_f64 v[7:8], v[10:11], v[12:13]
.LBB492_23:
	s_or_b64 exec, exec, s[0:1]
	s_branch .LBB492_36
.LBB492_24:
                                        ; implicit-def: $vgpr7_vgpr8
	s_cbranch_execz .LBB492_36
; %bb.25:
	s_movk_i32 s0, 0x179
	v_cmp_gt_u32_e32 vcc, s0, v0
	s_and_saveexec_b64 s[0:1], vcc
	s_cbranch_execz .LBB492_27
; %bb.26:
	ds_read_b64 v[7:8], v9 offset:3712
	ds_read_b64 v[10:11], v9
	s_waitcnt lgkmcnt(0)
	v_add_f64 v[7:8], v[7:8], v[10:11]
	ds_write_b64 v9, v[7:8]
.LBB492_27:
	s_or_b64 exec, exec, s[0:1]
	s_movk_i32 s0, 0xe8
	v_cmp_gt_u32_e32 vcc, s0, v0
	s_waitcnt lgkmcnt(0)
	s_barrier
	s_and_saveexec_b64 s[0:1], vcc
	s_cbranch_execz .LBB492_29
; %bb.28:
	ds_read2_b64 v[10:13], v9 offset1:232
	s_waitcnt lgkmcnt(0)
	v_add_f64 v[7:8], v[12:13], v[10:11]
	ds_write_b64 v9, v[7:8]
.LBB492_29:
	s_or_b64 exec, exec, s[0:1]
	s_movk_i32 s0, 0x74
	v_cmp_gt_u32_e32 vcc, s0, v0
	s_waitcnt lgkmcnt(0)
	s_barrier
	s_and_saveexec_b64 s[0:1], vcc
	s_cbranch_execz .LBB492_31
; %bb.30:
	ds_read2_b64 v[10:13], v9 offset1:116
	s_waitcnt lgkmcnt(0)
	v_add_f64 v[7:8], v[12:13], v[10:11]
	ds_write_b64 v9, v[7:8]
.LBB492_31:
	s_or_b64 exec, exec, s[0:1]
	v_cmp_gt_u32_e32 vcc, 58, v0
	s_waitcnt lgkmcnt(0)
	s_barrier
	s_and_saveexec_b64 s[0:1], vcc
	s_cbranch_execz .LBB492_33
; %bb.32:
	ds_read2_b64 v[10:13], v9 offset1:58
	s_waitcnt lgkmcnt(0)
	v_add_f64 v[7:8], v[12:13], v[10:11]
	ds_write_b64 v9, v[7:8]
.LBB492_33:
	s_or_b64 exec, exec, s[0:1]
	v_cmp_gt_u32_e32 vcc, 29, v0
	s_waitcnt lgkmcnt(0)
	s_and_saveexec_b64 s[0:1], vcc
	s_cbranch_execz .LBB492_35
; %bb.34:
	ds_read2_b64 v[5:8], v9 offset1:29
	s_waitcnt lgkmcnt(0)
	v_add_f64 v[5:6], v[5:6], v[7:8]
.LBB492_35:
	s_or_b64 exec, exec, s[0:1]
	v_mov_b32_e32 v8, v6
	v_mov_b32_e32 v7, v5
.LBB492_36:
	v_cmp_gt_u32_e32 vcc, 29, v0
	s_and_b64 exec, exec, vcc
	s_cbranch_execz .LBB492_41
; %bb.37:
	v_cmp_eq_f64_e32 vcc, 0, v[1:2]
	v_mul_f64 v[3:4], v[3:4], v[7:8]
	s_and_saveexec_b64 s[0:1], vcc
	s_xor_b64 s[0:1], exec, s[0:1]
	s_cbranch_execz .LBB492_39
; %bb.38:
	v_mad_u64_u32 v[0:1], s[2:3], s6, 29, v[0:1]
	v_mov_b32_e32 v1, 0
	v_mov_b32_e32 v2, s13
	v_lshlrev_b64 v[0:1], 3, v[0:1]
	v_add_co_u32_e32 v0, vcc, s12, v0
	v_addc_co_u32_e32 v1, vcc, v2, v1, vcc
	global_store_dwordx2 v[0:1], v[3:4], off
                                        ; implicit-def: $vgpr0
                                        ; implicit-def: $vgpr1_vgpr2
                                        ; implicit-def: $vgpr3_vgpr4
.LBB492_39:
	s_andn2_saveexec_b64 s[0:1], s[0:1]
	s_cbranch_execz .LBB492_41
; %bb.40:
	v_mad_u64_u32 v[5:6], s[0:1], s6, 29, v[0:1]
	v_mov_b32_e32 v6, 0
	v_mov_b32_e32 v0, s13
	v_lshlrev_b64 v[5:6], 3, v[5:6]
	v_add_co_u32_e32 v5, vcc, s12, v5
	v_addc_co_u32_e32 v6, vcc, v0, v6, vcc
	global_load_dwordx2 v[7:8], v[5:6], off
	s_waitcnt vmcnt(0)
	v_fma_f64 v[0:1], v[1:2], v[7:8], v[3:4]
	global_store_dwordx2 v[5:6], v[0:1], off
.LBB492_41:
	s_endpgm
	.section	.rodata,"a",@progbits
	.p2align	6, 0x0
	.amdhsa_kernel _ZN9rocsparseL20bsrxmvn_17_32_kernelILj29EdiifddEEvT2_20rocsparse_direction_NS_24const_host_device_scalarIT0_EES1_PKS1_PKT1_SA_S7_PKT3_PKT4_S5_PT5_21rocsparse_index_base_b
		.amdhsa_group_segment_fixed_size 6728
		.amdhsa_private_segment_fixed_size 0
		.amdhsa_kernarg_size 96
		.amdhsa_user_sgpr_count 6
		.amdhsa_user_sgpr_private_segment_buffer 1
		.amdhsa_user_sgpr_dispatch_ptr 0
		.amdhsa_user_sgpr_queue_ptr 0
		.amdhsa_user_sgpr_kernarg_segment_ptr 1
		.amdhsa_user_sgpr_dispatch_id 0
		.amdhsa_user_sgpr_flat_scratch_init 0
		.amdhsa_user_sgpr_private_segment_size 0
		.amdhsa_uses_dynamic_stack 0
		.amdhsa_system_sgpr_private_segment_wavefront_offset 0
		.amdhsa_system_sgpr_workgroup_id_x 1
		.amdhsa_system_sgpr_workgroup_id_y 0
		.amdhsa_system_sgpr_workgroup_id_z 0
		.amdhsa_system_sgpr_workgroup_info 0
		.amdhsa_system_vgpr_workitem_id 0
		.amdhsa_next_free_vgpr 33
		.amdhsa_next_free_sgpr 77
		.amdhsa_reserve_vcc 1
		.amdhsa_reserve_flat_scratch 0
		.amdhsa_float_round_mode_32 0
		.amdhsa_float_round_mode_16_64 0
		.amdhsa_float_denorm_mode_32 3
		.amdhsa_float_denorm_mode_16_64 3
		.amdhsa_dx10_clamp 1
		.amdhsa_ieee_mode 1
		.amdhsa_fp16_overflow 0
		.amdhsa_exception_fp_ieee_invalid_op 0
		.amdhsa_exception_fp_denorm_src 0
		.amdhsa_exception_fp_ieee_div_zero 0
		.amdhsa_exception_fp_ieee_overflow 0
		.amdhsa_exception_fp_ieee_underflow 0
		.amdhsa_exception_fp_ieee_inexact 0
		.amdhsa_exception_int_div_zero 0
	.end_amdhsa_kernel
	.section	.text._ZN9rocsparseL20bsrxmvn_17_32_kernelILj29EdiifddEEvT2_20rocsparse_direction_NS_24const_host_device_scalarIT0_EES1_PKS1_PKT1_SA_S7_PKT3_PKT4_S5_PT5_21rocsparse_index_base_b,"axG",@progbits,_ZN9rocsparseL20bsrxmvn_17_32_kernelILj29EdiifddEEvT2_20rocsparse_direction_NS_24const_host_device_scalarIT0_EES1_PKS1_PKT1_SA_S7_PKT3_PKT4_S5_PT5_21rocsparse_index_base_b,comdat
.Lfunc_end492:
	.size	_ZN9rocsparseL20bsrxmvn_17_32_kernelILj29EdiifddEEvT2_20rocsparse_direction_NS_24const_host_device_scalarIT0_EES1_PKS1_PKT1_SA_S7_PKT3_PKT4_S5_PT5_21rocsparse_index_base_b, .Lfunc_end492-_ZN9rocsparseL20bsrxmvn_17_32_kernelILj29EdiifddEEvT2_20rocsparse_direction_NS_24const_host_device_scalarIT0_EES1_PKS1_PKT1_SA_S7_PKT3_PKT4_S5_PT5_21rocsparse_index_base_b
                                        ; -- End function
	.set _ZN9rocsparseL20bsrxmvn_17_32_kernelILj29EdiifddEEvT2_20rocsparse_direction_NS_24const_host_device_scalarIT0_EES1_PKS1_PKT1_SA_S7_PKT3_PKT4_S5_PT5_21rocsparse_index_base_b.num_vgpr, 17
	.set _ZN9rocsparseL20bsrxmvn_17_32_kernelILj29EdiifddEEvT2_20rocsparse_direction_NS_24const_host_device_scalarIT0_EES1_PKS1_PKT1_SA_S7_PKT3_PKT4_S5_PT5_21rocsparse_index_base_b.num_agpr, 0
	.set _ZN9rocsparseL20bsrxmvn_17_32_kernelILj29EdiifddEEvT2_20rocsparse_direction_NS_24const_host_device_scalarIT0_EES1_PKS1_PKT1_SA_S7_PKT3_PKT4_S5_PT5_21rocsparse_index_base_b.numbered_sgpr, 18
	.set _ZN9rocsparseL20bsrxmvn_17_32_kernelILj29EdiifddEEvT2_20rocsparse_direction_NS_24const_host_device_scalarIT0_EES1_PKS1_PKT1_SA_S7_PKT3_PKT4_S5_PT5_21rocsparse_index_base_b.num_named_barrier, 0
	.set _ZN9rocsparseL20bsrxmvn_17_32_kernelILj29EdiifddEEvT2_20rocsparse_direction_NS_24const_host_device_scalarIT0_EES1_PKS1_PKT1_SA_S7_PKT3_PKT4_S5_PT5_21rocsparse_index_base_b.private_seg_size, 0
	.set _ZN9rocsparseL20bsrxmvn_17_32_kernelILj29EdiifddEEvT2_20rocsparse_direction_NS_24const_host_device_scalarIT0_EES1_PKS1_PKT1_SA_S7_PKT3_PKT4_S5_PT5_21rocsparse_index_base_b.uses_vcc, 1
	.set _ZN9rocsparseL20bsrxmvn_17_32_kernelILj29EdiifddEEvT2_20rocsparse_direction_NS_24const_host_device_scalarIT0_EES1_PKS1_PKT1_SA_S7_PKT3_PKT4_S5_PT5_21rocsparse_index_base_b.uses_flat_scratch, 0
	.set _ZN9rocsparseL20bsrxmvn_17_32_kernelILj29EdiifddEEvT2_20rocsparse_direction_NS_24const_host_device_scalarIT0_EES1_PKS1_PKT1_SA_S7_PKT3_PKT4_S5_PT5_21rocsparse_index_base_b.has_dyn_sized_stack, 0
	.set _ZN9rocsparseL20bsrxmvn_17_32_kernelILj29EdiifddEEvT2_20rocsparse_direction_NS_24const_host_device_scalarIT0_EES1_PKS1_PKT1_SA_S7_PKT3_PKT4_S5_PT5_21rocsparse_index_base_b.has_recursion, 0
	.set _ZN9rocsparseL20bsrxmvn_17_32_kernelILj29EdiifddEEvT2_20rocsparse_direction_NS_24const_host_device_scalarIT0_EES1_PKS1_PKT1_SA_S7_PKT3_PKT4_S5_PT5_21rocsparse_index_base_b.has_indirect_call, 0
	.section	.AMDGPU.csdata,"",@progbits
; Kernel info:
; codeLenInByte = 1344
; TotalNumSgprs: 22
; NumVgprs: 17
; ScratchSize: 0
; MemoryBound: 0
; FloatMode: 240
; IeeeMode: 1
; LDSByteSize: 6728 bytes/workgroup (compile time only)
; SGPRBlocks: 10
; VGPRBlocks: 8
; NumSGPRsForWavesPerEU: 81
; NumVGPRsForWavesPerEU: 33
; Occupancy: 7
; WaveLimiterHint : 1
; COMPUTE_PGM_RSRC2:SCRATCH_EN: 0
; COMPUTE_PGM_RSRC2:USER_SGPR: 6
; COMPUTE_PGM_RSRC2:TRAP_HANDLER: 0
; COMPUTE_PGM_RSRC2:TGID_X_EN: 1
; COMPUTE_PGM_RSRC2:TGID_Y_EN: 0
; COMPUTE_PGM_RSRC2:TGID_Z_EN: 0
; COMPUTE_PGM_RSRC2:TIDIG_COMP_CNT: 0
	.section	.text._ZN9rocsparseL20bsrxmvn_17_32_kernelILj30EdiifddEEvT2_20rocsparse_direction_NS_24const_host_device_scalarIT0_EES1_PKS1_PKT1_SA_S7_PKT3_PKT4_S5_PT5_21rocsparse_index_base_b,"axG",@progbits,_ZN9rocsparseL20bsrxmvn_17_32_kernelILj30EdiifddEEvT2_20rocsparse_direction_NS_24const_host_device_scalarIT0_EES1_PKS1_PKT1_SA_S7_PKT3_PKT4_S5_PT5_21rocsparse_index_base_b,comdat
	.globl	_ZN9rocsparseL20bsrxmvn_17_32_kernelILj30EdiifddEEvT2_20rocsparse_direction_NS_24const_host_device_scalarIT0_EES1_PKS1_PKT1_SA_S7_PKT3_PKT4_S5_PT5_21rocsparse_index_base_b ; -- Begin function _ZN9rocsparseL20bsrxmvn_17_32_kernelILj30EdiifddEEvT2_20rocsparse_direction_NS_24const_host_device_scalarIT0_EES1_PKS1_PKT1_SA_S7_PKT3_PKT4_S5_PT5_21rocsparse_index_base_b
	.p2align	8
	.type	_ZN9rocsparseL20bsrxmvn_17_32_kernelILj30EdiifddEEvT2_20rocsparse_direction_NS_24const_host_device_scalarIT0_EES1_PKS1_PKT1_SA_S7_PKT3_PKT4_S5_PT5_21rocsparse_index_base_b,@function
_ZN9rocsparseL20bsrxmvn_17_32_kernelILj30EdiifddEEvT2_20rocsparse_direction_NS_24const_host_device_scalarIT0_EES1_PKS1_PKT1_SA_S7_PKT3_PKT4_S5_PT5_21rocsparse_index_base_b: ; @_ZN9rocsparseL20bsrxmvn_17_32_kernelILj30EdiifddEEvT2_20rocsparse_direction_NS_24const_host_device_scalarIT0_EES1_PKS1_PKT1_SA_S7_PKT3_PKT4_S5_PT5_21rocsparse_index_base_b
; %bb.0:
	s_load_dwordx2 s[14:15], s[4:5], 0x58
	s_load_dwordx2 s[8:9], s[4:5], 0x8
	;; [unrolled: 1-line block ×3, first 2 shown]
	s_waitcnt lgkmcnt(0)
	s_bitcmp1_b32 s15, 0
	s_cselect_b64 s[10:11], -1, 0
	v_mov_b32_e32 v3, s8
	s_xor_b64 s[2:3], s[10:11], -1
	s_and_b64 vcc, exec, s[10:11]
	v_mov_b32_e32 v4, s9
	s_cbranch_vccnz .LBB493_2
; %bb.1:
	v_mov_b32_e32 v1, s8
	v_mov_b32_e32 v2, s9
	flat_load_dwordx2 v[3:4], v[1:2]
.LBB493_2:
	v_mov_b32_e32 v2, s1
	s_andn2_b64 vcc, exec, s[2:3]
	v_mov_b32_e32 v1, s0
	s_cbranch_vccnz .LBB493_4
; %bb.3:
	v_mov_b32_e32 v2, s1
	v_mov_b32_e32 v1, s0
	flat_load_dwordx2 v[1:2], v[1:2]
.LBB493_4:
	s_waitcnt vmcnt(0) lgkmcnt(0)
	v_cmp_neq_f64_e32 vcc, 0, v[3:4]
	v_cmp_neq_f64_e64 s[0:1], 1.0, v[1:2]
	s_or_b64 s[0:1], vcc, s[0:1]
	s_and_saveexec_b64 s[2:3], s[0:1]
	s_cbranch_execz .LBB493_41
; %bb.5:
	s_load_dwordx4 s[0:3], s[4:5], 0x18
	s_load_dwordx2 s[8:9], s[4:5], 0x28
	s_waitcnt lgkmcnt(0)
	s_cmp_eq_u64 s[0:1], 0
	s_cbranch_scc1 .LBB493_7
; %bb.6:
	s_ashr_i32 s7, s6, 31
	s_lshl_b64 s[6:7], s[6:7], 2
	s_add_u32 s0, s0, s6
	s_addc_u32 s1, s1, s7
	s_load_dword s0, s[0:1], 0x0
	s_waitcnt lgkmcnt(0)
	s_sub_i32 s6, s0, s14
.LBB493_7:
	s_load_dword s0, s[4:5], 0x4
	s_load_dwordx2 s[12:13], s[4:5], 0x50
	v_mul_u32_u24_e32 v7, 0x889, v0
	v_mov_b32_e32 v5, 30
	v_mul_lo_u16_sdwa v8, v7, v5 dst_sel:DWORD dst_unused:UNUSED_PAD src0_sel:WORD_1 src1_sel:DWORD
	s_waitcnt lgkmcnt(0)
	s_cmp_eq_u32 s0, 1
	s_cselect_b64 vcc, -1, 0
	s_cmp_lg_u32 s0, 1
	s_cselect_b64 s[16:17], -1, 0
	s_ashr_i32 s7, s6, 31
	s_lshl_b64 s[0:1], s[6:7], 2
	s_add_u32 s2, s2, s0
	s_addc_u32 s3, s3, s1
	s_load_dword s7, s[2:3], 0x0
	s_add_u32 s2, s2, 4
	s_addc_u32 s3, s3, 0
	s_add_u32 s0, s8, s0
	s_addc_u32 s1, s9, s1
	s_cmp_eq_u64 s[8:9], 0
	s_cselect_b32 s1, s3, s1
	s_cselect_b32 s0, s2, s0
	s_load_dword s0, s[0:1], 0x0
	v_mov_b32_e32 v5, 0
	v_mov_b32_e32 v6, 0
	v_sub_u16_e32 v12, v0, v8
	s_waitcnt lgkmcnt(0)
	s_cmp_ge_i32 s7, s0
	s_cbranch_scc1 .LBB493_12
; %bb.8:
	s_load_dwordx4 s[8:11], s[4:5], 0x30
	s_load_dwordx2 s[2:3], s[4:5], 0x40
	s_sub_i32 s4, s0, s14
	s_mov_b32 s0, 0xffff
	s_movk_i32 s1, 0x384
	v_and_b32_sdwa v5, s0, v7 dst_sel:DWORD dst_unused:UNUSED_PAD src0_sel:DWORD src1_sel:WORD_1
	v_subrev_u32_e32 v6, 30, v5
	v_cmp_gt_u32_e64 s[0:1], s1, v0
	s_sub_i32 s5, s7, s14
	v_cndmask_b32_e64 v5, v6, v5, s[0:1]
	s_mul_i32 s1, s5, 0xe10
	s_mul_hi_i32 s0, s5, 0xe10
	s_waitcnt lgkmcnt(0)
	s_add_u32 s1, s10, s1
	v_cndmask_b32_e32 v7, v12, v5, vcc
	s_addc_u32 s0, s11, s0
	v_lshlrev_b32_e32 v5, 2, v0
	v_mov_b32_e32 v6, s0
	v_add_co_u32_e32 v8, vcc, s1, v5
	v_addc_co_u32_e32 v9, vcc, 0, v6, vcc
	s_movk_i32 s0, 0x383
	v_mov_b32_e32 v5, 0
	v_cmp_lt_u32_e32 vcc, s0, v0
	v_mov_b32_e32 v6, 0
	v_cndmask_b32_e64 v13, 0, 1, vcc
	s_branch .LBB493_10
.LBB493_9:                              ;   in Loop: Header=BB493_10 Depth=1
	s_or_b64 exec, exec, s[0:1]
	s_add_i32 s5, s5, 1
	s_cmp_lt_i32 s5, s4
	s_cbranch_scc0 .LBB493_12
.LBB493_10:                             ; =>This Inner Loop Header: Depth=1
	v_add_u32_e32 v10, s5, v13
	v_cmp_gt_i32_e32 vcc, s4, v10
	s_and_saveexec_b64 s[0:1], vcc
	s_cbranch_execz .LBB493_9
; %bb.11:                               ;   in Loop: Header=BB493_10 Depth=1
	v_ashrrev_i32_e32 v11, 31, v10
	v_lshlrev_b64 v[10:11], 2, v[10:11]
	v_mov_b32_e32 v14, s9
	v_add_co_u32_e32 v10, vcc, s8, v10
	v_addc_co_u32_e32 v11, vcc, v14, v11, vcc
	global_load_dword v10, v[10:11], off
	v_mov_b32_e32 v15, s3
	global_load_dword v14, v[8:9], off
	s_waitcnt vmcnt(1)
	v_subrev_u32_e32 v10, s14, v10
	v_mad_u64_u32 v[10:11], s[10:11], v10, 30, v[7:8]
	v_ashrrev_i32_e32 v11, 31, v10
	v_lshlrev_b64 v[10:11], 3, v[10:11]
	v_add_co_u32_e32 v10, vcc, s2, v10
	v_addc_co_u32_e32 v11, vcc, v15, v11, vcc
	global_load_dwordx2 v[10:11], v[10:11], off
	s_waitcnt vmcnt(1)
	v_cvt_f64_f32_e32 v[14:15], v14
	v_add_co_u32_e32 v8, vcc, 0xe10, v8
	v_addc_co_u32_e32 v9, vcc, 0, v9, vcc
	s_waitcnt vmcnt(0)
	v_fma_f64 v[5:6], v[14:15], v[10:11], v[5:6]
	s_branch .LBB493_9
.LBB493_12:
	v_lshlrev_b32_e32 v9, 3, v0
	s_and_b64 vcc, exec, s[16:17]
	ds_write_b64 v9, v[5:6]
	s_waitcnt lgkmcnt(0)
	s_barrier
	s_cbranch_vccz .LBB493_24
; %bb.13:
	v_cmp_gt_u16_e32 vcc, 14, v12
	s_and_saveexec_b64 s[0:1], vcc
	s_cbranch_execz .LBB493_15
; %bb.14:
	ds_read2_b64 v[13:16], v9 offset1:16
	s_waitcnt lgkmcnt(0)
	v_add_f64 v[7:8], v[15:16], v[13:14]
	ds_write_b64 v9, v[7:8]
.LBB493_15:
	s_or_b64 exec, exec, s[0:1]
	v_cmp_gt_u16_e32 vcc, 8, v12
	s_waitcnt lgkmcnt(0)
	s_barrier
	s_and_saveexec_b64 s[0:1], vcc
	s_cbranch_execz .LBB493_17
; %bb.16:
	ds_read2_b64 v[13:16], v9 offset1:8
	s_waitcnt lgkmcnt(0)
	v_add_f64 v[7:8], v[15:16], v[13:14]
	ds_write_b64 v9, v[7:8]
.LBB493_17:
	s_or_b64 exec, exec, s[0:1]
	v_cmp_gt_u16_e32 vcc, 4, v12
	s_waitcnt lgkmcnt(0)
	s_barrier
	;; [unrolled: 12-line block ×3, first 2 shown]
	s_and_saveexec_b64 s[0:1], vcc
	s_cbranch_execz .LBB493_21
; %bb.20:
	ds_read2_b64 v[10:13], v9 offset1:2
	s_waitcnt lgkmcnt(0)
	v_add_f64 v[7:8], v[12:13], v[10:11]
	ds_write_b64 v9, v[7:8]
.LBB493_21:
	s_or_b64 exec, exec, s[0:1]
	v_mov_b32_e32 v8, v6
	v_cmp_gt_u32_e32 vcc, 30, v0
	v_mov_b32_e32 v7, v5
	s_waitcnt lgkmcnt(0)
	s_barrier
	s_and_saveexec_b64 s[0:1], vcc
	s_cbranch_execz .LBB493_23
; %bb.22:
	s_movk_i32 s2, 0xe8
	v_mad_u32_u24 v7, v0, s2, v9
	ds_read_b128 v[10:13], v7
	s_waitcnt lgkmcnt(0)
	v_add_f64 v[7:8], v[10:11], v[12:13]
.LBB493_23:
	s_or_b64 exec, exec, s[0:1]
	s_branch .LBB493_36
.LBB493_24:
                                        ; implicit-def: $vgpr7_vgpr8
	s_cbranch_execz .LBB493_36
; %bb.25:
	s_movk_i32 s0, 0x1a4
	v_cmp_gt_u32_e32 vcc, s0, v0
	s_and_saveexec_b64 s[0:1], vcc
	s_cbranch_execz .LBB493_27
; %bb.26:
	ds_read_b64 v[7:8], v9 offset:3840
	ds_read_b64 v[10:11], v9
	s_waitcnt lgkmcnt(0)
	v_add_f64 v[7:8], v[7:8], v[10:11]
	ds_write_b64 v9, v[7:8]
.LBB493_27:
	s_or_b64 exec, exec, s[0:1]
	s_movk_i32 s0, 0xf0
	v_cmp_gt_u32_e32 vcc, s0, v0
	s_waitcnt lgkmcnt(0)
	s_barrier
	s_and_saveexec_b64 s[0:1], vcc
	s_cbranch_execz .LBB493_29
; %bb.28:
	ds_read2_b64 v[10:13], v9 offset1:240
	s_waitcnt lgkmcnt(0)
	v_add_f64 v[7:8], v[12:13], v[10:11]
	ds_write_b64 v9, v[7:8]
.LBB493_29:
	s_or_b64 exec, exec, s[0:1]
	s_movk_i32 s0, 0x78
	v_cmp_gt_u32_e32 vcc, s0, v0
	s_waitcnt lgkmcnt(0)
	s_barrier
	s_and_saveexec_b64 s[0:1], vcc
	s_cbranch_execz .LBB493_31
; %bb.30:
	ds_read2_b64 v[10:13], v9 offset1:120
	s_waitcnt lgkmcnt(0)
	v_add_f64 v[7:8], v[12:13], v[10:11]
	ds_write_b64 v9, v[7:8]
.LBB493_31:
	s_or_b64 exec, exec, s[0:1]
	v_cmp_gt_u32_e32 vcc, 60, v0
	s_waitcnt lgkmcnt(0)
	s_barrier
	s_and_saveexec_b64 s[0:1], vcc
	s_cbranch_execz .LBB493_33
; %bb.32:
	ds_read2_b64 v[10:13], v9 offset1:60
	s_waitcnt lgkmcnt(0)
	v_add_f64 v[7:8], v[12:13], v[10:11]
	ds_write_b64 v9, v[7:8]
.LBB493_33:
	s_or_b64 exec, exec, s[0:1]
	v_cmp_gt_u32_e32 vcc, 30, v0
	s_waitcnt lgkmcnt(0)
	s_and_saveexec_b64 s[0:1], vcc
	s_cbranch_execz .LBB493_35
; %bb.34:
	ds_read2_b64 v[5:8], v9 offset1:30
	s_waitcnt lgkmcnt(0)
	v_add_f64 v[5:6], v[5:6], v[7:8]
.LBB493_35:
	s_or_b64 exec, exec, s[0:1]
	v_mov_b32_e32 v8, v6
	v_mov_b32_e32 v7, v5
.LBB493_36:
	v_cmp_gt_u32_e32 vcc, 30, v0
	s_and_b64 exec, exec, vcc
	s_cbranch_execz .LBB493_41
; %bb.37:
	v_cmp_eq_f64_e32 vcc, 0, v[1:2]
	v_mul_f64 v[3:4], v[3:4], v[7:8]
	s_and_saveexec_b64 s[0:1], vcc
	s_xor_b64 s[0:1], exec, s[0:1]
	s_cbranch_execz .LBB493_39
; %bb.38:
	v_mad_u64_u32 v[0:1], s[2:3], s6, 30, v[0:1]
	v_mov_b32_e32 v1, 0
	v_mov_b32_e32 v2, s13
	v_lshlrev_b64 v[0:1], 3, v[0:1]
	v_add_co_u32_e32 v0, vcc, s12, v0
	v_addc_co_u32_e32 v1, vcc, v2, v1, vcc
	global_store_dwordx2 v[0:1], v[3:4], off
                                        ; implicit-def: $vgpr0
                                        ; implicit-def: $vgpr1_vgpr2
                                        ; implicit-def: $vgpr3_vgpr4
.LBB493_39:
	s_andn2_saveexec_b64 s[0:1], s[0:1]
	s_cbranch_execz .LBB493_41
; %bb.40:
	v_mad_u64_u32 v[5:6], s[0:1], s6, 30, v[0:1]
	v_mov_b32_e32 v6, 0
	v_mov_b32_e32 v0, s13
	v_lshlrev_b64 v[5:6], 3, v[5:6]
	v_add_co_u32_e32 v5, vcc, s12, v5
	v_addc_co_u32_e32 v6, vcc, v0, v6, vcc
	global_load_dwordx2 v[7:8], v[5:6], off
	s_waitcnt vmcnt(0)
	v_fma_f64 v[0:1], v[1:2], v[7:8], v[3:4]
	global_store_dwordx2 v[5:6], v[0:1], off
.LBB493_41:
	s_endpgm
	.section	.rodata,"a",@progbits
	.p2align	6, 0x0
	.amdhsa_kernel _ZN9rocsparseL20bsrxmvn_17_32_kernelILj30EdiifddEEvT2_20rocsparse_direction_NS_24const_host_device_scalarIT0_EES1_PKS1_PKT1_SA_S7_PKT3_PKT4_S5_PT5_21rocsparse_index_base_b
		.amdhsa_group_segment_fixed_size 7200
		.amdhsa_private_segment_fixed_size 0
		.amdhsa_kernarg_size 96
		.amdhsa_user_sgpr_count 6
		.amdhsa_user_sgpr_private_segment_buffer 1
		.amdhsa_user_sgpr_dispatch_ptr 0
		.amdhsa_user_sgpr_queue_ptr 0
		.amdhsa_user_sgpr_kernarg_segment_ptr 1
		.amdhsa_user_sgpr_dispatch_id 0
		.amdhsa_user_sgpr_flat_scratch_init 0
		.amdhsa_user_sgpr_private_segment_size 0
		.amdhsa_uses_dynamic_stack 0
		.amdhsa_system_sgpr_private_segment_wavefront_offset 0
		.amdhsa_system_sgpr_workgroup_id_x 1
		.amdhsa_system_sgpr_workgroup_id_y 0
		.amdhsa_system_sgpr_workgroup_id_z 0
		.amdhsa_system_sgpr_workgroup_info 0
		.amdhsa_system_vgpr_workitem_id 0
		.amdhsa_next_free_vgpr 29
		.amdhsa_next_free_sgpr 61
		.amdhsa_reserve_vcc 1
		.amdhsa_reserve_flat_scratch 0
		.amdhsa_float_round_mode_32 0
		.amdhsa_float_round_mode_16_64 0
		.amdhsa_float_denorm_mode_32 3
		.amdhsa_float_denorm_mode_16_64 3
		.amdhsa_dx10_clamp 1
		.amdhsa_ieee_mode 1
		.amdhsa_fp16_overflow 0
		.amdhsa_exception_fp_ieee_invalid_op 0
		.amdhsa_exception_fp_denorm_src 0
		.amdhsa_exception_fp_ieee_div_zero 0
		.amdhsa_exception_fp_ieee_overflow 0
		.amdhsa_exception_fp_ieee_underflow 0
		.amdhsa_exception_fp_ieee_inexact 0
		.amdhsa_exception_int_div_zero 0
	.end_amdhsa_kernel
	.section	.text._ZN9rocsparseL20bsrxmvn_17_32_kernelILj30EdiifddEEvT2_20rocsparse_direction_NS_24const_host_device_scalarIT0_EES1_PKS1_PKT1_SA_S7_PKT3_PKT4_S5_PT5_21rocsparse_index_base_b,"axG",@progbits,_ZN9rocsparseL20bsrxmvn_17_32_kernelILj30EdiifddEEvT2_20rocsparse_direction_NS_24const_host_device_scalarIT0_EES1_PKS1_PKT1_SA_S7_PKT3_PKT4_S5_PT5_21rocsparse_index_base_b,comdat
.Lfunc_end493:
	.size	_ZN9rocsparseL20bsrxmvn_17_32_kernelILj30EdiifddEEvT2_20rocsparse_direction_NS_24const_host_device_scalarIT0_EES1_PKS1_PKT1_SA_S7_PKT3_PKT4_S5_PT5_21rocsparse_index_base_b, .Lfunc_end493-_ZN9rocsparseL20bsrxmvn_17_32_kernelILj30EdiifddEEvT2_20rocsparse_direction_NS_24const_host_device_scalarIT0_EES1_PKS1_PKT1_SA_S7_PKT3_PKT4_S5_PT5_21rocsparse_index_base_b
                                        ; -- End function
	.set _ZN9rocsparseL20bsrxmvn_17_32_kernelILj30EdiifddEEvT2_20rocsparse_direction_NS_24const_host_device_scalarIT0_EES1_PKS1_PKT1_SA_S7_PKT3_PKT4_S5_PT5_21rocsparse_index_base_b.num_vgpr, 17
	.set _ZN9rocsparseL20bsrxmvn_17_32_kernelILj30EdiifddEEvT2_20rocsparse_direction_NS_24const_host_device_scalarIT0_EES1_PKS1_PKT1_SA_S7_PKT3_PKT4_S5_PT5_21rocsparse_index_base_b.num_agpr, 0
	.set _ZN9rocsparseL20bsrxmvn_17_32_kernelILj30EdiifddEEvT2_20rocsparse_direction_NS_24const_host_device_scalarIT0_EES1_PKS1_PKT1_SA_S7_PKT3_PKT4_S5_PT5_21rocsparse_index_base_b.numbered_sgpr, 18
	.set _ZN9rocsparseL20bsrxmvn_17_32_kernelILj30EdiifddEEvT2_20rocsparse_direction_NS_24const_host_device_scalarIT0_EES1_PKS1_PKT1_SA_S7_PKT3_PKT4_S5_PT5_21rocsparse_index_base_b.num_named_barrier, 0
	.set _ZN9rocsparseL20bsrxmvn_17_32_kernelILj30EdiifddEEvT2_20rocsparse_direction_NS_24const_host_device_scalarIT0_EES1_PKS1_PKT1_SA_S7_PKT3_PKT4_S5_PT5_21rocsparse_index_base_b.private_seg_size, 0
	.set _ZN9rocsparseL20bsrxmvn_17_32_kernelILj30EdiifddEEvT2_20rocsparse_direction_NS_24const_host_device_scalarIT0_EES1_PKS1_PKT1_SA_S7_PKT3_PKT4_S5_PT5_21rocsparse_index_base_b.uses_vcc, 1
	.set _ZN9rocsparseL20bsrxmvn_17_32_kernelILj30EdiifddEEvT2_20rocsparse_direction_NS_24const_host_device_scalarIT0_EES1_PKS1_PKT1_SA_S7_PKT3_PKT4_S5_PT5_21rocsparse_index_base_b.uses_flat_scratch, 0
	.set _ZN9rocsparseL20bsrxmvn_17_32_kernelILj30EdiifddEEvT2_20rocsparse_direction_NS_24const_host_device_scalarIT0_EES1_PKS1_PKT1_SA_S7_PKT3_PKT4_S5_PT5_21rocsparse_index_base_b.has_dyn_sized_stack, 0
	.set _ZN9rocsparseL20bsrxmvn_17_32_kernelILj30EdiifddEEvT2_20rocsparse_direction_NS_24const_host_device_scalarIT0_EES1_PKS1_PKT1_SA_S7_PKT3_PKT4_S5_PT5_21rocsparse_index_base_b.has_recursion, 0
	.set _ZN9rocsparseL20bsrxmvn_17_32_kernelILj30EdiifddEEvT2_20rocsparse_direction_NS_24const_host_device_scalarIT0_EES1_PKS1_PKT1_SA_S7_PKT3_PKT4_S5_PT5_21rocsparse_index_base_b.has_indirect_call, 0
	.section	.AMDGPU.csdata,"",@progbits
; Kernel info:
; codeLenInByte = 1344
; TotalNumSgprs: 22
; NumVgprs: 17
; ScratchSize: 0
; MemoryBound: 0
; FloatMode: 240
; IeeeMode: 1
; LDSByteSize: 7200 bytes/workgroup (compile time only)
; SGPRBlocks: 8
; VGPRBlocks: 7
; NumSGPRsForWavesPerEU: 65
; NumVGPRsForWavesPerEU: 29
; Occupancy: 8
; WaveLimiterHint : 1
; COMPUTE_PGM_RSRC2:SCRATCH_EN: 0
; COMPUTE_PGM_RSRC2:USER_SGPR: 6
; COMPUTE_PGM_RSRC2:TRAP_HANDLER: 0
; COMPUTE_PGM_RSRC2:TGID_X_EN: 1
; COMPUTE_PGM_RSRC2:TGID_Y_EN: 0
; COMPUTE_PGM_RSRC2:TGID_Z_EN: 0
; COMPUTE_PGM_RSRC2:TIDIG_COMP_CNT: 0
	.section	.text._ZN9rocsparseL20bsrxmvn_17_32_kernelILj31EdiifddEEvT2_20rocsparse_direction_NS_24const_host_device_scalarIT0_EES1_PKS1_PKT1_SA_S7_PKT3_PKT4_S5_PT5_21rocsparse_index_base_b,"axG",@progbits,_ZN9rocsparseL20bsrxmvn_17_32_kernelILj31EdiifddEEvT2_20rocsparse_direction_NS_24const_host_device_scalarIT0_EES1_PKS1_PKT1_SA_S7_PKT3_PKT4_S5_PT5_21rocsparse_index_base_b,comdat
	.globl	_ZN9rocsparseL20bsrxmvn_17_32_kernelILj31EdiifddEEvT2_20rocsparse_direction_NS_24const_host_device_scalarIT0_EES1_PKS1_PKT1_SA_S7_PKT3_PKT4_S5_PT5_21rocsparse_index_base_b ; -- Begin function _ZN9rocsparseL20bsrxmvn_17_32_kernelILj31EdiifddEEvT2_20rocsparse_direction_NS_24const_host_device_scalarIT0_EES1_PKS1_PKT1_SA_S7_PKT3_PKT4_S5_PT5_21rocsparse_index_base_b
	.p2align	8
	.type	_ZN9rocsparseL20bsrxmvn_17_32_kernelILj31EdiifddEEvT2_20rocsparse_direction_NS_24const_host_device_scalarIT0_EES1_PKS1_PKT1_SA_S7_PKT3_PKT4_S5_PT5_21rocsparse_index_base_b,@function
_ZN9rocsparseL20bsrxmvn_17_32_kernelILj31EdiifddEEvT2_20rocsparse_direction_NS_24const_host_device_scalarIT0_EES1_PKS1_PKT1_SA_S7_PKT3_PKT4_S5_PT5_21rocsparse_index_base_b: ; @_ZN9rocsparseL20bsrxmvn_17_32_kernelILj31EdiifddEEvT2_20rocsparse_direction_NS_24const_host_device_scalarIT0_EES1_PKS1_PKT1_SA_S7_PKT3_PKT4_S5_PT5_21rocsparse_index_base_b
; %bb.0:
	s_load_dwordx2 s[14:15], s[4:5], 0x58
	s_load_dwordx2 s[8:9], s[4:5], 0x8
	;; [unrolled: 1-line block ×3, first 2 shown]
	s_waitcnt lgkmcnt(0)
	s_bitcmp1_b32 s15, 0
	s_cselect_b64 s[10:11], -1, 0
	v_mov_b32_e32 v3, s8
	s_xor_b64 s[2:3], s[10:11], -1
	s_and_b64 vcc, exec, s[10:11]
	v_mov_b32_e32 v4, s9
	s_cbranch_vccnz .LBB494_2
; %bb.1:
	v_mov_b32_e32 v1, s8
	v_mov_b32_e32 v2, s9
	flat_load_dwordx2 v[3:4], v[1:2]
.LBB494_2:
	v_mov_b32_e32 v2, s1
	s_andn2_b64 vcc, exec, s[2:3]
	v_mov_b32_e32 v1, s0
	s_cbranch_vccnz .LBB494_4
; %bb.3:
	v_mov_b32_e32 v2, s1
	v_mov_b32_e32 v1, s0
	flat_load_dwordx2 v[1:2], v[1:2]
.LBB494_4:
	s_waitcnt vmcnt(0) lgkmcnt(0)
	v_cmp_neq_f64_e32 vcc, 0, v[3:4]
	v_cmp_neq_f64_e64 s[0:1], 1.0, v[1:2]
	s_or_b64 s[0:1], vcc, s[0:1]
	s_and_saveexec_b64 s[2:3], s[0:1]
	s_cbranch_execz .LBB494_41
; %bb.5:
	s_load_dwordx4 s[0:3], s[4:5], 0x18
	s_load_dwordx2 s[8:9], s[4:5], 0x28
	s_waitcnt lgkmcnt(0)
	s_cmp_eq_u64 s[0:1], 0
	s_cbranch_scc1 .LBB494_7
; %bb.6:
	s_ashr_i32 s7, s6, 31
	s_lshl_b64 s[6:7], s[6:7], 2
	s_add_u32 s0, s0, s6
	s_addc_u32 s1, s1, s7
	s_load_dword s0, s[0:1], 0x0
	s_waitcnt lgkmcnt(0)
	s_sub_i32 s6, s0, s14
.LBB494_7:
	s_load_dword s0, s[4:5], 0x4
	s_load_dwordx2 s[12:13], s[4:5], 0x50
	v_mul_u32_u24_e32 v7, 0x843, v0
	v_mov_b32_e32 v5, 31
	v_mul_lo_u16_sdwa v8, v7, v5 dst_sel:DWORD dst_unused:UNUSED_PAD src0_sel:WORD_1 src1_sel:DWORD
	s_waitcnt lgkmcnt(0)
	s_cmp_eq_u32 s0, 1
	s_cselect_b64 vcc, -1, 0
	s_cmp_lg_u32 s0, 1
	s_cselect_b64 s[16:17], -1, 0
	s_ashr_i32 s7, s6, 31
	s_lshl_b64 s[0:1], s[6:7], 2
	s_add_u32 s2, s2, s0
	s_addc_u32 s3, s3, s1
	s_load_dword s7, s[2:3], 0x0
	s_add_u32 s2, s2, 4
	s_addc_u32 s3, s3, 0
	s_add_u32 s0, s8, s0
	s_addc_u32 s1, s9, s1
	s_cmp_eq_u64 s[8:9], 0
	s_cselect_b32 s1, s3, s1
	s_cselect_b32 s0, s2, s0
	s_load_dword s0, s[0:1], 0x0
	v_mov_b32_e32 v5, 0
	v_mov_b32_e32 v6, 0
	v_sub_u16_e32 v12, v0, v8
	s_waitcnt lgkmcnt(0)
	s_cmp_ge_i32 s7, s0
	s_cbranch_scc1 .LBB494_12
; %bb.8:
	s_load_dwordx4 s[8:11], s[4:5], 0x30
	s_load_dwordx2 s[2:3], s[4:5], 0x40
	s_sub_i32 s4, s0, s14
	s_mov_b32 s0, 0xffff
	s_movk_i32 s1, 0x3c1
	v_and_b32_sdwa v5, s0, v7 dst_sel:DWORD dst_unused:UNUSED_PAD src0_sel:DWORD src1_sel:WORD_1
	v_subrev_u32_e32 v6, 31, v5
	v_cmp_gt_u32_e64 s[0:1], s1, v0
	s_sub_i32 s5, s7, s14
	v_cndmask_b32_e64 v5, v6, v5, s[0:1]
	s_mul_i32 s1, s5, 0xf04
	s_mul_hi_i32 s0, s5, 0xf04
	s_waitcnt lgkmcnt(0)
	s_add_u32 s1, s10, s1
	v_cndmask_b32_e32 v7, v12, v5, vcc
	s_addc_u32 s0, s11, s0
	v_lshlrev_b32_e32 v5, 2, v0
	v_mov_b32_e32 v6, s0
	v_add_co_u32_e32 v8, vcc, s1, v5
	v_addc_co_u32_e32 v9, vcc, 0, v6, vcc
	s_movk_i32 s0, 0x3c0
	v_mov_b32_e32 v5, 0
	v_cmp_lt_u32_e32 vcc, s0, v0
	v_mov_b32_e32 v6, 0
	v_cndmask_b32_e64 v13, 0, 1, vcc
	s_branch .LBB494_10
.LBB494_9:                              ;   in Loop: Header=BB494_10 Depth=1
	s_or_b64 exec, exec, s[0:1]
	s_add_i32 s5, s5, 1
	s_cmp_lt_i32 s5, s4
	s_cbranch_scc0 .LBB494_12
.LBB494_10:                             ; =>This Inner Loop Header: Depth=1
	v_add_u32_e32 v10, s5, v13
	v_cmp_gt_i32_e32 vcc, s4, v10
	s_and_saveexec_b64 s[0:1], vcc
	s_cbranch_execz .LBB494_9
; %bb.11:                               ;   in Loop: Header=BB494_10 Depth=1
	v_ashrrev_i32_e32 v11, 31, v10
	v_lshlrev_b64 v[10:11], 2, v[10:11]
	v_mov_b32_e32 v14, s9
	v_add_co_u32_e32 v10, vcc, s8, v10
	v_addc_co_u32_e32 v11, vcc, v14, v11, vcc
	global_load_dword v10, v[10:11], off
	v_mov_b32_e32 v15, s3
	global_load_dword v14, v[8:9], off
	s_waitcnt vmcnt(1)
	v_subrev_u32_e32 v10, s14, v10
	v_mad_u64_u32 v[10:11], s[10:11], v10, 31, v[7:8]
	v_ashrrev_i32_e32 v11, 31, v10
	v_lshlrev_b64 v[10:11], 3, v[10:11]
	v_add_co_u32_e32 v10, vcc, s2, v10
	v_addc_co_u32_e32 v11, vcc, v15, v11, vcc
	global_load_dwordx2 v[10:11], v[10:11], off
	s_waitcnt vmcnt(1)
	v_cvt_f64_f32_e32 v[14:15], v14
	v_add_co_u32_e32 v8, vcc, 0xf04, v8
	v_addc_co_u32_e32 v9, vcc, 0, v9, vcc
	s_waitcnt vmcnt(0)
	v_fma_f64 v[5:6], v[14:15], v[10:11], v[5:6]
	s_branch .LBB494_9
.LBB494_12:
	v_lshlrev_b32_e32 v9, 3, v0
	s_and_b64 vcc, exec, s[16:17]
	ds_write_b64 v9, v[5:6]
	s_waitcnt lgkmcnt(0)
	s_barrier
	s_cbranch_vccz .LBB494_24
; %bb.13:
	v_cmp_gt_u16_e32 vcc, 15, v12
	s_and_saveexec_b64 s[0:1], vcc
	s_cbranch_execz .LBB494_15
; %bb.14:
	ds_read2_b64 v[13:16], v9 offset1:16
	s_waitcnt lgkmcnt(0)
	v_add_f64 v[7:8], v[15:16], v[13:14]
	ds_write_b64 v9, v[7:8]
.LBB494_15:
	s_or_b64 exec, exec, s[0:1]
	v_cmp_gt_u16_e32 vcc, 8, v12
	s_waitcnt lgkmcnt(0)
	s_barrier
	s_and_saveexec_b64 s[0:1], vcc
	s_cbranch_execz .LBB494_17
; %bb.16:
	ds_read2_b64 v[13:16], v9 offset1:8
	s_waitcnt lgkmcnt(0)
	v_add_f64 v[7:8], v[15:16], v[13:14]
	ds_write_b64 v9, v[7:8]
.LBB494_17:
	s_or_b64 exec, exec, s[0:1]
	v_cmp_gt_u16_e32 vcc, 4, v12
	s_waitcnt lgkmcnt(0)
	s_barrier
	;; [unrolled: 12-line block ×3, first 2 shown]
	s_and_saveexec_b64 s[0:1], vcc
	s_cbranch_execz .LBB494_21
; %bb.20:
	ds_read2_b64 v[10:13], v9 offset1:2
	s_waitcnt lgkmcnt(0)
	v_add_f64 v[7:8], v[12:13], v[10:11]
	ds_write_b64 v9, v[7:8]
.LBB494_21:
	s_or_b64 exec, exec, s[0:1]
	v_mov_b32_e32 v8, v6
	v_cmp_gt_u32_e32 vcc, 31, v0
	v_mov_b32_e32 v7, v5
	s_waitcnt lgkmcnt(0)
	s_barrier
	s_and_saveexec_b64 s[0:1], vcc
	s_cbranch_execz .LBB494_23
; %bb.22:
	s_movk_i32 s2, 0xf0
	v_mad_u32_u24 v7, v0, s2, v9
	ds_read2_b64 v[10:13], v7 offset1:1
	s_waitcnt lgkmcnt(0)
	v_add_f64 v[7:8], v[10:11], v[12:13]
.LBB494_23:
	s_or_b64 exec, exec, s[0:1]
	s_branch .LBB494_36
.LBB494_24:
                                        ; implicit-def: $vgpr7_vgpr8
	s_cbranch_execz .LBB494_36
; %bb.25:
	s_movk_i32 s0, 0x1d1
	v_cmp_gt_u32_e32 vcc, s0, v0
	s_and_saveexec_b64 s[0:1], vcc
	s_cbranch_execz .LBB494_27
; %bb.26:
	ds_read_b64 v[7:8], v9 offset:3968
	ds_read_b64 v[10:11], v9
	s_waitcnt lgkmcnt(0)
	v_add_f64 v[7:8], v[7:8], v[10:11]
	ds_write_b64 v9, v[7:8]
.LBB494_27:
	s_or_b64 exec, exec, s[0:1]
	s_movk_i32 s0, 0xf8
	v_cmp_gt_u32_e32 vcc, s0, v0
	s_waitcnt lgkmcnt(0)
	s_barrier
	s_and_saveexec_b64 s[0:1], vcc
	s_cbranch_execz .LBB494_29
; %bb.28:
	ds_read2_b64 v[10:13], v9 offset1:248
	s_waitcnt lgkmcnt(0)
	v_add_f64 v[7:8], v[12:13], v[10:11]
	ds_write_b64 v9, v[7:8]
.LBB494_29:
	s_or_b64 exec, exec, s[0:1]
	s_movk_i32 s0, 0x7c
	v_cmp_gt_u32_e32 vcc, s0, v0
	s_waitcnt lgkmcnt(0)
	s_barrier
	s_and_saveexec_b64 s[0:1], vcc
	s_cbranch_execz .LBB494_31
; %bb.30:
	ds_read2_b64 v[10:13], v9 offset1:124
	s_waitcnt lgkmcnt(0)
	v_add_f64 v[7:8], v[12:13], v[10:11]
	ds_write_b64 v9, v[7:8]
.LBB494_31:
	s_or_b64 exec, exec, s[0:1]
	v_cmp_gt_u32_e32 vcc, 62, v0
	s_waitcnt lgkmcnt(0)
	s_barrier
	s_and_saveexec_b64 s[0:1], vcc
	s_cbranch_execz .LBB494_33
; %bb.32:
	ds_read2_b64 v[10:13], v9 offset1:62
	s_waitcnt lgkmcnt(0)
	v_add_f64 v[7:8], v[12:13], v[10:11]
	ds_write_b64 v9, v[7:8]
.LBB494_33:
	s_or_b64 exec, exec, s[0:1]
	v_cmp_gt_u32_e32 vcc, 31, v0
	s_waitcnt lgkmcnt(0)
	s_and_saveexec_b64 s[0:1], vcc
	s_cbranch_execz .LBB494_35
; %bb.34:
	ds_read2_b64 v[5:8], v9 offset1:31
	s_waitcnt lgkmcnt(0)
	v_add_f64 v[5:6], v[5:6], v[7:8]
.LBB494_35:
	s_or_b64 exec, exec, s[0:1]
	v_mov_b32_e32 v8, v6
	v_mov_b32_e32 v7, v5
.LBB494_36:
	v_cmp_gt_u32_e32 vcc, 31, v0
	s_and_b64 exec, exec, vcc
	s_cbranch_execz .LBB494_41
; %bb.37:
	v_cmp_eq_f64_e32 vcc, 0, v[1:2]
	v_mul_f64 v[3:4], v[3:4], v[7:8]
	s_and_saveexec_b64 s[0:1], vcc
	s_xor_b64 s[0:1], exec, s[0:1]
	s_cbranch_execz .LBB494_39
; %bb.38:
	v_mad_u64_u32 v[0:1], s[2:3], s6, 31, v[0:1]
	v_mov_b32_e32 v1, 0
	v_mov_b32_e32 v2, s13
	v_lshlrev_b64 v[0:1], 3, v[0:1]
	v_add_co_u32_e32 v0, vcc, s12, v0
	v_addc_co_u32_e32 v1, vcc, v2, v1, vcc
	global_store_dwordx2 v[0:1], v[3:4], off
                                        ; implicit-def: $vgpr0
                                        ; implicit-def: $vgpr1_vgpr2
                                        ; implicit-def: $vgpr3_vgpr4
.LBB494_39:
	s_andn2_saveexec_b64 s[0:1], s[0:1]
	s_cbranch_execz .LBB494_41
; %bb.40:
	v_mad_u64_u32 v[5:6], s[0:1], s6, 31, v[0:1]
	v_mov_b32_e32 v6, 0
	v_mov_b32_e32 v0, s13
	v_lshlrev_b64 v[5:6], 3, v[5:6]
	v_add_co_u32_e32 v5, vcc, s12, v5
	v_addc_co_u32_e32 v6, vcc, v0, v6, vcc
	global_load_dwordx2 v[7:8], v[5:6], off
	s_waitcnt vmcnt(0)
	v_fma_f64 v[0:1], v[1:2], v[7:8], v[3:4]
	global_store_dwordx2 v[5:6], v[0:1], off
.LBB494_41:
	s_endpgm
	.section	.rodata,"a",@progbits
	.p2align	6, 0x0
	.amdhsa_kernel _ZN9rocsparseL20bsrxmvn_17_32_kernelILj31EdiifddEEvT2_20rocsparse_direction_NS_24const_host_device_scalarIT0_EES1_PKS1_PKT1_SA_S7_PKT3_PKT4_S5_PT5_21rocsparse_index_base_b
		.amdhsa_group_segment_fixed_size 7688
		.amdhsa_private_segment_fixed_size 0
		.amdhsa_kernarg_size 96
		.amdhsa_user_sgpr_count 6
		.amdhsa_user_sgpr_private_segment_buffer 1
		.amdhsa_user_sgpr_dispatch_ptr 0
		.amdhsa_user_sgpr_queue_ptr 0
		.amdhsa_user_sgpr_kernarg_segment_ptr 1
		.amdhsa_user_sgpr_dispatch_id 0
		.amdhsa_user_sgpr_flat_scratch_init 0
		.amdhsa_user_sgpr_private_segment_size 0
		.amdhsa_uses_dynamic_stack 0
		.amdhsa_system_sgpr_private_segment_wavefront_offset 0
		.amdhsa_system_sgpr_workgroup_id_x 1
		.amdhsa_system_sgpr_workgroup_id_y 0
		.amdhsa_system_sgpr_workgroup_id_z 0
		.amdhsa_system_sgpr_workgroup_info 0
		.amdhsa_system_vgpr_workitem_id 0
		.amdhsa_next_free_vgpr 29
		.amdhsa_next_free_sgpr 61
		.amdhsa_reserve_vcc 1
		.amdhsa_reserve_flat_scratch 0
		.amdhsa_float_round_mode_32 0
		.amdhsa_float_round_mode_16_64 0
		.amdhsa_float_denorm_mode_32 3
		.amdhsa_float_denorm_mode_16_64 3
		.amdhsa_dx10_clamp 1
		.amdhsa_ieee_mode 1
		.amdhsa_fp16_overflow 0
		.amdhsa_exception_fp_ieee_invalid_op 0
		.amdhsa_exception_fp_denorm_src 0
		.amdhsa_exception_fp_ieee_div_zero 0
		.amdhsa_exception_fp_ieee_overflow 0
		.amdhsa_exception_fp_ieee_underflow 0
		.amdhsa_exception_fp_ieee_inexact 0
		.amdhsa_exception_int_div_zero 0
	.end_amdhsa_kernel
	.section	.text._ZN9rocsparseL20bsrxmvn_17_32_kernelILj31EdiifddEEvT2_20rocsparse_direction_NS_24const_host_device_scalarIT0_EES1_PKS1_PKT1_SA_S7_PKT3_PKT4_S5_PT5_21rocsparse_index_base_b,"axG",@progbits,_ZN9rocsparseL20bsrxmvn_17_32_kernelILj31EdiifddEEvT2_20rocsparse_direction_NS_24const_host_device_scalarIT0_EES1_PKS1_PKT1_SA_S7_PKT3_PKT4_S5_PT5_21rocsparse_index_base_b,comdat
.Lfunc_end494:
	.size	_ZN9rocsparseL20bsrxmvn_17_32_kernelILj31EdiifddEEvT2_20rocsparse_direction_NS_24const_host_device_scalarIT0_EES1_PKS1_PKT1_SA_S7_PKT3_PKT4_S5_PT5_21rocsparse_index_base_b, .Lfunc_end494-_ZN9rocsparseL20bsrxmvn_17_32_kernelILj31EdiifddEEvT2_20rocsparse_direction_NS_24const_host_device_scalarIT0_EES1_PKS1_PKT1_SA_S7_PKT3_PKT4_S5_PT5_21rocsparse_index_base_b
                                        ; -- End function
	.set _ZN9rocsparseL20bsrxmvn_17_32_kernelILj31EdiifddEEvT2_20rocsparse_direction_NS_24const_host_device_scalarIT0_EES1_PKS1_PKT1_SA_S7_PKT3_PKT4_S5_PT5_21rocsparse_index_base_b.num_vgpr, 17
	.set _ZN9rocsparseL20bsrxmvn_17_32_kernelILj31EdiifddEEvT2_20rocsparse_direction_NS_24const_host_device_scalarIT0_EES1_PKS1_PKT1_SA_S7_PKT3_PKT4_S5_PT5_21rocsparse_index_base_b.num_agpr, 0
	.set _ZN9rocsparseL20bsrxmvn_17_32_kernelILj31EdiifddEEvT2_20rocsparse_direction_NS_24const_host_device_scalarIT0_EES1_PKS1_PKT1_SA_S7_PKT3_PKT4_S5_PT5_21rocsparse_index_base_b.numbered_sgpr, 18
	.set _ZN9rocsparseL20bsrxmvn_17_32_kernelILj31EdiifddEEvT2_20rocsparse_direction_NS_24const_host_device_scalarIT0_EES1_PKS1_PKT1_SA_S7_PKT3_PKT4_S5_PT5_21rocsparse_index_base_b.num_named_barrier, 0
	.set _ZN9rocsparseL20bsrxmvn_17_32_kernelILj31EdiifddEEvT2_20rocsparse_direction_NS_24const_host_device_scalarIT0_EES1_PKS1_PKT1_SA_S7_PKT3_PKT4_S5_PT5_21rocsparse_index_base_b.private_seg_size, 0
	.set _ZN9rocsparseL20bsrxmvn_17_32_kernelILj31EdiifddEEvT2_20rocsparse_direction_NS_24const_host_device_scalarIT0_EES1_PKS1_PKT1_SA_S7_PKT3_PKT4_S5_PT5_21rocsparse_index_base_b.uses_vcc, 1
	.set _ZN9rocsparseL20bsrxmvn_17_32_kernelILj31EdiifddEEvT2_20rocsparse_direction_NS_24const_host_device_scalarIT0_EES1_PKS1_PKT1_SA_S7_PKT3_PKT4_S5_PT5_21rocsparse_index_base_b.uses_flat_scratch, 0
	.set _ZN9rocsparseL20bsrxmvn_17_32_kernelILj31EdiifddEEvT2_20rocsparse_direction_NS_24const_host_device_scalarIT0_EES1_PKS1_PKT1_SA_S7_PKT3_PKT4_S5_PT5_21rocsparse_index_base_b.has_dyn_sized_stack, 0
	.set _ZN9rocsparseL20bsrxmvn_17_32_kernelILj31EdiifddEEvT2_20rocsparse_direction_NS_24const_host_device_scalarIT0_EES1_PKS1_PKT1_SA_S7_PKT3_PKT4_S5_PT5_21rocsparse_index_base_b.has_recursion, 0
	.set _ZN9rocsparseL20bsrxmvn_17_32_kernelILj31EdiifddEEvT2_20rocsparse_direction_NS_24const_host_device_scalarIT0_EES1_PKS1_PKT1_SA_S7_PKT3_PKT4_S5_PT5_21rocsparse_index_base_b.has_indirect_call, 0
	.section	.AMDGPU.csdata,"",@progbits
; Kernel info:
; codeLenInByte = 1344
; TotalNumSgprs: 22
; NumVgprs: 17
; ScratchSize: 0
; MemoryBound: 0
; FloatMode: 240
; IeeeMode: 1
; LDSByteSize: 7688 bytes/workgroup (compile time only)
; SGPRBlocks: 8
; VGPRBlocks: 7
; NumSGPRsForWavesPerEU: 65
; NumVGPRsForWavesPerEU: 29
; Occupancy: 8
; WaveLimiterHint : 1
; COMPUTE_PGM_RSRC2:SCRATCH_EN: 0
; COMPUTE_PGM_RSRC2:USER_SGPR: 6
; COMPUTE_PGM_RSRC2:TRAP_HANDLER: 0
; COMPUTE_PGM_RSRC2:TGID_X_EN: 1
; COMPUTE_PGM_RSRC2:TGID_Y_EN: 0
; COMPUTE_PGM_RSRC2:TGID_Z_EN: 0
; COMPUTE_PGM_RSRC2:TIDIG_COMP_CNT: 0
	.section	.text._ZN9rocsparseL20bsrxmvn_17_32_kernelILj32EdiifddEEvT2_20rocsparse_direction_NS_24const_host_device_scalarIT0_EES1_PKS1_PKT1_SA_S7_PKT3_PKT4_S5_PT5_21rocsparse_index_base_b,"axG",@progbits,_ZN9rocsparseL20bsrxmvn_17_32_kernelILj32EdiifddEEvT2_20rocsparse_direction_NS_24const_host_device_scalarIT0_EES1_PKS1_PKT1_SA_S7_PKT3_PKT4_S5_PT5_21rocsparse_index_base_b,comdat
	.globl	_ZN9rocsparseL20bsrxmvn_17_32_kernelILj32EdiifddEEvT2_20rocsparse_direction_NS_24const_host_device_scalarIT0_EES1_PKS1_PKT1_SA_S7_PKT3_PKT4_S5_PT5_21rocsparse_index_base_b ; -- Begin function _ZN9rocsparseL20bsrxmvn_17_32_kernelILj32EdiifddEEvT2_20rocsparse_direction_NS_24const_host_device_scalarIT0_EES1_PKS1_PKT1_SA_S7_PKT3_PKT4_S5_PT5_21rocsparse_index_base_b
	.p2align	8
	.type	_ZN9rocsparseL20bsrxmvn_17_32_kernelILj32EdiifddEEvT2_20rocsparse_direction_NS_24const_host_device_scalarIT0_EES1_PKS1_PKT1_SA_S7_PKT3_PKT4_S5_PT5_21rocsparse_index_base_b,@function
_ZN9rocsparseL20bsrxmvn_17_32_kernelILj32EdiifddEEvT2_20rocsparse_direction_NS_24const_host_device_scalarIT0_EES1_PKS1_PKT1_SA_S7_PKT3_PKT4_S5_PT5_21rocsparse_index_base_b: ; @_ZN9rocsparseL20bsrxmvn_17_32_kernelILj32EdiifddEEvT2_20rocsparse_direction_NS_24const_host_device_scalarIT0_EES1_PKS1_PKT1_SA_S7_PKT3_PKT4_S5_PT5_21rocsparse_index_base_b
; %bb.0:
	s_load_dwordx2 s[8:9], s[4:5], 0x58
	s_load_dwordx2 s[10:11], s[4:5], 0x8
	;; [unrolled: 1-line block ×3, first 2 shown]
	s_waitcnt lgkmcnt(0)
	s_bitcmp1_b32 s9, 0
	s_cselect_b64 s[12:13], -1, 0
	v_mov_b32_e32 v3, s10
	s_xor_b64 s[2:3], s[12:13], -1
	s_and_b64 vcc, exec, s[12:13]
	v_mov_b32_e32 v4, s11
	s_cbranch_vccnz .LBB495_2
; %bb.1:
	v_mov_b32_e32 v1, s10
	v_mov_b32_e32 v2, s11
	flat_load_dwordx2 v[3:4], v[1:2]
.LBB495_2:
	v_mov_b32_e32 v2, s1
	s_andn2_b64 vcc, exec, s[2:3]
	v_mov_b32_e32 v1, s0
	s_cbranch_vccnz .LBB495_4
; %bb.3:
	v_mov_b32_e32 v2, s1
	v_mov_b32_e32 v1, s0
	flat_load_dwordx2 v[1:2], v[1:2]
.LBB495_4:
	s_waitcnt vmcnt(0) lgkmcnt(0)
	v_cmp_neq_f64_e32 vcc, 0, v[3:4]
	v_cmp_neq_f64_e64 s[0:1], 1.0, v[1:2]
	s_or_b64 s[0:1], vcc, s[0:1]
	s_and_saveexec_b64 s[2:3], s[0:1]
	s_cbranch_execz .LBB495_39
; %bb.5:
	s_load_dwordx4 s[0:3], s[4:5], 0x18
	s_load_dwordx2 s[12:13], s[4:5], 0x28
	s_waitcnt lgkmcnt(0)
	s_cmp_eq_u64 s[0:1], 0
	s_cbranch_scc1 .LBB495_7
; %bb.6:
	s_ashr_i32 s7, s6, 31
	s_lshl_b64 s[6:7], s[6:7], 2
	s_add_u32 s0, s0, s6
	s_addc_u32 s1, s1, s7
	s_load_dword s0, s[0:1], 0x0
	s_waitcnt lgkmcnt(0)
	s_sub_i32 s6, s0, s8
.LBB495_7:
	s_load_dword s0, s[4:5], 0x4
	v_mov_b32_e32 v5, 0
	v_mov_b32_e32 v6, 0
	v_and_b32_e32 v10, 31, v0
	s_waitcnt lgkmcnt(0)
	s_cmp_eq_u32 s0, 1
	s_cselect_b64 vcc, -1, 0
	s_cmp_lg_u32 s0, 1
	s_cselect_b64 s[10:11], -1, 0
	s_ashr_i32 s7, s6, 31
	s_lshl_b64 s[0:1], s[6:7], 2
	s_add_u32 s2, s2, s0
	s_addc_u32 s3, s3, s1
	s_load_dword s9, s[2:3], 0x0
	s_add_u32 s2, s2, 4
	s_addc_u32 s3, s3, 0
	s_add_u32 s0, s12, s0
	s_addc_u32 s1, s13, s1
	s_cmp_eq_u64 s[12:13], 0
	s_cselect_b32 s3, s3, s1
	s_cselect_b32 s2, s2, s0
	s_load_dword s7, s[2:3], 0x0
	s_load_dwordx2 s[0:1], s[4:5], 0x50
	s_waitcnt lgkmcnt(0)
	s_cmp_ge_i32 s9, s7
	s_cbranch_scc1 .LBB495_10
; %bb.8:
	s_load_dwordx4 s[12:15], s[4:5], 0x30
	s_load_dwordx2 s[2:3], s[4:5], 0x40
	s_sub_i32 s4, s9, s8
	s_ashr_i32 s5, s4, 31
	s_sub_i32 s7, s7, s8
	s_lshl_b64 s[16:17], s[4:5], 12
	v_lshrrev_b32_e32 v5, 5, v0
	s_waitcnt lgkmcnt(0)
	s_add_u32 s9, s14, s16
	v_cndmask_b32_e32 v9, v10, v5, vcc
	s_addc_u32 s14, s15, s17
	v_lshlrev_b32_e32 v5, 2, v0
	v_mov_b32_e32 v6, s14
	v_add_co_u32_e32 v7, vcc, s9, v5
	s_lshl_b64 s[14:15], s[4:5], 2
	v_addc_co_u32_e32 v8, vcc, 0, v6, vcc
	s_add_u32 s12, s12, s14
	v_mov_b32_e32 v5, 0
	s_addc_u32 s13, s13, s15
	v_mov_b32_e32 v6, 0
	v_mov_b32_e32 v11, s3
.LBB495_9:                              ; =>This Inner Loop Header: Depth=1
	s_load_dword s3, s[12:13], 0x0
	global_load_dword v14, v[7:8], off
	s_add_i32 s4, s4, 1
	s_waitcnt lgkmcnt(0)
	s_sub_i32 s3, s3, s8
	v_lshl_or_b32 v12, s3, 5, v9
	v_ashrrev_i32_e32 v13, 31, v12
	v_lshlrev_b64 v[12:13], 3, v[12:13]
	s_add_u32 s12, s12, 4
	v_add_co_u32_e32 v12, vcc, s2, v12
	v_addc_co_u32_e32 v13, vcc, v11, v13, vcc
	global_load_dwordx2 v[12:13], v[12:13], off
	v_add_co_u32_e32 v7, vcc, 0x1000, v7
	s_addc_u32 s13, s13, 0
	s_cmp_lt_i32 s4, s7
	v_addc_co_u32_e32 v8, vcc, 0, v8, vcc
	s_waitcnt vmcnt(1)
	v_cvt_f64_f32_e32 v[14:15], v14
	s_waitcnt vmcnt(0)
	v_fma_f64 v[5:6], v[14:15], v[12:13], v[5:6]
	s_cbranch_scc1 .LBB495_9
.LBB495_10:
	v_lshlrev_b32_e32 v9, 3, v0
	s_and_b64 vcc, exec, s[10:11]
	ds_write_b64 v9, v[5:6]
	s_waitcnt lgkmcnt(0)
	s_barrier
	s_cbranch_vccz .LBB495_22
; %bb.11:
	v_cmp_gt_u32_e32 vcc, 16, v10
	s_and_saveexec_b64 s[2:3], vcc
	s_cbranch_execz .LBB495_13
; %bb.12:
	ds_read2_b64 v[11:14], v9 offset1:16
	s_waitcnt lgkmcnt(0)
	v_add_f64 v[7:8], v[13:14], v[11:12]
	ds_write_b64 v9, v[7:8]
.LBB495_13:
	s_or_b64 exec, exec, s[2:3]
	v_cmp_gt_u32_e32 vcc, 8, v10
	s_waitcnt lgkmcnt(0)
	s_barrier
	s_and_saveexec_b64 s[2:3], vcc
	s_cbranch_execz .LBB495_15
; %bb.14:
	ds_read2_b64 v[11:14], v9 offset1:8
	s_waitcnt lgkmcnt(0)
	v_add_f64 v[7:8], v[13:14], v[11:12]
	ds_write_b64 v9, v[7:8]
.LBB495_15:
	s_or_b64 exec, exec, s[2:3]
	v_cmp_gt_u32_e32 vcc, 4, v10
	s_waitcnt lgkmcnt(0)
	s_barrier
	;; [unrolled: 12-line block ×3, first 2 shown]
	s_and_saveexec_b64 s[2:3], vcc
	s_cbranch_execz .LBB495_19
; %bb.18:
	ds_read2_b64 v[10:13], v9 offset1:2
	s_waitcnt lgkmcnt(0)
	v_add_f64 v[7:8], v[12:13], v[10:11]
	ds_write_b64 v9, v[7:8]
.LBB495_19:
	s_or_b64 exec, exec, s[2:3]
	v_mov_b32_e32 v8, v6
	v_cmp_gt_u32_e32 vcc, 32, v0
	v_mov_b32_e32 v7, v5
	s_waitcnt lgkmcnt(0)
	s_barrier
	s_and_saveexec_b64 s[2:3], vcc
	s_cbranch_execz .LBB495_21
; %bb.20:
	s_movk_i32 s4, 0xf8
	v_mad_u32_u24 v7, v0, s4, v9
	ds_read_b128 v[10:13], v7
	s_waitcnt lgkmcnt(0)
	v_add_f64 v[7:8], v[10:11], v[12:13]
.LBB495_21:
	s_or_b64 exec, exec, s[2:3]
	s_branch .LBB495_34
.LBB495_22:
                                        ; implicit-def: $vgpr7_vgpr8
	s_cbranch_execz .LBB495_34
; %bb.23:
	s_movk_i32 s2, 0x200
	v_cmp_gt_u32_e32 vcc, s2, v0
	s_and_saveexec_b64 s[2:3], vcc
	s_cbranch_execz .LBB495_25
; %bb.24:
	ds_read2st64_b64 v[10:13], v9 offset1:8
	s_waitcnt lgkmcnt(0)
	v_add_f64 v[7:8], v[12:13], v[10:11]
	ds_write_b64 v9, v[7:8]
.LBB495_25:
	s_or_b64 exec, exec, s[2:3]
	s_movk_i32 s2, 0x100
	v_cmp_gt_u32_e32 vcc, s2, v0
	s_waitcnt lgkmcnt(0)
	s_barrier
	s_and_saveexec_b64 s[2:3], vcc
	s_cbranch_execz .LBB495_27
; %bb.26:
	ds_read2st64_b64 v[10:13], v9 offset1:4
	s_waitcnt lgkmcnt(0)
	v_add_f64 v[7:8], v[12:13], v[10:11]
	ds_write_b64 v9, v[7:8]
.LBB495_27:
	s_or_b64 exec, exec, s[2:3]
	s_movk_i32 s2, 0x80
	v_cmp_gt_u32_e32 vcc, s2, v0
	s_waitcnt lgkmcnt(0)
	s_barrier
	s_and_saveexec_b64 s[2:3], vcc
	s_cbranch_execz .LBB495_29
; %bb.28:
	ds_read2st64_b64 v[10:13], v9 offset1:2
	s_waitcnt lgkmcnt(0)
	v_add_f64 v[7:8], v[12:13], v[10:11]
	ds_write_b64 v9, v[7:8]
.LBB495_29:
	s_or_b64 exec, exec, s[2:3]
	v_cmp_gt_u32_e32 vcc, 64, v0
	s_waitcnt lgkmcnt(0)
	s_barrier
	s_and_saveexec_b64 s[2:3], vcc
	s_cbranch_execz .LBB495_31
; %bb.30:
	ds_read2st64_b64 v[10:13], v9 offset1:1
	s_waitcnt lgkmcnt(0)
	v_add_f64 v[7:8], v[12:13], v[10:11]
	ds_write_b64 v9, v[7:8]
.LBB495_31:
	s_or_b64 exec, exec, s[2:3]
	v_cmp_gt_u32_e32 vcc, 32, v0
	s_waitcnt lgkmcnt(0)
	s_and_saveexec_b64 s[2:3], vcc
	s_cbranch_execz .LBB495_33
; %bb.32:
	ds_read2_b64 v[5:8], v9 offset1:32
	s_waitcnt lgkmcnt(0)
	v_add_f64 v[5:6], v[5:6], v[7:8]
.LBB495_33:
	s_or_b64 exec, exec, s[2:3]
	v_mov_b32_e32 v8, v6
	v_mov_b32_e32 v7, v5
.LBB495_34:
	v_cmp_gt_u32_e32 vcc, 32, v0
	s_and_b64 exec, exec, vcc
	s_cbranch_execz .LBB495_39
; %bb.35:
	v_cmp_eq_f64_e32 vcc, 0, v[1:2]
	v_mul_f64 v[3:4], v[3:4], v[7:8]
	v_lshl_or_b32 v5, s6, 5, v0
	s_and_saveexec_b64 s[2:3], vcc
	s_xor_b64 s[2:3], exec, s[2:3]
	s_cbranch_execz .LBB495_37
; %bb.36:
	v_mov_b32_e32 v6, 0
	v_lshlrev_b64 v[0:1], 3, v[5:6]
	v_mov_b32_e32 v2, s1
	v_add_co_u32_e32 v0, vcc, s0, v0
	v_addc_co_u32_e32 v1, vcc, v2, v1, vcc
	global_store_dwordx2 v[0:1], v[3:4], off
                                        ; implicit-def: $vgpr5
                                        ; implicit-def: $vgpr1_vgpr2
                                        ; implicit-def: $vgpr3_vgpr4
.LBB495_37:
	s_andn2_saveexec_b64 s[2:3], s[2:3]
	s_cbranch_execz .LBB495_39
; %bb.38:
	v_mov_b32_e32 v6, 0
	v_lshlrev_b64 v[5:6], 3, v[5:6]
	v_mov_b32_e32 v0, s1
	v_add_co_u32_e32 v5, vcc, s0, v5
	v_addc_co_u32_e32 v6, vcc, v0, v6, vcc
	global_load_dwordx2 v[7:8], v[5:6], off
	s_waitcnt vmcnt(0)
	v_fma_f64 v[0:1], v[1:2], v[7:8], v[3:4]
	global_store_dwordx2 v[5:6], v[0:1], off
.LBB495_39:
	s_endpgm
	.section	.rodata,"a",@progbits
	.p2align	6, 0x0
	.amdhsa_kernel _ZN9rocsparseL20bsrxmvn_17_32_kernelILj32EdiifddEEvT2_20rocsparse_direction_NS_24const_host_device_scalarIT0_EES1_PKS1_PKT1_SA_S7_PKT3_PKT4_S5_PT5_21rocsparse_index_base_b
		.amdhsa_group_segment_fixed_size 8192
		.amdhsa_private_segment_fixed_size 0
		.amdhsa_kernarg_size 96
		.amdhsa_user_sgpr_count 6
		.amdhsa_user_sgpr_private_segment_buffer 1
		.amdhsa_user_sgpr_dispatch_ptr 0
		.amdhsa_user_sgpr_queue_ptr 0
		.amdhsa_user_sgpr_kernarg_segment_ptr 1
		.amdhsa_user_sgpr_dispatch_id 0
		.amdhsa_user_sgpr_flat_scratch_init 0
		.amdhsa_user_sgpr_private_segment_size 0
		.amdhsa_uses_dynamic_stack 0
		.amdhsa_system_sgpr_private_segment_wavefront_offset 0
		.amdhsa_system_sgpr_workgroup_id_x 1
		.amdhsa_system_sgpr_workgroup_id_y 0
		.amdhsa_system_sgpr_workgroup_id_z 0
		.amdhsa_system_sgpr_workgroup_info 0
		.amdhsa_system_vgpr_workitem_id 0
		.amdhsa_next_free_vgpr 29
		.amdhsa_next_free_sgpr 61
		.amdhsa_reserve_vcc 1
		.amdhsa_reserve_flat_scratch 0
		.amdhsa_float_round_mode_32 0
		.amdhsa_float_round_mode_16_64 0
		.amdhsa_float_denorm_mode_32 3
		.amdhsa_float_denorm_mode_16_64 3
		.amdhsa_dx10_clamp 1
		.amdhsa_ieee_mode 1
		.amdhsa_fp16_overflow 0
		.amdhsa_exception_fp_ieee_invalid_op 0
		.amdhsa_exception_fp_denorm_src 0
		.amdhsa_exception_fp_ieee_div_zero 0
		.amdhsa_exception_fp_ieee_overflow 0
		.amdhsa_exception_fp_ieee_underflow 0
		.amdhsa_exception_fp_ieee_inexact 0
		.amdhsa_exception_int_div_zero 0
	.end_amdhsa_kernel
	.section	.text._ZN9rocsparseL20bsrxmvn_17_32_kernelILj32EdiifddEEvT2_20rocsparse_direction_NS_24const_host_device_scalarIT0_EES1_PKS1_PKT1_SA_S7_PKT3_PKT4_S5_PT5_21rocsparse_index_base_b,"axG",@progbits,_ZN9rocsparseL20bsrxmvn_17_32_kernelILj32EdiifddEEvT2_20rocsparse_direction_NS_24const_host_device_scalarIT0_EES1_PKS1_PKT1_SA_S7_PKT3_PKT4_S5_PT5_21rocsparse_index_base_b,comdat
.Lfunc_end495:
	.size	_ZN9rocsparseL20bsrxmvn_17_32_kernelILj32EdiifddEEvT2_20rocsparse_direction_NS_24const_host_device_scalarIT0_EES1_PKS1_PKT1_SA_S7_PKT3_PKT4_S5_PT5_21rocsparse_index_base_b, .Lfunc_end495-_ZN9rocsparseL20bsrxmvn_17_32_kernelILj32EdiifddEEvT2_20rocsparse_direction_NS_24const_host_device_scalarIT0_EES1_PKS1_PKT1_SA_S7_PKT3_PKT4_S5_PT5_21rocsparse_index_base_b
                                        ; -- End function
	.set _ZN9rocsparseL20bsrxmvn_17_32_kernelILj32EdiifddEEvT2_20rocsparse_direction_NS_24const_host_device_scalarIT0_EES1_PKS1_PKT1_SA_S7_PKT3_PKT4_S5_PT5_21rocsparse_index_base_b.num_vgpr, 16
	.set _ZN9rocsparseL20bsrxmvn_17_32_kernelILj32EdiifddEEvT2_20rocsparse_direction_NS_24const_host_device_scalarIT0_EES1_PKS1_PKT1_SA_S7_PKT3_PKT4_S5_PT5_21rocsparse_index_base_b.num_agpr, 0
	.set _ZN9rocsparseL20bsrxmvn_17_32_kernelILj32EdiifddEEvT2_20rocsparse_direction_NS_24const_host_device_scalarIT0_EES1_PKS1_PKT1_SA_S7_PKT3_PKT4_S5_PT5_21rocsparse_index_base_b.numbered_sgpr, 18
	.set _ZN9rocsparseL20bsrxmvn_17_32_kernelILj32EdiifddEEvT2_20rocsparse_direction_NS_24const_host_device_scalarIT0_EES1_PKS1_PKT1_SA_S7_PKT3_PKT4_S5_PT5_21rocsparse_index_base_b.num_named_barrier, 0
	.set _ZN9rocsparseL20bsrxmvn_17_32_kernelILj32EdiifddEEvT2_20rocsparse_direction_NS_24const_host_device_scalarIT0_EES1_PKS1_PKT1_SA_S7_PKT3_PKT4_S5_PT5_21rocsparse_index_base_b.private_seg_size, 0
	.set _ZN9rocsparseL20bsrxmvn_17_32_kernelILj32EdiifddEEvT2_20rocsparse_direction_NS_24const_host_device_scalarIT0_EES1_PKS1_PKT1_SA_S7_PKT3_PKT4_S5_PT5_21rocsparse_index_base_b.uses_vcc, 1
	.set _ZN9rocsparseL20bsrxmvn_17_32_kernelILj32EdiifddEEvT2_20rocsparse_direction_NS_24const_host_device_scalarIT0_EES1_PKS1_PKT1_SA_S7_PKT3_PKT4_S5_PT5_21rocsparse_index_base_b.uses_flat_scratch, 0
	.set _ZN9rocsparseL20bsrxmvn_17_32_kernelILj32EdiifddEEvT2_20rocsparse_direction_NS_24const_host_device_scalarIT0_EES1_PKS1_PKT1_SA_S7_PKT3_PKT4_S5_PT5_21rocsparse_index_base_b.has_dyn_sized_stack, 0
	.set _ZN9rocsparseL20bsrxmvn_17_32_kernelILj32EdiifddEEvT2_20rocsparse_direction_NS_24const_host_device_scalarIT0_EES1_PKS1_PKT1_SA_S7_PKT3_PKT4_S5_PT5_21rocsparse_index_base_b.has_recursion, 0
	.set _ZN9rocsparseL20bsrxmvn_17_32_kernelILj32EdiifddEEvT2_20rocsparse_direction_NS_24const_host_device_scalarIT0_EES1_PKS1_PKT1_SA_S7_PKT3_PKT4_S5_PT5_21rocsparse_index_base_b.has_indirect_call, 0
	.section	.AMDGPU.csdata,"",@progbits
; Kernel info:
; codeLenInByte = 1216
; TotalNumSgprs: 22
; NumVgprs: 16
; ScratchSize: 0
; MemoryBound: 0
; FloatMode: 240
; IeeeMode: 1
; LDSByteSize: 8192 bytes/workgroup (compile time only)
; SGPRBlocks: 8
; VGPRBlocks: 7
; NumSGPRsForWavesPerEU: 65
; NumVGPRsForWavesPerEU: 29
; Occupancy: 8
; WaveLimiterHint : 1
; COMPUTE_PGM_RSRC2:SCRATCH_EN: 0
; COMPUTE_PGM_RSRC2:USER_SGPR: 6
; COMPUTE_PGM_RSRC2:TRAP_HANDLER: 0
; COMPUTE_PGM_RSRC2:TGID_X_EN: 1
; COMPUTE_PGM_RSRC2:TGID_Y_EN: 0
; COMPUTE_PGM_RSRC2:TGID_Z_EN: 0
; COMPUTE_PGM_RSRC2:TIDIG_COMP_CNT: 0
	.section	.text._ZN9rocsparseL20bsrxmvn_17_32_kernelILj17EdlifddEEvT2_20rocsparse_direction_NS_24const_host_device_scalarIT0_EES1_PKS1_PKT1_SA_S7_PKT3_PKT4_S5_PT5_21rocsparse_index_base_b,"axG",@progbits,_ZN9rocsparseL20bsrxmvn_17_32_kernelILj17EdlifddEEvT2_20rocsparse_direction_NS_24const_host_device_scalarIT0_EES1_PKS1_PKT1_SA_S7_PKT3_PKT4_S5_PT5_21rocsparse_index_base_b,comdat
	.globl	_ZN9rocsparseL20bsrxmvn_17_32_kernelILj17EdlifddEEvT2_20rocsparse_direction_NS_24const_host_device_scalarIT0_EES1_PKS1_PKT1_SA_S7_PKT3_PKT4_S5_PT5_21rocsparse_index_base_b ; -- Begin function _ZN9rocsparseL20bsrxmvn_17_32_kernelILj17EdlifddEEvT2_20rocsparse_direction_NS_24const_host_device_scalarIT0_EES1_PKS1_PKT1_SA_S7_PKT3_PKT4_S5_PT5_21rocsparse_index_base_b
	.p2align	8
	.type	_ZN9rocsparseL20bsrxmvn_17_32_kernelILj17EdlifddEEvT2_20rocsparse_direction_NS_24const_host_device_scalarIT0_EES1_PKS1_PKT1_SA_S7_PKT3_PKT4_S5_PT5_21rocsparse_index_base_b,@function
_ZN9rocsparseL20bsrxmvn_17_32_kernelILj17EdlifddEEvT2_20rocsparse_direction_NS_24const_host_device_scalarIT0_EES1_PKS1_PKT1_SA_S7_PKT3_PKT4_S5_PT5_21rocsparse_index_base_b: ; @_ZN9rocsparseL20bsrxmvn_17_32_kernelILj17EdlifddEEvT2_20rocsparse_direction_NS_24const_host_device_scalarIT0_EES1_PKS1_PKT1_SA_S7_PKT3_PKT4_S5_PT5_21rocsparse_index_base_b
; %bb.0:
	s_load_dwordx2 s[14:15], s[4:5], 0x58
	s_load_dwordx2 s[8:9], s[4:5], 0x8
	;; [unrolled: 1-line block ×3, first 2 shown]
	s_waitcnt lgkmcnt(0)
	s_bitcmp1_b32 s15, 0
	s_cselect_b64 s[10:11], -1, 0
	v_mov_b32_e32 v3, s8
	s_xor_b64 s[2:3], s[10:11], -1
	s_and_b64 vcc, exec, s[10:11]
	v_mov_b32_e32 v4, s9
	s_cbranch_vccnz .LBB496_2
; %bb.1:
	v_mov_b32_e32 v1, s8
	v_mov_b32_e32 v2, s9
	flat_load_dwordx2 v[3:4], v[1:2]
.LBB496_2:
	v_mov_b32_e32 v2, s1
	s_andn2_b64 vcc, exec, s[2:3]
	v_mov_b32_e32 v1, s0
	s_cbranch_vccnz .LBB496_4
; %bb.3:
	v_mov_b32_e32 v2, s1
	v_mov_b32_e32 v1, s0
	flat_load_dwordx2 v[1:2], v[1:2]
.LBB496_4:
	s_waitcnt vmcnt(0) lgkmcnt(0)
	v_cmp_neq_f64_e32 vcc, 0, v[3:4]
	v_cmp_neq_f64_e64 s[0:1], 1.0, v[1:2]
	s_or_b64 s[0:1], vcc, s[0:1]
	s_and_saveexec_b64 s[2:3], s[0:1]
	s_cbranch_execz .LBB496_41
; %bb.5:
	s_load_dwordx4 s[0:3], s[4:5], 0x18
	s_load_dwordx2 s[8:9], s[4:5], 0x28
	s_waitcnt lgkmcnt(0)
	s_cmp_eq_u64 s[0:1], 0
	s_cbranch_scc1 .LBB496_7
; %bb.6:
	s_ashr_i32 s7, s6, 31
	s_lshl_b64 s[6:7], s[6:7], 2
	s_add_u32 s0, s0, s6
	s_addc_u32 s1, s1, s7
	s_load_dword s0, s[0:1], 0x0
	s_waitcnt lgkmcnt(0)
	s_sub_i32 s6, s0, s14
.LBB496_7:
	s_load_dword s7, s[4:5], 0x4
	s_load_dwordx2 s[12:13], s[4:5], 0x50
	v_mul_u32_u24_e32 v7, 0xf10, v0
	v_mov_b32_e32 v5, 17
	v_mul_lo_u16_sdwa v5, v7, v5 dst_sel:DWORD dst_unused:UNUSED_PAD src0_sel:WORD_1 src1_sel:DWORD
	s_waitcnt lgkmcnt(0)
	s_cmp_eq_u32 s7, 1
	s_cselect_b64 s[0:1], -1, 0
	s_cmp_lg_u32 s7, 1
	s_cselect_b64 s[16:17], -1, 0
	s_ashr_i32 s7, s6, 31
	s_lshl_b64 s[10:11], s[6:7], 3
	s_add_u32 s2, s2, s10
	s_addc_u32 s3, s3, s11
	s_add_u32 s7, s2, 8
	s_addc_u32 s15, s3, 0
	;; [unrolled: 2-line block ×3, first 2 shown]
	s_cmp_eq_u64 s[8:9], 0
	s_cselect_b32 s9, s15, s11
	s_cselect_b32 s8, s7, s10
	s_load_dwordx2 s[18:19], s[8:9], 0x0
	s_load_dwordx2 s[20:21], s[2:3], 0x0
	v_sub_u16_e32 v12, v0, v5
	s_waitcnt lgkmcnt(0)
	v_mov_b32_e32 v5, s18
	v_mov_b32_e32 v6, s19
	v_cmp_ge_i64_e32 vcc, s[20:21], v[5:6]
	v_mov_b32_e32 v5, 0
	v_mov_b32_e32 v6, 0
	s_cbranch_vccnz .LBB496_12
; %bb.8:
	v_mov_b32_e32 v5, 31
	v_mul_lo_u16_sdwa v5, v7, v5 dst_sel:DWORD dst_unused:UNUSED_PAD src0_sel:WORD_1 src1_sel:DWORD
	s_load_dwordx4 s[8:11], s[4:5], 0x30
	s_load_dwordx2 s[2:3], s[4:5], 0x40
	s_sub_u32 s4, s18, s14
	v_lshrrev_b16_e32 v5, 9, v5
	s_subb_u32 s5, s19, 0
	v_mul_lo_u16_e32 v5, 17, v5
	v_sub_u16_sdwa v5, v7, v5 dst_sel:DWORD dst_unused:UNUSED_PAD src0_sel:WORD_1 src1_sel:DWORD
	s_sub_u32 s18, s20, s14
	v_and_b32_e32 v5, 0xff, v5
	s_subb_u32 s19, s21, 0
	v_cndmask_b32_e64 v7, v12, v5, s[0:1]
	s_mul_i32 s0, s19, 0x484
	s_mul_hi_u32 s1, s18, 0x484
	s_add_i32 s1, s1, s0
	s_mul_i32 s0, s18, 0x484
	s_waitcnt lgkmcnt(0)
	s_add_u32 s0, s10, s0
	v_lshlrev_b32_e32 v5, 2, v0
	s_addc_u32 s1, s11, s1
	v_add_co_u32_e32 v8, vcc, s0, v5
	s_movk_i32 s0, 0xe3
	v_mov_b32_e32 v6, s1
	v_mul_u32_u24_sdwa v5, v0, s0 dst_sel:DWORD dst_unused:UNUSED_PAD src0_sel:WORD_0 src1_sel:DWORD
	v_addc_co_u32_e32 v9, vcc, 0, v6, vcc
	v_lshrrev_b32_e32 v13, 16, v5
	v_mov_b32_e32 v5, s21
	v_add_co_u32_e32 v6, vcc, s20, v13
	v_addc_co_u32_e32 v10, vcc, 0, v5, vcc
	v_subrev_co_u32_e32 v5, vcc, s14, v6
	v_subbrev_co_u32_e32 v6, vcc, 0, v10, vcc
	v_lshlrev_b64 v[10:11], 2, v[5:6]
	v_mov_b32_e32 v14, s9
	v_mov_b32_e32 v5, 0
	v_add_co_u32_e32 v10, vcc, s8, v10
	v_mov_b32_e32 v6, 0
	v_addc_co_u32_e32 v11, vcc, v14, v11, vcc
	s_branch .LBB496_10
.LBB496_9:                              ;   in Loop: Header=BB496_10 Depth=1
	s_or_b64 exec, exec, s[0:1]
	s_add_u32 s18, s18, 1
	v_mov_b32_e32 v15, s5
	s_addc_u32 s19, s19, 0
	v_mov_b32_e32 v14, s4
	v_cmp_lt_i64_e32 vcc, s[18:19], v[14:15]
	v_add_co_u32_e64 v10, s[0:1], 4, v10
	v_addc_co_u32_e64 v11, s[0:1], 0, v11, s[0:1]
	s_cbranch_vccz .LBB496_12
.LBB496_10:                             ; =>This Inner Loop Header: Depth=1
	v_mov_b32_e32 v15, s19
	v_add_co_u32_e32 v14, vcc, s18, v13
	v_addc_co_u32_e32 v15, vcc, 0, v15, vcc
	v_cmp_gt_i64_e32 vcc, s[4:5], v[14:15]
	s_and_saveexec_b64 s[0:1], vcc
	s_cbranch_execz .LBB496_9
; %bb.11:                               ;   in Loop: Header=BB496_10 Depth=1
	global_load_dword v14, v[10:11], off
	global_load_dword v16, v[8:9], off
	v_mov_b32_e32 v17, s3
	s_waitcnt vmcnt(1)
	v_subrev_u32_e32 v14, s14, v14
	v_mad_u64_u32 v[14:15], s[8:9], v14, 17, v[7:8]
	v_ashrrev_i32_e32 v15, 31, v14
	v_lshlrev_b64 v[14:15], 3, v[14:15]
	v_add_co_u32_e32 v14, vcc, s2, v14
	v_addc_co_u32_e32 v15, vcc, v17, v15, vcc
	global_load_dwordx2 v[14:15], v[14:15], off
	s_waitcnt vmcnt(1)
	v_cvt_f64_f32_e32 v[16:17], v16
	v_add_co_u32_e32 v8, vcc, 0x484, v8
	v_addc_co_u32_e32 v9, vcc, 0, v9, vcc
	s_waitcnt vmcnt(0)
	v_fma_f64 v[5:6], v[16:17], v[14:15], v[5:6]
	s_branch .LBB496_9
.LBB496_12:
	v_lshlrev_b32_e32 v9, 3, v0
	s_and_b64 vcc, exec, s[16:17]
	ds_write_b64 v9, v[5:6]
	s_waitcnt lgkmcnt(0)
	s_barrier
	s_cbranch_vccz .LBB496_24
; %bb.13:
	v_cmp_eq_u16_e32 vcc, 0, v12
	s_and_saveexec_b64 s[0:1], vcc
	s_cbranch_execz .LBB496_15
; %bb.14:
	ds_read2_b64 v[13:16], v9 offset1:16
	s_waitcnt lgkmcnt(0)
	v_add_f64 v[7:8], v[15:16], v[13:14]
	ds_write_b64 v9, v[7:8]
.LBB496_15:
	s_or_b64 exec, exec, s[0:1]
	v_cmp_gt_u16_e32 vcc, 8, v12
	s_waitcnt lgkmcnt(0)
	s_barrier
	s_and_saveexec_b64 s[0:1], vcc
	s_cbranch_execz .LBB496_17
; %bb.16:
	ds_read2_b64 v[13:16], v9 offset1:8
	s_waitcnt lgkmcnt(0)
	v_add_f64 v[7:8], v[15:16], v[13:14]
	ds_write_b64 v9, v[7:8]
.LBB496_17:
	s_or_b64 exec, exec, s[0:1]
	v_cmp_gt_u16_e32 vcc, 4, v12
	s_waitcnt lgkmcnt(0)
	s_barrier
	;; [unrolled: 12-line block ×3, first 2 shown]
	s_and_saveexec_b64 s[0:1], vcc
	s_cbranch_execz .LBB496_21
; %bb.20:
	ds_read2_b64 v[10:13], v9 offset1:2
	s_waitcnt lgkmcnt(0)
	v_add_f64 v[7:8], v[12:13], v[10:11]
	ds_write_b64 v9, v[7:8]
.LBB496_21:
	s_or_b64 exec, exec, s[0:1]
	v_mov_b32_e32 v8, v6
	v_cmp_gt_u32_e32 vcc, 17, v0
	v_mov_b32_e32 v7, v5
	s_waitcnt lgkmcnt(0)
	s_barrier
	s_and_saveexec_b64 s[0:1], vcc
	s_cbranch_execz .LBB496_23
; %bb.22:
	v_lshl_add_u32 v7, v0, 7, v9
	ds_read2_b64 v[10:13], v7 offset1:1
	s_waitcnt lgkmcnt(0)
	v_add_f64 v[7:8], v[10:11], v[12:13]
.LBB496_23:
	s_or_b64 exec, exec, s[0:1]
	v_cmp_gt_u32_e64 s[0:1], 17, v0
	s_branch .LBB496_36
.LBB496_24:
                                        ; implicit-def: $vgpr7_vgpr8
	v_cmp_gt_u32_e64 s[0:1], 17, v0
	s_cbranch_execz .LBB496_36
; %bb.25:
	s_and_saveexec_b64 s[2:3], s[0:1]
	s_cbranch_execz .LBB496_27
; %bb.26:
	ds_read_b64 v[7:8], v9 offset:2176
	ds_read_b64 v[10:11], v9
	s_waitcnt lgkmcnt(0)
	v_add_f64 v[7:8], v[7:8], v[10:11]
	ds_write_b64 v9, v[7:8]
.LBB496_27:
	s_or_b64 exec, exec, s[2:3]
	s_movk_i32 s2, 0x88
	v_cmp_gt_u32_e32 vcc, s2, v0
	s_waitcnt lgkmcnt(0)
	s_barrier
	s_and_saveexec_b64 s[2:3], vcc
	s_cbranch_execz .LBB496_29
; %bb.28:
	ds_read2_b64 v[10:13], v9 offset1:136
	s_waitcnt lgkmcnt(0)
	v_add_f64 v[7:8], v[12:13], v[10:11]
	ds_write_b64 v9, v[7:8]
.LBB496_29:
	s_or_b64 exec, exec, s[2:3]
	s_movk_i32 s2, 0x44
	v_cmp_gt_u32_e32 vcc, s2, v0
	s_waitcnt lgkmcnt(0)
	s_barrier
	s_and_saveexec_b64 s[2:3], vcc
	s_cbranch_execz .LBB496_31
; %bb.30:
	ds_read2_b64 v[10:13], v9 offset1:68
	s_waitcnt lgkmcnt(0)
	v_add_f64 v[7:8], v[12:13], v[10:11]
	ds_write_b64 v9, v[7:8]
.LBB496_31:
	s_or_b64 exec, exec, s[2:3]
	v_cmp_gt_u32_e32 vcc, 34, v0
	s_waitcnt lgkmcnt(0)
	s_barrier
	s_and_saveexec_b64 s[2:3], vcc
	s_cbranch_execz .LBB496_33
; %bb.32:
	ds_read2_b64 v[10:13], v9 offset1:34
	s_waitcnt lgkmcnt(0)
	v_add_f64 v[7:8], v[12:13], v[10:11]
	ds_write_b64 v9, v[7:8]
.LBB496_33:
	s_or_b64 exec, exec, s[2:3]
	s_waitcnt lgkmcnt(0)
	s_and_saveexec_b64 s[2:3], s[0:1]
	s_cbranch_execz .LBB496_35
; %bb.34:
	ds_read2_b64 v[5:8], v9 offset1:17
	s_waitcnt lgkmcnt(0)
	v_add_f64 v[5:6], v[5:6], v[7:8]
.LBB496_35:
	s_or_b64 exec, exec, s[2:3]
	v_mov_b32_e32 v8, v6
	v_mov_b32_e32 v7, v5
.LBB496_36:
	v_cmp_gt_u32_e32 vcc, 17, v0
	s_and_b64 exec, exec, vcc
	s_cbranch_execz .LBB496_41
; %bb.37:
	v_cmp_eq_f64_e32 vcc, 0, v[1:2]
	v_mul_f64 v[3:4], v[3:4], v[7:8]
	s_and_saveexec_b64 s[0:1], vcc
	s_xor_b64 s[0:1], exec, s[0:1]
	s_cbranch_execz .LBB496_39
; %bb.38:
	v_mad_u64_u32 v[0:1], s[2:3], s6, 17, v[0:1]
	v_mov_b32_e32 v1, 0
	v_mov_b32_e32 v2, s13
	v_lshlrev_b64 v[0:1], 3, v[0:1]
	v_add_co_u32_e32 v0, vcc, s12, v0
	v_addc_co_u32_e32 v1, vcc, v2, v1, vcc
	global_store_dwordx2 v[0:1], v[3:4], off
                                        ; implicit-def: $vgpr0
                                        ; implicit-def: $vgpr1_vgpr2
                                        ; implicit-def: $vgpr3_vgpr4
.LBB496_39:
	s_andn2_saveexec_b64 s[0:1], s[0:1]
	s_cbranch_execz .LBB496_41
; %bb.40:
	v_mad_u64_u32 v[5:6], s[0:1], s6, 17, v[0:1]
	v_mov_b32_e32 v6, 0
	v_mov_b32_e32 v0, s13
	v_lshlrev_b64 v[5:6], 3, v[5:6]
	v_add_co_u32_e32 v5, vcc, s12, v5
	v_addc_co_u32_e32 v6, vcc, v0, v6, vcc
	global_load_dwordx2 v[7:8], v[5:6], off
	s_waitcnt vmcnt(0)
	v_fma_f64 v[0:1], v[1:2], v[7:8], v[3:4]
	global_store_dwordx2 v[5:6], v[0:1], off
.LBB496_41:
	s_endpgm
	.section	.rodata,"a",@progbits
	.p2align	6, 0x0
	.amdhsa_kernel _ZN9rocsparseL20bsrxmvn_17_32_kernelILj17EdlifddEEvT2_20rocsparse_direction_NS_24const_host_device_scalarIT0_EES1_PKS1_PKT1_SA_S7_PKT3_PKT4_S5_PT5_21rocsparse_index_base_b
		.amdhsa_group_segment_fixed_size 2312
		.amdhsa_private_segment_fixed_size 0
		.amdhsa_kernarg_size 96
		.amdhsa_user_sgpr_count 6
		.amdhsa_user_sgpr_private_segment_buffer 1
		.amdhsa_user_sgpr_dispatch_ptr 0
		.amdhsa_user_sgpr_queue_ptr 0
		.amdhsa_user_sgpr_kernarg_segment_ptr 1
		.amdhsa_user_sgpr_dispatch_id 0
		.amdhsa_user_sgpr_flat_scratch_init 0
		.amdhsa_user_sgpr_private_segment_size 0
		.amdhsa_uses_dynamic_stack 0
		.amdhsa_system_sgpr_private_segment_wavefront_offset 0
		.amdhsa_system_sgpr_workgroup_id_x 1
		.amdhsa_system_sgpr_workgroup_id_y 0
		.amdhsa_system_sgpr_workgroup_id_z 0
		.amdhsa_system_sgpr_workgroup_info 0
		.amdhsa_system_vgpr_workitem_id 0
		.amdhsa_next_free_vgpr 18
		.amdhsa_next_free_sgpr 22
		.amdhsa_reserve_vcc 1
		.amdhsa_reserve_flat_scratch 0
		.amdhsa_float_round_mode_32 0
		.amdhsa_float_round_mode_16_64 0
		.amdhsa_float_denorm_mode_32 3
		.amdhsa_float_denorm_mode_16_64 3
		.amdhsa_dx10_clamp 1
		.amdhsa_ieee_mode 1
		.amdhsa_fp16_overflow 0
		.amdhsa_exception_fp_ieee_invalid_op 0
		.amdhsa_exception_fp_denorm_src 0
		.amdhsa_exception_fp_ieee_div_zero 0
		.amdhsa_exception_fp_ieee_overflow 0
		.amdhsa_exception_fp_ieee_underflow 0
		.amdhsa_exception_fp_ieee_inexact 0
		.amdhsa_exception_int_div_zero 0
	.end_amdhsa_kernel
	.section	.text._ZN9rocsparseL20bsrxmvn_17_32_kernelILj17EdlifddEEvT2_20rocsparse_direction_NS_24const_host_device_scalarIT0_EES1_PKS1_PKT1_SA_S7_PKT3_PKT4_S5_PT5_21rocsparse_index_base_b,"axG",@progbits,_ZN9rocsparseL20bsrxmvn_17_32_kernelILj17EdlifddEEvT2_20rocsparse_direction_NS_24const_host_device_scalarIT0_EES1_PKS1_PKT1_SA_S7_PKT3_PKT4_S5_PT5_21rocsparse_index_base_b,comdat
.Lfunc_end496:
	.size	_ZN9rocsparseL20bsrxmvn_17_32_kernelILj17EdlifddEEvT2_20rocsparse_direction_NS_24const_host_device_scalarIT0_EES1_PKS1_PKT1_SA_S7_PKT3_PKT4_S5_PT5_21rocsparse_index_base_b, .Lfunc_end496-_ZN9rocsparseL20bsrxmvn_17_32_kernelILj17EdlifddEEvT2_20rocsparse_direction_NS_24const_host_device_scalarIT0_EES1_PKS1_PKT1_SA_S7_PKT3_PKT4_S5_PT5_21rocsparse_index_base_b
                                        ; -- End function
	.set _ZN9rocsparseL20bsrxmvn_17_32_kernelILj17EdlifddEEvT2_20rocsparse_direction_NS_24const_host_device_scalarIT0_EES1_PKS1_PKT1_SA_S7_PKT3_PKT4_S5_PT5_21rocsparse_index_base_b.num_vgpr, 18
	.set _ZN9rocsparseL20bsrxmvn_17_32_kernelILj17EdlifddEEvT2_20rocsparse_direction_NS_24const_host_device_scalarIT0_EES1_PKS1_PKT1_SA_S7_PKT3_PKT4_S5_PT5_21rocsparse_index_base_b.num_agpr, 0
	.set _ZN9rocsparseL20bsrxmvn_17_32_kernelILj17EdlifddEEvT2_20rocsparse_direction_NS_24const_host_device_scalarIT0_EES1_PKS1_PKT1_SA_S7_PKT3_PKT4_S5_PT5_21rocsparse_index_base_b.numbered_sgpr, 22
	.set _ZN9rocsparseL20bsrxmvn_17_32_kernelILj17EdlifddEEvT2_20rocsparse_direction_NS_24const_host_device_scalarIT0_EES1_PKS1_PKT1_SA_S7_PKT3_PKT4_S5_PT5_21rocsparse_index_base_b.num_named_barrier, 0
	.set _ZN9rocsparseL20bsrxmvn_17_32_kernelILj17EdlifddEEvT2_20rocsparse_direction_NS_24const_host_device_scalarIT0_EES1_PKS1_PKT1_SA_S7_PKT3_PKT4_S5_PT5_21rocsparse_index_base_b.private_seg_size, 0
	.set _ZN9rocsparseL20bsrxmvn_17_32_kernelILj17EdlifddEEvT2_20rocsparse_direction_NS_24const_host_device_scalarIT0_EES1_PKS1_PKT1_SA_S7_PKT3_PKT4_S5_PT5_21rocsparse_index_base_b.uses_vcc, 1
	.set _ZN9rocsparseL20bsrxmvn_17_32_kernelILj17EdlifddEEvT2_20rocsparse_direction_NS_24const_host_device_scalarIT0_EES1_PKS1_PKT1_SA_S7_PKT3_PKT4_S5_PT5_21rocsparse_index_base_b.uses_flat_scratch, 0
	.set _ZN9rocsparseL20bsrxmvn_17_32_kernelILj17EdlifddEEvT2_20rocsparse_direction_NS_24const_host_device_scalarIT0_EES1_PKS1_PKT1_SA_S7_PKT3_PKT4_S5_PT5_21rocsparse_index_base_b.has_dyn_sized_stack, 0
	.set _ZN9rocsparseL20bsrxmvn_17_32_kernelILj17EdlifddEEvT2_20rocsparse_direction_NS_24const_host_device_scalarIT0_EES1_PKS1_PKT1_SA_S7_PKT3_PKT4_S5_PT5_21rocsparse_index_base_b.has_recursion, 0
	.set _ZN9rocsparseL20bsrxmvn_17_32_kernelILj17EdlifddEEvT2_20rocsparse_direction_NS_24const_host_device_scalarIT0_EES1_PKS1_PKT1_SA_S7_PKT3_PKT4_S5_PT5_21rocsparse_index_base_b.has_indirect_call, 0
	.section	.AMDGPU.csdata,"",@progbits
; Kernel info:
; codeLenInByte = 1424
; TotalNumSgprs: 26
; NumVgprs: 18
; ScratchSize: 0
; MemoryBound: 0
; FloatMode: 240
; IeeeMode: 1
; LDSByteSize: 2312 bytes/workgroup (compile time only)
; SGPRBlocks: 3
; VGPRBlocks: 4
; NumSGPRsForWavesPerEU: 26
; NumVGPRsForWavesPerEU: 18
; Occupancy: 10
; WaveLimiterHint : 1
; COMPUTE_PGM_RSRC2:SCRATCH_EN: 0
; COMPUTE_PGM_RSRC2:USER_SGPR: 6
; COMPUTE_PGM_RSRC2:TRAP_HANDLER: 0
; COMPUTE_PGM_RSRC2:TGID_X_EN: 1
; COMPUTE_PGM_RSRC2:TGID_Y_EN: 0
; COMPUTE_PGM_RSRC2:TGID_Z_EN: 0
; COMPUTE_PGM_RSRC2:TIDIG_COMP_CNT: 0
	.section	.text._ZN9rocsparseL20bsrxmvn_17_32_kernelILj18EdlifddEEvT2_20rocsparse_direction_NS_24const_host_device_scalarIT0_EES1_PKS1_PKT1_SA_S7_PKT3_PKT4_S5_PT5_21rocsparse_index_base_b,"axG",@progbits,_ZN9rocsparseL20bsrxmvn_17_32_kernelILj18EdlifddEEvT2_20rocsparse_direction_NS_24const_host_device_scalarIT0_EES1_PKS1_PKT1_SA_S7_PKT3_PKT4_S5_PT5_21rocsparse_index_base_b,comdat
	.globl	_ZN9rocsparseL20bsrxmvn_17_32_kernelILj18EdlifddEEvT2_20rocsparse_direction_NS_24const_host_device_scalarIT0_EES1_PKS1_PKT1_SA_S7_PKT3_PKT4_S5_PT5_21rocsparse_index_base_b ; -- Begin function _ZN9rocsparseL20bsrxmvn_17_32_kernelILj18EdlifddEEvT2_20rocsparse_direction_NS_24const_host_device_scalarIT0_EES1_PKS1_PKT1_SA_S7_PKT3_PKT4_S5_PT5_21rocsparse_index_base_b
	.p2align	8
	.type	_ZN9rocsparseL20bsrxmvn_17_32_kernelILj18EdlifddEEvT2_20rocsparse_direction_NS_24const_host_device_scalarIT0_EES1_PKS1_PKT1_SA_S7_PKT3_PKT4_S5_PT5_21rocsparse_index_base_b,@function
_ZN9rocsparseL20bsrxmvn_17_32_kernelILj18EdlifddEEvT2_20rocsparse_direction_NS_24const_host_device_scalarIT0_EES1_PKS1_PKT1_SA_S7_PKT3_PKT4_S5_PT5_21rocsparse_index_base_b: ; @_ZN9rocsparseL20bsrxmvn_17_32_kernelILj18EdlifddEEvT2_20rocsparse_direction_NS_24const_host_device_scalarIT0_EES1_PKS1_PKT1_SA_S7_PKT3_PKT4_S5_PT5_21rocsparse_index_base_b
; %bb.0:
	s_load_dwordx2 s[14:15], s[4:5], 0x58
	s_load_dwordx2 s[8:9], s[4:5], 0x8
	;; [unrolled: 1-line block ×3, first 2 shown]
	s_waitcnt lgkmcnt(0)
	s_bitcmp1_b32 s15, 0
	s_cselect_b64 s[10:11], -1, 0
	v_mov_b32_e32 v3, s8
	s_xor_b64 s[2:3], s[10:11], -1
	s_and_b64 vcc, exec, s[10:11]
	v_mov_b32_e32 v4, s9
	s_cbranch_vccnz .LBB497_2
; %bb.1:
	v_mov_b32_e32 v1, s8
	v_mov_b32_e32 v2, s9
	flat_load_dwordx2 v[3:4], v[1:2]
.LBB497_2:
	v_mov_b32_e32 v2, s1
	s_andn2_b64 vcc, exec, s[2:3]
	v_mov_b32_e32 v1, s0
	s_cbranch_vccnz .LBB497_4
; %bb.3:
	v_mov_b32_e32 v2, s1
	v_mov_b32_e32 v1, s0
	flat_load_dwordx2 v[1:2], v[1:2]
.LBB497_4:
	s_waitcnt vmcnt(0) lgkmcnt(0)
	v_cmp_neq_f64_e32 vcc, 0, v[3:4]
	v_cmp_neq_f64_e64 s[0:1], 1.0, v[1:2]
	s_or_b64 s[0:1], vcc, s[0:1]
	s_and_saveexec_b64 s[2:3], s[0:1]
	s_cbranch_execz .LBB497_41
; %bb.5:
	s_load_dwordx4 s[0:3], s[4:5], 0x18
	s_load_dwordx2 s[8:9], s[4:5], 0x28
	s_waitcnt lgkmcnt(0)
	s_cmp_eq_u64 s[0:1], 0
	s_cbranch_scc1 .LBB497_7
; %bb.6:
	s_ashr_i32 s7, s6, 31
	s_lshl_b64 s[6:7], s[6:7], 2
	s_add_u32 s0, s0, s6
	s_addc_u32 s1, s1, s7
	s_load_dword s0, s[0:1], 0x0
	s_waitcnt lgkmcnt(0)
	s_sub_i32 s6, s0, s14
.LBB497_7:
	s_load_dword s7, s[4:5], 0x4
	s_load_dwordx2 s[12:13], s[4:5], 0x50
	v_mul_u32_u24_e32 v7, 0xe39, v0
	v_mov_b32_e32 v8, 18
	v_mul_lo_u16_sdwa v5, v7, v8 dst_sel:DWORD dst_unused:UNUSED_PAD src0_sel:WORD_1 src1_sel:DWORD
	s_waitcnt lgkmcnt(0)
	s_cmp_eq_u32 s7, 1
	s_cselect_b64 s[0:1], -1, 0
	s_cmp_lg_u32 s7, 1
	s_cselect_b64 s[16:17], -1, 0
	s_ashr_i32 s7, s6, 31
	s_lshl_b64 s[10:11], s[6:7], 3
	s_add_u32 s2, s2, s10
	s_addc_u32 s3, s3, s11
	s_add_u32 s7, s2, 8
	s_addc_u32 s15, s3, 0
	s_add_u32 s10, s8, s10
	s_addc_u32 s11, s9, s11
	s_cmp_eq_u64 s[8:9], 0
	s_cselect_b32 s9, s15, s11
	s_cselect_b32 s8, s7, s10
	s_load_dwordx2 s[18:19], s[8:9], 0x0
	s_load_dwordx2 s[20:21], s[2:3], 0x0
	v_sub_u16_e32 v12, v0, v5
	s_waitcnt lgkmcnt(0)
	v_mov_b32_e32 v5, s18
	v_mov_b32_e32 v6, s19
	v_cmp_ge_i64_e32 vcc, s[20:21], v[5:6]
	v_mov_b32_e32 v5, 0
	v_mov_b32_e32 v6, 0
	s_cbranch_vccnz .LBB497_12
; %bb.8:
	v_mov_b32_e32 v5, 15
	s_load_dwordx4 s[8:11], s[4:5], 0x30
	s_load_dwordx2 s[2:3], s[4:5], 0x40
	s_sub_u32 s4, s18, s14
	v_mul_lo_u16_sdwa v5, v7, v5 dst_sel:DWORD dst_unused:UNUSED_PAD src0_sel:WORD_1 src1_sel:DWORD
	s_subb_u32 s5, s19, 0
	v_mul_lo_u16_sdwa v5, v5, v8 dst_sel:DWORD dst_unused:UNUSED_PAD src0_sel:BYTE_1 src1_sel:DWORD
	v_sub_u16_sdwa v5, v7, v5 dst_sel:DWORD dst_unused:UNUSED_PAD src0_sel:WORD_1 src1_sel:DWORD
	s_sub_u32 s18, s20, s14
	v_and_b32_e32 v5, 0xff, v5
	s_subb_u32 s19, s21, 0
	v_cndmask_b32_e64 v7, v12, v5, s[0:1]
	s_mul_i32 s0, s19, 0x510
	s_mul_hi_u32 s1, s18, 0x510
	s_add_i32 s1, s1, s0
	s_mul_i32 s0, s18, 0x510
	s_waitcnt lgkmcnt(0)
	s_add_u32 s0, s10, s0
	v_lshlrev_b32_e32 v5, 2, v0
	s_addc_u32 s1, s11, s1
	v_add_co_u32_e32 v8, vcc, s0, v5
	s_movk_i32 s0, 0x195
	v_mov_b32_e32 v6, s1
	v_mul_u32_u24_sdwa v5, v0, s0 dst_sel:DWORD dst_unused:UNUSED_PAD src0_sel:WORD_0 src1_sel:DWORD
	v_addc_co_u32_e32 v9, vcc, 0, v6, vcc
	v_lshrrev_b32_e32 v13, 17, v5
	v_mov_b32_e32 v5, s21
	v_add_co_u32_e32 v6, vcc, s20, v13
	v_addc_co_u32_e32 v10, vcc, 0, v5, vcc
	v_subrev_co_u32_e32 v5, vcc, s14, v6
	v_subbrev_co_u32_e32 v6, vcc, 0, v10, vcc
	v_lshlrev_b64 v[10:11], 2, v[5:6]
	v_mov_b32_e32 v14, s9
	v_mov_b32_e32 v5, 0
	v_add_co_u32_e32 v10, vcc, s8, v10
	v_mov_b32_e32 v6, 0
	v_addc_co_u32_e32 v11, vcc, v14, v11, vcc
	s_branch .LBB497_10
.LBB497_9:                              ;   in Loop: Header=BB497_10 Depth=1
	s_or_b64 exec, exec, s[0:1]
	s_add_u32 s18, s18, 1
	v_mov_b32_e32 v15, s5
	s_addc_u32 s19, s19, 0
	v_mov_b32_e32 v14, s4
	v_cmp_lt_i64_e32 vcc, s[18:19], v[14:15]
	v_add_co_u32_e64 v10, s[0:1], 4, v10
	v_addc_co_u32_e64 v11, s[0:1], 0, v11, s[0:1]
	s_cbranch_vccz .LBB497_12
.LBB497_10:                             ; =>This Inner Loop Header: Depth=1
	v_mov_b32_e32 v15, s19
	v_add_co_u32_e32 v14, vcc, s18, v13
	v_addc_co_u32_e32 v15, vcc, 0, v15, vcc
	v_cmp_gt_i64_e32 vcc, s[4:5], v[14:15]
	s_and_saveexec_b64 s[0:1], vcc
	s_cbranch_execz .LBB497_9
; %bb.11:                               ;   in Loop: Header=BB497_10 Depth=1
	global_load_dword v14, v[10:11], off
	global_load_dword v16, v[8:9], off
	v_mov_b32_e32 v17, s3
	s_waitcnt vmcnt(1)
	v_subrev_u32_e32 v14, s14, v14
	v_mad_u64_u32 v[14:15], s[8:9], v14, 18, v[7:8]
	v_ashrrev_i32_e32 v15, 31, v14
	v_lshlrev_b64 v[14:15], 3, v[14:15]
	v_add_co_u32_e32 v14, vcc, s2, v14
	v_addc_co_u32_e32 v15, vcc, v17, v15, vcc
	global_load_dwordx2 v[14:15], v[14:15], off
	s_waitcnt vmcnt(1)
	v_cvt_f64_f32_e32 v[16:17], v16
	v_add_co_u32_e32 v8, vcc, 0x510, v8
	v_addc_co_u32_e32 v9, vcc, 0, v9, vcc
	s_waitcnt vmcnt(0)
	v_fma_f64 v[5:6], v[16:17], v[14:15], v[5:6]
	s_branch .LBB497_9
.LBB497_12:
	v_lshlrev_b32_e32 v9, 3, v0
	s_and_b64 vcc, exec, s[16:17]
	ds_write_b64 v9, v[5:6]
	s_waitcnt lgkmcnt(0)
	s_barrier
	s_cbranch_vccz .LBB497_24
; %bb.13:
	v_cmp_gt_u16_e32 vcc, 2, v12
	s_and_saveexec_b64 s[0:1], vcc
	s_cbranch_execz .LBB497_15
; %bb.14:
	ds_read2_b64 v[13:16], v9 offset1:16
	s_waitcnt lgkmcnt(0)
	v_add_f64 v[7:8], v[15:16], v[13:14]
	ds_write_b64 v9, v[7:8]
.LBB497_15:
	s_or_b64 exec, exec, s[0:1]
	v_cmp_gt_u16_e64 s[0:1], 8, v12
	s_waitcnt lgkmcnt(0)
	s_barrier
	s_and_saveexec_b64 s[2:3], s[0:1]
	s_cbranch_execz .LBB497_17
; %bb.16:
	ds_read2_b64 v[13:16], v9 offset1:8
	s_waitcnt lgkmcnt(0)
	v_add_f64 v[7:8], v[15:16], v[13:14]
	ds_write_b64 v9, v[7:8]
.LBB497_17:
	s_or_b64 exec, exec, s[2:3]
	v_cmp_gt_u16_e64 s[0:1], 4, v12
	s_waitcnt lgkmcnt(0)
	s_barrier
	s_and_saveexec_b64 s[2:3], s[0:1]
	s_cbranch_execz .LBB497_19
; %bb.18:
	ds_read2_b64 v[10:13], v9 offset1:4
	s_waitcnt lgkmcnt(0)
	v_add_f64 v[7:8], v[12:13], v[10:11]
	ds_write_b64 v9, v[7:8]
.LBB497_19:
	s_or_b64 exec, exec, s[2:3]
	s_waitcnt lgkmcnt(0)
	s_barrier
	s_and_saveexec_b64 s[0:1], vcc
	s_cbranch_execz .LBB497_21
; %bb.20:
	ds_read2_b64 v[10:13], v9 offset1:2
	s_waitcnt lgkmcnt(0)
	v_add_f64 v[7:8], v[12:13], v[10:11]
	ds_write_b64 v9, v[7:8]
.LBB497_21:
	s_or_b64 exec, exec, s[0:1]
	v_mov_b32_e32 v8, v6
	v_cmp_gt_u32_e32 vcc, 18, v0
	v_mov_b32_e32 v7, v5
	s_waitcnt lgkmcnt(0)
	s_barrier
	s_and_saveexec_b64 s[0:1], vcc
	s_cbranch_execz .LBB497_23
; %bb.22:
	s_movk_i32 s2, 0x88
	v_mad_u32_u24 v7, v0, s2, v9
	ds_read_b128 v[10:13], v7
	s_waitcnt lgkmcnt(0)
	v_add_f64 v[7:8], v[10:11], v[12:13]
.LBB497_23:
	s_or_b64 exec, exec, s[0:1]
	s_branch .LBB497_36
.LBB497_24:
                                        ; implicit-def: $vgpr7_vgpr8
	s_cbranch_execz .LBB497_36
; %bb.25:
	v_cmp_gt_u32_e32 vcc, 36, v0
	s_and_saveexec_b64 s[0:1], vcc
	s_cbranch_execz .LBB497_27
; %bb.26:
	ds_read_b64 v[7:8], v9 offset:2304
	ds_read_b64 v[10:11], v9
	s_waitcnt lgkmcnt(0)
	v_add_f64 v[7:8], v[7:8], v[10:11]
	ds_write_b64 v9, v[7:8]
.LBB497_27:
	s_or_b64 exec, exec, s[0:1]
	s_movk_i32 s0, 0x90
	v_cmp_gt_u32_e64 s[0:1], s0, v0
	s_waitcnt lgkmcnt(0)
	s_barrier
	s_and_saveexec_b64 s[2:3], s[0:1]
	s_cbranch_execz .LBB497_29
; %bb.28:
	ds_read2_b64 v[10:13], v9 offset1:144
	s_waitcnt lgkmcnt(0)
	v_add_f64 v[7:8], v[12:13], v[10:11]
	ds_write_b64 v9, v[7:8]
.LBB497_29:
	s_or_b64 exec, exec, s[2:3]
	s_movk_i32 s0, 0x48
	v_cmp_gt_u32_e64 s[0:1], s0, v0
	s_waitcnt lgkmcnt(0)
	s_barrier
	s_and_saveexec_b64 s[2:3], s[0:1]
	s_cbranch_execz .LBB497_31
; %bb.30:
	ds_read2_b64 v[10:13], v9 offset1:72
	s_waitcnt lgkmcnt(0)
	v_add_f64 v[7:8], v[12:13], v[10:11]
	ds_write_b64 v9, v[7:8]
.LBB497_31:
	s_or_b64 exec, exec, s[2:3]
	s_waitcnt lgkmcnt(0)
	s_barrier
	s_and_saveexec_b64 s[0:1], vcc
	s_cbranch_execz .LBB497_33
; %bb.32:
	ds_read2_b64 v[10:13], v9 offset1:36
	s_waitcnt lgkmcnt(0)
	v_add_f64 v[7:8], v[12:13], v[10:11]
	ds_write_b64 v9, v[7:8]
.LBB497_33:
	s_or_b64 exec, exec, s[0:1]
	v_cmp_gt_u32_e32 vcc, 18, v0
	s_waitcnt lgkmcnt(0)
	s_and_saveexec_b64 s[0:1], vcc
	s_cbranch_execz .LBB497_35
; %bb.34:
	ds_read2_b64 v[5:8], v9 offset1:18
	s_waitcnt lgkmcnt(0)
	v_add_f64 v[5:6], v[5:6], v[7:8]
.LBB497_35:
	s_or_b64 exec, exec, s[0:1]
	v_mov_b32_e32 v8, v6
	v_mov_b32_e32 v7, v5
.LBB497_36:
	v_cmp_gt_u32_e32 vcc, 18, v0
	s_and_b64 exec, exec, vcc
	s_cbranch_execz .LBB497_41
; %bb.37:
	v_cmp_eq_f64_e32 vcc, 0, v[1:2]
	v_mul_f64 v[3:4], v[3:4], v[7:8]
	s_and_saveexec_b64 s[0:1], vcc
	s_xor_b64 s[0:1], exec, s[0:1]
	s_cbranch_execz .LBB497_39
; %bb.38:
	v_mad_u64_u32 v[0:1], s[2:3], s6, 18, v[0:1]
	v_mov_b32_e32 v1, 0
	v_mov_b32_e32 v2, s13
	v_lshlrev_b64 v[0:1], 3, v[0:1]
	v_add_co_u32_e32 v0, vcc, s12, v0
	v_addc_co_u32_e32 v1, vcc, v2, v1, vcc
	global_store_dwordx2 v[0:1], v[3:4], off
                                        ; implicit-def: $vgpr0
                                        ; implicit-def: $vgpr1_vgpr2
                                        ; implicit-def: $vgpr3_vgpr4
.LBB497_39:
	s_andn2_saveexec_b64 s[0:1], s[0:1]
	s_cbranch_execz .LBB497_41
; %bb.40:
	v_mad_u64_u32 v[5:6], s[0:1], s6, 18, v[0:1]
	v_mov_b32_e32 v6, 0
	v_mov_b32_e32 v0, s13
	v_lshlrev_b64 v[5:6], 3, v[5:6]
	v_add_co_u32_e32 v5, vcc, s12, v5
	v_addc_co_u32_e32 v6, vcc, v0, v6, vcc
	global_load_dwordx2 v[7:8], v[5:6], off
	s_waitcnt vmcnt(0)
	v_fma_f64 v[0:1], v[1:2], v[7:8], v[3:4]
	global_store_dwordx2 v[5:6], v[0:1], off
.LBB497_41:
	s_endpgm
	.section	.rodata,"a",@progbits
	.p2align	6, 0x0
	.amdhsa_kernel _ZN9rocsparseL20bsrxmvn_17_32_kernelILj18EdlifddEEvT2_20rocsparse_direction_NS_24const_host_device_scalarIT0_EES1_PKS1_PKT1_SA_S7_PKT3_PKT4_S5_PT5_21rocsparse_index_base_b
		.amdhsa_group_segment_fixed_size 2592
		.amdhsa_private_segment_fixed_size 0
		.amdhsa_kernarg_size 96
		.amdhsa_user_sgpr_count 6
		.amdhsa_user_sgpr_private_segment_buffer 1
		.amdhsa_user_sgpr_dispatch_ptr 0
		.amdhsa_user_sgpr_queue_ptr 0
		.amdhsa_user_sgpr_kernarg_segment_ptr 1
		.amdhsa_user_sgpr_dispatch_id 0
		.amdhsa_user_sgpr_flat_scratch_init 0
		.amdhsa_user_sgpr_private_segment_size 0
		.amdhsa_uses_dynamic_stack 0
		.amdhsa_system_sgpr_private_segment_wavefront_offset 0
		.amdhsa_system_sgpr_workgroup_id_x 1
		.amdhsa_system_sgpr_workgroup_id_y 0
		.amdhsa_system_sgpr_workgroup_id_z 0
		.amdhsa_system_sgpr_workgroup_info 0
		.amdhsa_system_vgpr_workitem_id 0
		.amdhsa_next_free_vgpr 25
		.amdhsa_next_free_sgpr 61
		.amdhsa_reserve_vcc 1
		.amdhsa_reserve_flat_scratch 0
		.amdhsa_float_round_mode_32 0
		.amdhsa_float_round_mode_16_64 0
		.amdhsa_float_denorm_mode_32 3
		.amdhsa_float_denorm_mode_16_64 3
		.amdhsa_dx10_clamp 1
		.amdhsa_ieee_mode 1
		.amdhsa_fp16_overflow 0
		.amdhsa_exception_fp_ieee_invalid_op 0
		.amdhsa_exception_fp_denorm_src 0
		.amdhsa_exception_fp_ieee_div_zero 0
		.amdhsa_exception_fp_ieee_overflow 0
		.amdhsa_exception_fp_ieee_underflow 0
		.amdhsa_exception_fp_ieee_inexact 0
		.amdhsa_exception_int_div_zero 0
	.end_amdhsa_kernel
	.section	.text._ZN9rocsparseL20bsrxmvn_17_32_kernelILj18EdlifddEEvT2_20rocsparse_direction_NS_24const_host_device_scalarIT0_EES1_PKS1_PKT1_SA_S7_PKT3_PKT4_S5_PT5_21rocsparse_index_base_b,"axG",@progbits,_ZN9rocsparseL20bsrxmvn_17_32_kernelILj18EdlifddEEvT2_20rocsparse_direction_NS_24const_host_device_scalarIT0_EES1_PKS1_PKT1_SA_S7_PKT3_PKT4_S5_PT5_21rocsparse_index_base_b,comdat
.Lfunc_end497:
	.size	_ZN9rocsparseL20bsrxmvn_17_32_kernelILj18EdlifddEEvT2_20rocsparse_direction_NS_24const_host_device_scalarIT0_EES1_PKS1_PKT1_SA_S7_PKT3_PKT4_S5_PT5_21rocsparse_index_base_b, .Lfunc_end497-_ZN9rocsparseL20bsrxmvn_17_32_kernelILj18EdlifddEEvT2_20rocsparse_direction_NS_24const_host_device_scalarIT0_EES1_PKS1_PKT1_SA_S7_PKT3_PKT4_S5_PT5_21rocsparse_index_base_b
                                        ; -- End function
	.set _ZN9rocsparseL20bsrxmvn_17_32_kernelILj18EdlifddEEvT2_20rocsparse_direction_NS_24const_host_device_scalarIT0_EES1_PKS1_PKT1_SA_S7_PKT3_PKT4_S5_PT5_21rocsparse_index_base_b.num_vgpr, 18
	.set _ZN9rocsparseL20bsrxmvn_17_32_kernelILj18EdlifddEEvT2_20rocsparse_direction_NS_24const_host_device_scalarIT0_EES1_PKS1_PKT1_SA_S7_PKT3_PKT4_S5_PT5_21rocsparse_index_base_b.num_agpr, 0
	.set _ZN9rocsparseL20bsrxmvn_17_32_kernelILj18EdlifddEEvT2_20rocsparse_direction_NS_24const_host_device_scalarIT0_EES1_PKS1_PKT1_SA_S7_PKT3_PKT4_S5_PT5_21rocsparse_index_base_b.numbered_sgpr, 22
	.set _ZN9rocsparseL20bsrxmvn_17_32_kernelILj18EdlifddEEvT2_20rocsparse_direction_NS_24const_host_device_scalarIT0_EES1_PKS1_PKT1_SA_S7_PKT3_PKT4_S5_PT5_21rocsparse_index_base_b.num_named_barrier, 0
	.set _ZN9rocsparseL20bsrxmvn_17_32_kernelILj18EdlifddEEvT2_20rocsparse_direction_NS_24const_host_device_scalarIT0_EES1_PKS1_PKT1_SA_S7_PKT3_PKT4_S5_PT5_21rocsparse_index_base_b.private_seg_size, 0
	.set _ZN9rocsparseL20bsrxmvn_17_32_kernelILj18EdlifddEEvT2_20rocsparse_direction_NS_24const_host_device_scalarIT0_EES1_PKS1_PKT1_SA_S7_PKT3_PKT4_S5_PT5_21rocsparse_index_base_b.uses_vcc, 1
	.set _ZN9rocsparseL20bsrxmvn_17_32_kernelILj18EdlifddEEvT2_20rocsparse_direction_NS_24const_host_device_scalarIT0_EES1_PKS1_PKT1_SA_S7_PKT3_PKT4_S5_PT5_21rocsparse_index_base_b.uses_flat_scratch, 0
	.set _ZN9rocsparseL20bsrxmvn_17_32_kernelILj18EdlifddEEvT2_20rocsparse_direction_NS_24const_host_device_scalarIT0_EES1_PKS1_PKT1_SA_S7_PKT3_PKT4_S5_PT5_21rocsparse_index_base_b.has_dyn_sized_stack, 0
	.set _ZN9rocsparseL20bsrxmvn_17_32_kernelILj18EdlifddEEvT2_20rocsparse_direction_NS_24const_host_device_scalarIT0_EES1_PKS1_PKT1_SA_S7_PKT3_PKT4_S5_PT5_21rocsparse_index_base_b.has_recursion, 0
	.set _ZN9rocsparseL20bsrxmvn_17_32_kernelILj18EdlifddEEvT2_20rocsparse_direction_NS_24const_host_device_scalarIT0_EES1_PKS1_PKT1_SA_S7_PKT3_PKT4_S5_PT5_21rocsparse_index_base_b.has_indirect_call, 0
	.section	.AMDGPU.csdata,"",@progbits
; Kernel info:
; codeLenInByte = 1428
; TotalNumSgprs: 26
; NumVgprs: 18
; ScratchSize: 0
; MemoryBound: 0
; FloatMode: 240
; IeeeMode: 1
; LDSByteSize: 2592 bytes/workgroup (compile time only)
; SGPRBlocks: 8
; VGPRBlocks: 6
; NumSGPRsForWavesPerEU: 65
; NumVGPRsForWavesPerEU: 25
; Occupancy: 9
; WaveLimiterHint : 1
; COMPUTE_PGM_RSRC2:SCRATCH_EN: 0
; COMPUTE_PGM_RSRC2:USER_SGPR: 6
; COMPUTE_PGM_RSRC2:TRAP_HANDLER: 0
; COMPUTE_PGM_RSRC2:TGID_X_EN: 1
; COMPUTE_PGM_RSRC2:TGID_Y_EN: 0
; COMPUTE_PGM_RSRC2:TGID_Z_EN: 0
; COMPUTE_PGM_RSRC2:TIDIG_COMP_CNT: 0
	.section	.text._ZN9rocsparseL20bsrxmvn_17_32_kernelILj19EdlifddEEvT2_20rocsparse_direction_NS_24const_host_device_scalarIT0_EES1_PKS1_PKT1_SA_S7_PKT3_PKT4_S5_PT5_21rocsparse_index_base_b,"axG",@progbits,_ZN9rocsparseL20bsrxmvn_17_32_kernelILj19EdlifddEEvT2_20rocsparse_direction_NS_24const_host_device_scalarIT0_EES1_PKS1_PKT1_SA_S7_PKT3_PKT4_S5_PT5_21rocsparse_index_base_b,comdat
	.globl	_ZN9rocsparseL20bsrxmvn_17_32_kernelILj19EdlifddEEvT2_20rocsparse_direction_NS_24const_host_device_scalarIT0_EES1_PKS1_PKT1_SA_S7_PKT3_PKT4_S5_PT5_21rocsparse_index_base_b ; -- Begin function _ZN9rocsparseL20bsrxmvn_17_32_kernelILj19EdlifddEEvT2_20rocsparse_direction_NS_24const_host_device_scalarIT0_EES1_PKS1_PKT1_SA_S7_PKT3_PKT4_S5_PT5_21rocsparse_index_base_b
	.p2align	8
	.type	_ZN9rocsparseL20bsrxmvn_17_32_kernelILj19EdlifddEEvT2_20rocsparse_direction_NS_24const_host_device_scalarIT0_EES1_PKS1_PKT1_SA_S7_PKT3_PKT4_S5_PT5_21rocsparse_index_base_b,@function
_ZN9rocsparseL20bsrxmvn_17_32_kernelILj19EdlifddEEvT2_20rocsparse_direction_NS_24const_host_device_scalarIT0_EES1_PKS1_PKT1_SA_S7_PKT3_PKT4_S5_PT5_21rocsparse_index_base_b: ; @_ZN9rocsparseL20bsrxmvn_17_32_kernelILj19EdlifddEEvT2_20rocsparse_direction_NS_24const_host_device_scalarIT0_EES1_PKS1_PKT1_SA_S7_PKT3_PKT4_S5_PT5_21rocsparse_index_base_b
; %bb.0:
	s_load_dwordx2 s[14:15], s[4:5], 0x58
	s_load_dwordx2 s[8:9], s[4:5], 0x8
	;; [unrolled: 1-line block ×3, first 2 shown]
	s_waitcnt lgkmcnt(0)
	s_bitcmp1_b32 s15, 0
	s_cselect_b64 s[10:11], -1, 0
	v_mov_b32_e32 v3, s8
	s_xor_b64 s[2:3], s[10:11], -1
	s_and_b64 vcc, exec, s[10:11]
	v_mov_b32_e32 v4, s9
	s_cbranch_vccnz .LBB498_2
; %bb.1:
	v_mov_b32_e32 v1, s8
	v_mov_b32_e32 v2, s9
	flat_load_dwordx2 v[3:4], v[1:2]
.LBB498_2:
	v_mov_b32_e32 v2, s1
	s_andn2_b64 vcc, exec, s[2:3]
	v_mov_b32_e32 v1, s0
	s_cbranch_vccnz .LBB498_4
; %bb.3:
	v_mov_b32_e32 v2, s1
	v_mov_b32_e32 v1, s0
	flat_load_dwordx2 v[1:2], v[1:2]
.LBB498_4:
	s_waitcnt vmcnt(0) lgkmcnt(0)
	v_cmp_neq_f64_e32 vcc, 0, v[3:4]
	v_cmp_neq_f64_e64 s[0:1], 1.0, v[1:2]
	s_or_b64 s[0:1], vcc, s[0:1]
	s_and_saveexec_b64 s[2:3], s[0:1]
	s_cbranch_execz .LBB498_41
; %bb.5:
	s_load_dwordx4 s[0:3], s[4:5], 0x18
	s_load_dwordx2 s[8:9], s[4:5], 0x28
	s_waitcnt lgkmcnt(0)
	s_cmp_eq_u64 s[0:1], 0
	s_cbranch_scc1 .LBB498_7
; %bb.6:
	s_ashr_i32 s7, s6, 31
	s_lshl_b64 s[6:7], s[6:7], 2
	s_add_u32 s0, s0, s6
	s_addc_u32 s1, s1, s7
	s_load_dword s0, s[0:1], 0x0
	s_waitcnt lgkmcnt(0)
	s_sub_i32 s6, s0, s14
.LBB498_7:
	s_load_dword s7, s[4:5], 0x4
	s_load_dwordx2 s[12:13], s[4:5], 0x50
	v_mul_u32_u24_e32 v7, 0xd7a, v0
	v_mov_b32_e32 v8, 19
	v_mul_lo_u16_sdwa v5, v7, v8 dst_sel:DWORD dst_unused:UNUSED_PAD src0_sel:WORD_1 src1_sel:DWORD
	s_waitcnt lgkmcnt(0)
	s_cmp_eq_u32 s7, 1
	s_cselect_b64 s[0:1], -1, 0
	s_cmp_lg_u32 s7, 1
	s_cselect_b64 s[16:17], -1, 0
	s_ashr_i32 s7, s6, 31
	s_lshl_b64 s[10:11], s[6:7], 3
	s_add_u32 s2, s2, s10
	s_addc_u32 s3, s3, s11
	s_add_u32 s7, s2, 8
	s_addc_u32 s15, s3, 0
	s_add_u32 s10, s8, s10
	s_addc_u32 s11, s9, s11
	s_cmp_eq_u64 s[8:9], 0
	s_cselect_b32 s9, s15, s11
	s_cselect_b32 s8, s7, s10
	s_load_dwordx2 s[18:19], s[8:9], 0x0
	s_load_dwordx2 s[20:21], s[2:3], 0x0
	v_sub_u16_e32 v14, v0, v5
	s_waitcnt lgkmcnt(0)
	v_mov_b32_e32 v5, s18
	v_mov_b32_e32 v6, s19
	v_cmp_ge_i64_e32 vcc, s[20:21], v[5:6]
	v_mov_b32_e32 v5, 0
	v_mov_b32_e32 v6, 0
	s_cbranch_vccnz .LBB498_12
; %bb.8:
	v_mov_b32_e32 v5, 14
	s_load_dwordx4 s[8:11], s[4:5], 0x30
	s_load_dwordx2 s[2:3], s[4:5], 0x40
	s_sub_u32 s4, s18, s14
	v_mul_lo_u16_sdwa v5, v7, v5 dst_sel:DWORD dst_unused:UNUSED_PAD src0_sel:WORD_1 src1_sel:DWORD
	s_subb_u32 s5, s19, 0
	v_mul_lo_u16_sdwa v5, v5, v8 dst_sel:DWORD dst_unused:UNUSED_PAD src0_sel:BYTE_1 src1_sel:DWORD
	v_sub_u16_sdwa v5, v7, v5 dst_sel:DWORD dst_unused:UNUSED_PAD src0_sel:WORD_1 src1_sel:DWORD
	s_sub_u32 s18, s20, s14
	v_and_b32_e32 v5, 0xff, v5
	s_subb_u32 s19, s21, 0
	v_cndmask_b32_e64 v7, v14, v5, s[0:1]
	s_mul_i32 s0, s19, 0x5a4
	s_mul_hi_u32 s1, s18, 0x5a4
	s_add_i32 s1, s1, s0
	s_mul_i32 s0, s18, 0x5a4
	s_waitcnt lgkmcnt(0)
	s_add_u32 s0, s10, s0
	v_lshlrev_b32_e32 v5, 2, v0
	s_addc_u32 s1, s11, s1
	v_add_co_u32_e32 v8, vcc, s0, v5
	s_movk_i32 s0, 0xb6
	v_mov_b32_e32 v6, s1
	v_mul_u32_u24_sdwa v5, v0, s0 dst_sel:DWORD dst_unused:UNUSED_PAD src0_sel:WORD_0 src1_sel:DWORD
	v_addc_co_u32_e32 v9, vcc, 0, v6, vcc
	v_lshrrev_b32_e32 v15, 16, v5
	v_mov_b32_e32 v5, s21
	v_add_co_u32_e32 v6, vcc, s20, v15
	v_addc_co_u32_e32 v10, vcc, 0, v5, vcc
	v_subrev_co_u32_e32 v5, vcc, s14, v6
	v_subbrev_co_u32_e32 v6, vcc, 0, v10, vcc
	v_lshlrev_b64 v[5:6], 2, v[5:6]
	v_mov_b32_e32 v11, s9
	v_add_co_u32_e32 v10, vcc, s8, v5
	v_addc_co_u32_e32 v11, vcc, v11, v6, vcc
	v_mov_b32_e32 v5, 0
	v_mov_b32_e32 v13, s5
	;; [unrolled: 1-line block ×4, first 2 shown]
	s_branch .LBB498_10
.LBB498_9:                              ;   in Loop: Header=BB498_10 Depth=1
	s_or_b64 exec, exec, s[0:1]
	s_add_u32 s18, s18, 1
	s_addc_u32 s19, s19, 0
	v_cmp_lt_i64_e32 vcc, s[18:19], v[12:13]
	v_add_co_u32_e64 v10, s[0:1], 4, v10
	v_addc_co_u32_e64 v11, s[0:1], 0, v11, s[0:1]
	s_cbranch_vccz .LBB498_12
.LBB498_10:                             ; =>This Inner Loop Header: Depth=1
	v_mov_b32_e32 v17, s19
	v_add_co_u32_e32 v16, vcc, s18, v15
	v_addc_co_u32_e32 v17, vcc, 0, v17, vcc
	v_cmp_gt_i64_e32 vcc, s[4:5], v[16:17]
	s_and_saveexec_b64 s[0:1], vcc
	s_cbranch_execz .LBB498_9
; %bb.11:                               ;   in Loop: Header=BB498_10 Depth=1
	global_load_dword v16, v[10:11], off
	global_load_dword v18, v[8:9], off
	v_mov_b32_e32 v19, s3
	s_waitcnt vmcnt(1)
	v_subrev_u32_e32 v16, s14, v16
	v_mad_u64_u32 v[16:17], s[8:9], v16, 19, v[7:8]
	v_ashrrev_i32_e32 v17, 31, v16
	v_lshlrev_b64 v[16:17], 3, v[16:17]
	v_add_co_u32_e32 v16, vcc, s2, v16
	v_addc_co_u32_e32 v17, vcc, v19, v17, vcc
	global_load_dwordx2 v[16:17], v[16:17], off
	s_waitcnt vmcnt(1)
	v_cvt_f64_f32_e32 v[18:19], v18
	v_add_co_u32_e32 v8, vcc, 0x5a4, v8
	v_addc_co_u32_e32 v9, vcc, 0, v9, vcc
	s_waitcnt vmcnt(0)
	v_fma_f64 v[5:6], v[18:19], v[16:17], v[5:6]
	s_branch .LBB498_9
.LBB498_12:
	v_lshlrev_b32_e32 v9, 3, v0
	s_and_b64 vcc, exec, s[16:17]
	ds_write_b64 v9, v[5:6]
	s_waitcnt lgkmcnt(0)
	s_barrier
	s_cbranch_vccz .LBB498_24
; %bb.13:
	v_cmp_gt_u16_e32 vcc, 3, v14
	s_and_saveexec_b64 s[0:1], vcc
	s_cbranch_execz .LBB498_15
; %bb.14:
	ds_read2_b64 v[10:13], v9 offset1:16
	s_waitcnt lgkmcnt(0)
	v_add_f64 v[7:8], v[12:13], v[10:11]
	ds_write_b64 v9, v[7:8]
.LBB498_15:
	s_or_b64 exec, exec, s[0:1]
	v_cmp_gt_u16_e32 vcc, 8, v14
	s_waitcnt lgkmcnt(0)
	s_barrier
	s_and_saveexec_b64 s[0:1], vcc
	s_cbranch_execz .LBB498_17
; %bb.16:
	ds_read2_b64 v[10:13], v9 offset1:8
	s_waitcnt lgkmcnt(0)
	v_add_f64 v[7:8], v[12:13], v[10:11]
	ds_write_b64 v9, v[7:8]
.LBB498_17:
	s_or_b64 exec, exec, s[0:1]
	v_cmp_gt_u16_e32 vcc, 4, v14
	s_waitcnt lgkmcnt(0)
	s_barrier
	;; [unrolled: 12-line block ×3, first 2 shown]
	s_and_saveexec_b64 s[0:1], vcc
	s_cbranch_execz .LBB498_21
; %bb.20:
	ds_read2_b64 v[10:13], v9 offset1:2
	s_waitcnt lgkmcnt(0)
	v_add_f64 v[7:8], v[12:13], v[10:11]
	ds_write_b64 v9, v[7:8]
.LBB498_21:
	s_or_b64 exec, exec, s[0:1]
	v_mov_b32_e32 v8, v6
	v_cmp_gt_u32_e32 vcc, 19, v0
	v_mov_b32_e32 v7, v5
	s_waitcnt lgkmcnt(0)
	s_barrier
	s_and_saveexec_b64 s[0:1], vcc
	s_cbranch_execz .LBB498_23
; %bb.22:
	s_movk_i32 s2, 0x90
	v_mad_u32_u24 v7, v0, s2, v9
	ds_read2_b64 v[10:13], v7 offset1:1
	s_waitcnt lgkmcnt(0)
	v_add_f64 v[7:8], v[10:11], v[12:13]
.LBB498_23:
	s_or_b64 exec, exec, s[0:1]
	s_branch .LBB498_36
.LBB498_24:
                                        ; implicit-def: $vgpr7_vgpr8
	s_cbranch_execz .LBB498_36
; %bb.25:
	v_cmp_gt_u32_e32 vcc, 57, v0
	s_and_saveexec_b64 s[0:1], vcc
	s_cbranch_execz .LBB498_27
; %bb.26:
	ds_read_b64 v[7:8], v9 offset:2432
	ds_read_b64 v[10:11], v9
	s_waitcnt lgkmcnt(0)
	v_add_f64 v[7:8], v[7:8], v[10:11]
	ds_write_b64 v9, v[7:8]
.LBB498_27:
	s_or_b64 exec, exec, s[0:1]
	s_movk_i32 s0, 0x98
	v_cmp_gt_u32_e32 vcc, s0, v0
	s_waitcnt lgkmcnt(0)
	s_barrier
	s_and_saveexec_b64 s[0:1], vcc
	s_cbranch_execz .LBB498_29
; %bb.28:
	ds_read2_b64 v[10:13], v9 offset1:152
	s_waitcnt lgkmcnt(0)
	v_add_f64 v[7:8], v[12:13], v[10:11]
	ds_write_b64 v9, v[7:8]
.LBB498_29:
	s_or_b64 exec, exec, s[0:1]
	s_movk_i32 s0, 0x4c
	v_cmp_gt_u32_e32 vcc, s0, v0
	s_waitcnt lgkmcnt(0)
	s_barrier
	s_and_saveexec_b64 s[0:1], vcc
	s_cbranch_execz .LBB498_31
; %bb.30:
	ds_read2_b64 v[10:13], v9 offset1:76
	s_waitcnt lgkmcnt(0)
	v_add_f64 v[7:8], v[12:13], v[10:11]
	ds_write_b64 v9, v[7:8]
.LBB498_31:
	s_or_b64 exec, exec, s[0:1]
	v_cmp_gt_u32_e32 vcc, 38, v0
	s_waitcnt lgkmcnt(0)
	s_barrier
	s_and_saveexec_b64 s[0:1], vcc
	s_cbranch_execz .LBB498_33
; %bb.32:
	ds_read2_b64 v[10:13], v9 offset1:38
	s_waitcnt lgkmcnt(0)
	v_add_f64 v[7:8], v[12:13], v[10:11]
	ds_write_b64 v9, v[7:8]
.LBB498_33:
	s_or_b64 exec, exec, s[0:1]
	v_cmp_gt_u32_e32 vcc, 19, v0
	s_waitcnt lgkmcnt(0)
	s_and_saveexec_b64 s[0:1], vcc
	s_cbranch_execz .LBB498_35
; %bb.34:
	ds_read2_b64 v[5:8], v9 offset1:19
	s_waitcnt lgkmcnt(0)
	v_add_f64 v[5:6], v[5:6], v[7:8]
.LBB498_35:
	s_or_b64 exec, exec, s[0:1]
	v_mov_b32_e32 v8, v6
	v_mov_b32_e32 v7, v5
.LBB498_36:
	v_cmp_gt_u32_e32 vcc, 19, v0
	s_and_b64 exec, exec, vcc
	s_cbranch_execz .LBB498_41
; %bb.37:
	v_cmp_eq_f64_e32 vcc, 0, v[1:2]
	v_mul_f64 v[3:4], v[3:4], v[7:8]
	s_and_saveexec_b64 s[0:1], vcc
	s_xor_b64 s[0:1], exec, s[0:1]
	s_cbranch_execz .LBB498_39
; %bb.38:
	v_mad_u64_u32 v[0:1], s[2:3], s6, 19, v[0:1]
	v_mov_b32_e32 v1, 0
	v_mov_b32_e32 v2, s13
	v_lshlrev_b64 v[0:1], 3, v[0:1]
	v_add_co_u32_e32 v0, vcc, s12, v0
	v_addc_co_u32_e32 v1, vcc, v2, v1, vcc
	global_store_dwordx2 v[0:1], v[3:4], off
                                        ; implicit-def: $vgpr0
                                        ; implicit-def: $vgpr1_vgpr2
                                        ; implicit-def: $vgpr3_vgpr4
.LBB498_39:
	s_andn2_saveexec_b64 s[0:1], s[0:1]
	s_cbranch_execz .LBB498_41
; %bb.40:
	v_mad_u64_u32 v[5:6], s[0:1], s6, 19, v[0:1]
	v_mov_b32_e32 v6, 0
	v_mov_b32_e32 v0, s13
	v_lshlrev_b64 v[5:6], 3, v[5:6]
	v_add_co_u32_e32 v5, vcc, s12, v5
	v_addc_co_u32_e32 v6, vcc, v0, v6, vcc
	global_load_dwordx2 v[7:8], v[5:6], off
	s_waitcnt vmcnt(0)
	v_fma_f64 v[0:1], v[1:2], v[7:8], v[3:4]
	global_store_dwordx2 v[5:6], v[0:1], off
.LBB498_41:
	s_endpgm
	.section	.rodata,"a",@progbits
	.p2align	6, 0x0
	.amdhsa_kernel _ZN9rocsparseL20bsrxmvn_17_32_kernelILj19EdlifddEEvT2_20rocsparse_direction_NS_24const_host_device_scalarIT0_EES1_PKS1_PKT1_SA_S7_PKT3_PKT4_S5_PT5_21rocsparse_index_base_b
		.amdhsa_group_segment_fixed_size 2888
		.amdhsa_private_segment_fixed_size 0
		.amdhsa_kernarg_size 96
		.amdhsa_user_sgpr_count 6
		.amdhsa_user_sgpr_private_segment_buffer 1
		.amdhsa_user_sgpr_dispatch_ptr 0
		.amdhsa_user_sgpr_queue_ptr 0
		.amdhsa_user_sgpr_kernarg_segment_ptr 1
		.amdhsa_user_sgpr_dispatch_id 0
		.amdhsa_user_sgpr_flat_scratch_init 0
		.amdhsa_user_sgpr_private_segment_size 0
		.amdhsa_uses_dynamic_stack 0
		.amdhsa_system_sgpr_private_segment_wavefront_offset 0
		.amdhsa_system_sgpr_workgroup_id_x 1
		.amdhsa_system_sgpr_workgroup_id_y 0
		.amdhsa_system_sgpr_workgroup_id_z 0
		.amdhsa_system_sgpr_workgroup_info 0
		.amdhsa_system_vgpr_workitem_id 0
		.amdhsa_next_free_vgpr 25
		.amdhsa_next_free_sgpr 61
		.amdhsa_reserve_vcc 1
		.amdhsa_reserve_flat_scratch 0
		.amdhsa_float_round_mode_32 0
		.amdhsa_float_round_mode_16_64 0
		.amdhsa_float_denorm_mode_32 3
		.amdhsa_float_denorm_mode_16_64 3
		.amdhsa_dx10_clamp 1
		.amdhsa_ieee_mode 1
		.amdhsa_fp16_overflow 0
		.amdhsa_exception_fp_ieee_invalid_op 0
		.amdhsa_exception_fp_denorm_src 0
		.amdhsa_exception_fp_ieee_div_zero 0
		.amdhsa_exception_fp_ieee_overflow 0
		.amdhsa_exception_fp_ieee_underflow 0
		.amdhsa_exception_fp_ieee_inexact 0
		.amdhsa_exception_int_div_zero 0
	.end_amdhsa_kernel
	.section	.text._ZN9rocsparseL20bsrxmvn_17_32_kernelILj19EdlifddEEvT2_20rocsparse_direction_NS_24const_host_device_scalarIT0_EES1_PKS1_PKT1_SA_S7_PKT3_PKT4_S5_PT5_21rocsparse_index_base_b,"axG",@progbits,_ZN9rocsparseL20bsrxmvn_17_32_kernelILj19EdlifddEEvT2_20rocsparse_direction_NS_24const_host_device_scalarIT0_EES1_PKS1_PKT1_SA_S7_PKT3_PKT4_S5_PT5_21rocsparse_index_base_b,comdat
.Lfunc_end498:
	.size	_ZN9rocsparseL20bsrxmvn_17_32_kernelILj19EdlifddEEvT2_20rocsparse_direction_NS_24const_host_device_scalarIT0_EES1_PKS1_PKT1_SA_S7_PKT3_PKT4_S5_PT5_21rocsparse_index_base_b, .Lfunc_end498-_ZN9rocsparseL20bsrxmvn_17_32_kernelILj19EdlifddEEvT2_20rocsparse_direction_NS_24const_host_device_scalarIT0_EES1_PKS1_PKT1_SA_S7_PKT3_PKT4_S5_PT5_21rocsparse_index_base_b
                                        ; -- End function
	.set _ZN9rocsparseL20bsrxmvn_17_32_kernelILj19EdlifddEEvT2_20rocsparse_direction_NS_24const_host_device_scalarIT0_EES1_PKS1_PKT1_SA_S7_PKT3_PKT4_S5_PT5_21rocsparse_index_base_b.num_vgpr, 20
	.set _ZN9rocsparseL20bsrxmvn_17_32_kernelILj19EdlifddEEvT2_20rocsparse_direction_NS_24const_host_device_scalarIT0_EES1_PKS1_PKT1_SA_S7_PKT3_PKT4_S5_PT5_21rocsparse_index_base_b.num_agpr, 0
	.set _ZN9rocsparseL20bsrxmvn_17_32_kernelILj19EdlifddEEvT2_20rocsparse_direction_NS_24const_host_device_scalarIT0_EES1_PKS1_PKT1_SA_S7_PKT3_PKT4_S5_PT5_21rocsparse_index_base_b.numbered_sgpr, 22
	.set _ZN9rocsparseL20bsrxmvn_17_32_kernelILj19EdlifddEEvT2_20rocsparse_direction_NS_24const_host_device_scalarIT0_EES1_PKS1_PKT1_SA_S7_PKT3_PKT4_S5_PT5_21rocsparse_index_base_b.num_named_barrier, 0
	.set _ZN9rocsparseL20bsrxmvn_17_32_kernelILj19EdlifddEEvT2_20rocsparse_direction_NS_24const_host_device_scalarIT0_EES1_PKS1_PKT1_SA_S7_PKT3_PKT4_S5_PT5_21rocsparse_index_base_b.private_seg_size, 0
	.set _ZN9rocsparseL20bsrxmvn_17_32_kernelILj19EdlifddEEvT2_20rocsparse_direction_NS_24const_host_device_scalarIT0_EES1_PKS1_PKT1_SA_S7_PKT3_PKT4_S5_PT5_21rocsparse_index_base_b.uses_vcc, 1
	.set _ZN9rocsparseL20bsrxmvn_17_32_kernelILj19EdlifddEEvT2_20rocsparse_direction_NS_24const_host_device_scalarIT0_EES1_PKS1_PKT1_SA_S7_PKT3_PKT4_S5_PT5_21rocsparse_index_base_b.uses_flat_scratch, 0
	.set _ZN9rocsparseL20bsrxmvn_17_32_kernelILj19EdlifddEEvT2_20rocsparse_direction_NS_24const_host_device_scalarIT0_EES1_PKS1_PKT1_SA_S7_PKT3_PKT4_S5_PT5_21rocsparse_index_base_b.has_dyn_sized_stack, 0
	.set _ZN9rocsparseL20bsrxmvn_17_32_kernelILj19EdlifddEEvT2_20rocsparse_direction_NS_24const_host_device_scalarIT0_EES1_PKS1_PKT1_SA_S7_PKT3_PKT4_S5_PT5_21rocsparse_index_base_b.has_recursion, 0
	.set _ZN9rocsparseL20bsrxmvn_17_32_kernelILj19EdlifddEEvT2_20rocsparse_direction_NS_24const_host_device_scalarIT0_EES1_PKS1_PKT1_SA_S7_PKT3_PKT4_S5_PT5_21rocsparse_index_base_b.has_indirect_call, 0
	.section	.AMDGPU.csdata,"",@progbits
; Kernel info:
; codeLenInByte = 1420
; TotalNumSgprs: 26
; NumVgprs: 20
; ScratchSize: 0
; MemoryBound: 0
; FloatMode: 240
; IeeeMode: 1
; LDSByteSize: 2888 bytes/workgroup (compile time only)
; SGPRBlocks: 8
; VGPRBlocks: 6
; NumSGPRsForWavesPerEU: 65
; NumVGPRsForWavesPerEU: 25
; Occupancy: 9
; WaveLimiterHint : 1
; COMPUTE_PGM_RSRC2:SCRATCH_EN: 0
; COMPUTE_PGM_RSRC2:USER_SGPR: 6
; COMPUTE_PGM_RSRC2:TRAP_HANDLER: 0
; COMPUTE_PGM_RSRC2:TGID_X_EN: 1
; COMPUTE_PGM_RSRC2:TGID_Y_EN: 0
; COMPUTE_PGM_RSRC2:TGID_Z_EN: 0
; COMPUTE_PGM_RSRC2:TIDIG_COMP_CNT: 0
	.section	.text._ZN9rocsparseL20bsrxmvn_17_32_kernelILj20EdlifddEEvT2_20rocsparse_direction_NS_24const_host_device_scalarIT0_EES1_PKS1_PKT1_SA_S7_PKT3_PKT4_S5_PT5_21rocsparse_index_base_b,"axG",@progbits,_ZN9rocsparseL20bsrxmvn_17_32_kernelILj20EdlifddEEvT2_20rocsparse_direction_NS_24const_host_device_scalarIT0_EES1_PKS1_PKT1_SA_S7_PKT3_PKT4_S5_PT5_21rocsparse_index_base_b,comdat
	.globl	_ZN9rocsparseL20bsrxmvn_17_32_kernelILj20EdlifddEEvT2_20rocsparse_direction_NS_24const_host_device_scalarIT0_EES1_PKS1_PKT1_SA_S7_PKT3_PKT4_S5_PT5_21rocsparse_index_base_b ; -- Begin function _ZN9rocsparseL20bsrxmvn_17_32_kernelILj20EdlifddEEvT2_20rocsparse_direction_NS_24const_host_device_scalarIT0_EES1_PKS1_PKT1_SA_S7_PKT3_PKT4_S5_PT5_21rocsparse_index_base_b
	.p2align	8
	.type	_ZN9rocsparseL20bsrxmvn_17_32_kernelILj20EdlifddEEvT2_20rocsparse_direction_NS_24const_host_device_scalarIT0_EES1_PKS1_PKT1_SA_S7_PKT3_PKT4_S5_PT5_21rocsparse_index_base_b,@function
_ZN9rocsparseL20bsrxmvn_17_32_kernelILj20EdlifddEEvT2_20rocsparse_direction_NS_24const_host_device_scalarIT0_EES1_PKS1_PKT1_SA_S7_PKT3_PKT4_S5_PT5_21rocsparse_index_base_b: ; @_ZN9rocsparseL20bsrxmvn_17_32_kernelILj20EdlifddEEvT2_20rocsparse_direction_NS_24const_host_device_scalarIT0_EES1_PKS1_PKT1_SA_S7_PKT3_PKT4_S5_PT5_21rocsparse_index_base_b
; %bb.0:
	s_load_dwordx2 s[14:15], s[4:5], 0x58
	s_load_dwordx2 s[8:9], s[4:5], 0x8
	;; [unrolled: 1-line block ×3, first 2 shown]
	s_waitcnt lgkmcnt(0)
	s_bitcmp1_b32 s15, 0
	s_cselect_b64 s[10:11], -1, 0
	v_mov_b32_e32 v3, s8
	s_xor_b64 s[2:3], s[10:11], -1
	s_and_b64 vcc, exec, s[10:11]
	v_mov_b32_e32 v4, s9
	s_cbranch_vccnz .LBB499_2
; %bb.1:
	v_mov_b32_e32 v1, s8
	v_mov_b32_e32 v2, s9
	flat_load_dwordx2 v[3:4], v[1:2]
.LBB499_2:
	v_mov_b32_e32 v2, s1
	s_andn2_b64 vcc, exec, s[2:3]
	v_mov_b32_e32 v1, s0
	s_cbranch_vccnz .LBB499_4
; %bb.3:
	v_mov_b32_e32 v2, s1
	v_mov_b32_e32 v1, s0
	flat_load_dwordx2 v[1:2], v[1:2]
.LBB499_4:
	s_waitcnt vmcnt(0) lgkmcnt(0)
	v_cmp_neq_f64_e32 vcc, 0, v[3:4]
	v_cmp_neq_f64_e64 s[0:1], 1.0, v[1:2]
	s_or_b64 s[0:1], vcc, s[0:1]
	s_and_saveexec_b64 s[2:3], s[0:1]
	s_cbranch_execz .LBB499_41
; %bb.5:
	s_load_dwordx4 s[0:3], s[4:5], 0x18
	s_load_dwordx2 s[8:9], s[4:5], 0x28
	s_waitcnt lgkmcnt(0)
	s_cmp_eq_u64 s[0:1], 0
	s_cbranch_scc1 .LBB499_7
; %bb.6:
	s_ashr_i32 s7, s6, 31
	s_lshl_b64 s[6:7], s[6:7], 2
	s_add_u32 s0, s0, s6
	s_addc_u32 s1, s1, s7
	s_load_dword s0, s[0:1], 0x0
	s_waitcnt lgkmcnt(0)
	s_sub_i32 s6, s0, s14
.LBB499_7:
	s_load_dword s7, s[4:5], 0x4
	s_load_dwordx2 s[12:13], s[4:5], 0x50
	v_mul_u32_u24_e32 v7, 0xccd, v0
	v_mov_b32_e32 v8, 20
	v_mul_lo_u16_sdwa v5, v7, v8 dst_sel:DWORD dst_unused:UNUSED_PAD src0_sel:WORD_1 src1_sel:DWORD
	s_waitcnt lgkmcnt(0)
	s_cmp_eq_u32 s7, 1
	s_cselect_b64 s[0:1], -1, 0
	s_cmp_lg_u32 s7, 1
	s_cselect_b64 s[16:17], -1, 0
	s_ashr_i32 s7, s6, 31
	s_lshl_b64 s[10:11], s[6:7], 3
	s_add_u32 s2, s2, s10
	s_addc_u32 s3, s3, s11
	s_add_u32 s7, s2, 8
	s_addc_u32 s15, s3, 0
	;; [unrolled: 2-line block ×3, first 2 shown]
	s_cmp_eq_u64 s[8:9], 0
	s_cselect_b32 s9, s15, s11
	s_cselect_b32 s8, s7, s10
	s_load_dwordx2 s[18:19], s[8:9], 0x0
	s_load_dwordx2 s[20:21], s[2:3], 0x0
	v_sub_u16_e32 v14, v0, v5
	s_waitcnt lgkmcnt(0)
	v_mov_b32_e32 v5, s18
	v_mov_b32_e32 v6, s19
	v_cmp_ge_i64_e32 vcc, s[20:21], v[5:6]
	v_mov_b32_e32 v5, 0
	v_mov_b32_e32 v6, 0
	s_cbranch_vccnz .LBB499_12
; %bb.8:
	v_mov_b32_e32 v5, 13
	s_load_dwordx4 s[8:11], s[4:5], 0x30
	s_load_dwordx2 s[2:3], s[4:5], 0x40
	s_sub_u32 s4, s18, s14
	v_mul_lo_u16_sdwa v5, v7, v5 dst_sel:DWORD dst_unused:UNUSED_PAD src0_sel:WORD_1 src1_sel:DWORD
	s_subb_u32 s5, s19, 0
	v_mul_lo_u16_sdwa v5, v5, v8 dst_sel:DWORD dst_unused:UNUSED_PAD src0_sel:BYTE_1 src1_sel:DWORD
	v_sub_u16_sdwa v5, v7, v5 dst_sel:DWORD dst_unused:UNUSED_PAD src0_sel:WORD_1 src1_sel:DWORD
	s_sub_u32 s18, s20, s14
	v_and_b32_e32 v5, 0xff, v5
	s_subb_u32 s19, s21, 0
	v_cndmask_b32_e64 v7, v14, v5, s[0:1]
	s_mul_i32 s0, s19, 0x640
	s_mul_hi_u32 s1, s18, 0x640
	s_add_i32 s1, s1, s0
	s_mul_i32 s0, s18, 0x640
	s_waitcnt lgkmcnt(0)
	s_add_u32 s0, s10, s0
	v_lshlrev_b32_e32 v5, 2, v0
	s_addc_u32 s1, s11, s1
	v_add_co_u32_e32 v8, vcc, s0, v5
	s_movk_i32 s0, 0xa4
	v_mov_b32_e32 v6, s1
	v_mul_u32_u24_sdwa v5, v0, s0 dst_sel:DWORD dst_unused:UNUSED_PAD src0_sel:WORD_0 src1_sel:DWORD
	v_addc_co_u32_e32 v9, vcc, 0, v6, vcc
	v_lshrrev_b32_e32 v15, 16, v5
	v_mov_b32_e32 v5, s21
	v_add_co_u32_e32 v6, vcc, s20, v15
	v_addc_co_u32_e32 v10, vcc, 0, v5, vcc
	v_subrev_co_u32_e32 v5, vcc, s14, v6
	v_subbrev_co_u32_e32 v6, vcc, 0, v10, vcc
	v_lshlrev_b64 v[5:6], 2, v[5:6]
	v_mov_b32_e32 v11, s9
	v_add_co_u32_e32 v10, vcc, s8, v5
	v_addc_co_u32_e32 v11, vcc, v11, v6, vcc
	v_mov_b32_e32 v5, 0
	v_mov_b32_e32 v13, s5
	;; [unrolled: 1-line block ×4, first 2 shown]
	s_branch .LBB499_10
.LBB499_9:                              ;   in Loop: Header=BB499_10 Depth=1
	s_or_b64 exec, exec, s[0:1]
	s_add_u32 s18, s18, 1
	s_addc_u32 s19, s19, 0
	v_cmp_lt_i64_e32 vcc, s[18:19], v[12:13]
	v_add_co_u32_e64 v10, s[0:1], 4, v10
	v_addc_co_u32_e64 v11, s[0:1], 0, v11, s[0:1]
	s_cbranch_vccz .LBB499_12
.LBB499_10:                             ; =>This Inner Loop Header: Depth=1
	v_mov_b32_e32 v17, s19
	v_add_co_u32_e32 v16, vcc, s18, v15
	v_addc_co_u32_e32 v17, vcc, 0, v17, vcc
	v_cmp_gt_i64_e32 vcc, s[4:5], v[16:17]
	s_and_saveexec_b64 s[0:1], vcc
	s_cbranch_execz .LBB499_9
; %bb.11:                               ;   in Loop: Header=BB499_10 Depth=1
	global_load_dword v16, v[10:11], off
	global_load_dword v18, v[8:9], off
	v_mov_b32_e32 v19, s3
	s_waitcnt vmcnt(1)
	v_subrev_u32_e32 v16, s14, v16
	v_mad_u64_u32 v[16:17], s[8:9], v16, 20, v[7:8]
	v_ashrrev_i32_e32 v17, 31, v16
	v_lshlrev_b64 v[16:17], 3, v[16:17]
	v_add_co_u32_e32 v16, vcc, s2, v16
	v_addc_co_u32_e32 v17, vcc, v19, v17, vcc
	global_load_dwordx2 v[16:17], v[16:17], off
	s_waitcnt vmcnt(1)
	v_cvt_f64_f32_e32 v[18:19], v18
	v_add_co_u32_e32 v8, vcc, 0x640, v8
	v_addc_co_u32_e32 v9, vcc, 0, v9, vcc
	s_waitcnt vmcnt(0)
	v_fma_f64 v[5:6], v[18:19], v[16:17], v[5:6]
	s_branch .LBB499_9
.LBB499_12:
	v_lshlrev_b32_e32 v9, 3, v0
	s_and_b64 vcc, exec, s[16:17]
	ds_write_b64 v9, v[5:6]
	s_waitcnt lgkmcnt(0)
	s_barrier
	s_cbranch_vccz .LBB499_24
; %bb.13:
	v_cmp_gt_u16_e32 vcc, 4, v14
	s_and_saveexec_b64 s[0:1], vcc
	s_cbranch_execz .LBB499_15
; %bb.14:
	ds_read2_b64 v[10:13], v9 offset1:16
	s_waitcnt lgkmcnt(0)
	v_add_f64 v[7:8], v[12:13], v[10:11]
	ds_write_b64 v9, v[7:8]
.LBB499_15:
	s_or_b64 exec, exec, s[0:1]
	v_cmp_gt_u16_e64 s[0:1], 8, v14
	s_waitcnt lgkmcnt(0)
	s_barrier
	s_and_saveexec_b64 s[2:3], s[0:1]
	s_cbranch_execz .LBB499_17
; %bb.16:
	ds_read2_b64 v[10:13], v9 offset1:8
	s_waitcnt lgkmcnt(0)
	v_add_f64 v[7:8], v[12:13], v[10:11]
	ds_write_b64 v9, v[7:8]
.LBB499_17:
	s_or_b64 exec, exec, s[2:3]
	s_waitcnt lgkmcnt(0)
	s_barrier
	s_and_saveexec_b64 s[0:1], vcc
	s_cbranch_execz .LBB499_19
; %bb.18:
	ds_read2_b64 v[10:13], v9 offset1:4
	s_waitcnt lgkmcnt(0)
	v_add_f64 v[7:8], v[12:13], v[10:11]
	ds_write_b64 v9, v[7:8]
.LBB499_19:
	s_or_b64 exec, exec, s[0:1]
	v_cmp_gt_u16_e32 vcc, 2, v14
	s_waitcnt lgkmcnt(0)
	s_barrier
	s_and_saveexec_b64 s[0:1], vcc
	s_cbranch_execz .LBB499_21
; %bb.20:
	ds_read2_b64 v[10:13], v9 offset1:2
	s_waitcnt lgkmcnt(0)
	v_add_f64 v[7:8], v[12:13], v[10:11]
	ds_write_b64 v9, v[7:8]
.LBB499_21:
	s_or_b64 exec, exec, s[0:1]
	v_mov_b32_e32 v8, v6
	v_cmp_gt_u32_e32 vcc, 20, v0
	v_mov_b32_e32 v7, v5
	s_waitcnt lgkmcnt(0)
	s_barrier
	s_and_saveexec_b64 s[0:1], vcc
	s_cbranch_execz .LBB499_23
; %bb.22:
	s_movk_i32 s2, 0x98
	v_mad_u32_u24 v7, v0, s2, v9
	ds_read_b128 v[10:13], v7
	s_waitcnt lgkmcnt(0)
	v_add_f64 v[7:8], v[10:11], v[12:13]
.LBB499_23:
	s_or_b64 exec, exec, s[0:1]
	s_branch .LBB499_36
.LBB499_24:
                                        ; implicit-def: $vgpr7_vgpr8
	s_cbranch_execz .LBB499_36
; %bb.25:
	s_movk_i32 s0, 0x50
	v_cmp_gt_u32_e32 vcc, s0, v0
	s_and_saveexec_b64 s[0:1], vcc
	s_cbranch_execz .LBB499_27
; %bb.26:
	ds_read2st64_b64 v[10:13], v9 offset1:5
	s_waitcnt lgkmcnt(0)
	v_add_f64 v[7:8], v[12:13], v[10:11]
	ds_write_b64 v9, v[7:8]
.LBB499_27:
	s_or_b64 exec, exec, s[0:1]
	s_movk_i32 s0, 0xa0
	v_cmp_gt_u32_e64 s[0:1], s0, v0
	s_waitcnt lgkmcnt(0)
	s_barrier
	s_and_saveexec_b64 s[2:3], s[0:1]
	s_cbranch_execz .LBB499_29
; %bb.28:
	ds_read2_b64 v[10:13], v9 offset1:160
	s_waitcnt lgkmcnt(0)
	v_add_f64 v[7:8], v[12:13], v[10:11]
	ds_write_b64 v9, v[7:8]
.LBB499_29:
	s_or_b64 exec, exec, s[2:3]
	s_waitcnt lgkmcnt(0)
	s_barrier
	s_and_saveexec_b64 s[0:1], vcc
	s_cbranch_execz .LBB499_31
; %bb.30:
	ds_read2_b64 v[10:13], v9 offset1:80
	s_waitcnt lgkmcnt(0)
	v_add_f64 v[7:8], v[12:13], v[10:11]
	ds_write_b64 v9, v[7:8]
.LBB499_31:
	s_or_b64 exec, exec, s[0:1]
	v_cmp_gt_u32_e32 vcc, 40, v0
	s_waitcnt lgkmcnt(0)
	s_barrier
	s_and_saveexec_b64 s[0:1], vcc
	s_cbranch_execz .LBB499_33
; %bb.32:
	ds_read2_b64 v[10:13], v9 offset1:40
	s_waitcnt lgkmcnt(0)
	v_add_f64 v[7:8], v[12:13], v[10:11]
	ds_write_b64 v9, v[7:8]
.LBB499_33:
	s_or_b64 exec, exec, s[0:1]
	v_cmp_gt_u32_e32 vcc, 20, v0
	s_waitcnt lgkmcnt(0)
	s_and_saveexec_b64 s[0:1], vcc
	s_cbranch_execz .LBB499_35
; %bb.34:
	ds_read2_b64 v[5:8], v9 offset1:20
	s_waitcnt lgkmcnt(0)
	v_add_f64 v[5:6], v[5:6], v[7:8]
.LBB499_35:
	s_or_b64 exec, exec, s[0:1]
	v_mov_b32_e32 v8, v6
	v_mov_b32_e32 v7, v5
.LBB499_36:
	v_cmp_gt_u32_e32 vcc, 20, v0
	s_and_b64 exec, exec, vcc
	s_cbranch_execz .LBB499_41
; %bb.37:
	v_cmp_eq_f64_e32 vcc, 0, v[1:2]
	v_mul_f64 v[3:4], v[3:4], v[7:8]
	s_and_saveexec_b64 s[0:1], vcc
	s_xor_b64 s[0:1], exec, s[0:1]
	s_cbranch_execz .LBB499_39
; %bb.38:
	v_mad_u64_u32 v[0:1], s[2:3], s6, 20, v[0:1]
	v_mov_b32_e32 v1, 0
	v_mov_b32_e32 v2, s13
	v_lshlrev_b64 v[0:1], 3, v[0:1]
	v_add_co_u32_e32 v0, vcc, s12, v0
	v_addc_co_u32_e32 v1, vcc, v2, v1, vcc
	global_store_dwordx2 v[0:1], v[3:4], off
                                        ; implicit-def: $vgpr0
                                        ; implicit-def: $vgpr1_vgpr2
                                        ; implicit-def: $vgpr3_vgpr4
.LBB499_39:
	s_andn2_saveexec_b64 s[0:1], s[0:1]
	s_cbranch_execz .LBB499_41
; %bb.40:
	v_mad_u64_u32 v[5:6], s[0:1], s6, 20, v[0:1]
	v_mov_b32_e32 v6, 0
	v_mov_b32_e32 v0, s13
	v_lshlrev_b64 v[5:6], 3, v[5:6]
	v_add_co_u32_e32 v5, vcc, s12, v5
	v_addc_co_u32_e32 v6, vcc, v0, v6, vcc
	global_load_dwordx2 v[7:8], v[5:6], off
	s_waitcnt vmcnt(0)
	v_fma_f64 v[0:1], v[1:2], v[7:8], v[3:4]
	global_store_dwordx2 v[5:6], v[0:1], off
.LBB499_41:
	s_endpgm
	.section	.rodata,"a",@progbits
	.p2align	6, 0x0
	.amdhsa_kernel _ZN9rocsparseL20bsrxmvn_17_32_kernelILj20EdlifddEEvT2_20rocsparse_direction_NS_24const_host_device_scalarIT0_EES1_PKS1_PKT1_SA_S7_PKT3_PKT4_S5_PT5_21rocsparse_index_base_b
		.amdhsa_group_segment_fixed_size 3200
		.amdhsa_private_segment_fixed_size 0
		.amdhsa_kernarg_size 96
		.amdhsa_user_sgpr_count 6
		.amdhsa_user_sgpr_private_segment_buffer 1
		.amdhsa_user_sgpr_dispatch_ptr 0
		.amdhsa_user_sgpr_queue_ptr 0
		.amdhsa_user_sgpr_kernarg_segment_ptr 1
		.amdhsa_user_sgpr_dispatch_id 0
		.amdhsa_user_sgpr_flat_scratch_init 0
		.amdhsa_user_sgpr_private_segment_size 0
		.amdhsa_uses_dynamic_stack 0
		.amdhsa_system_sgpr_private_segment_wavefront_offset 0
		.amdhsa_system_sgpr_workgroup_id_x 1
		.amdhsa_system_sgpr_workgroup_id_y 0
		.amdhsa_system_sgpr_workgroup_id_z 0
		.amdhsa_system_sgpr_workgroup_info 0
		.amdhsa_system_vgpr_workitem_id 0
		.amdhsa_next_free_vgpr 25
		.amdhsa_next_free_sgpr 61
		.amdhsa_reserve_vcc 1
		.amdhsa_reserve_flat_scratch 0
		.amdhsa_float_round_mode_32 0
		.amdhsa_float_round_mode_16_64 0
		.amdhsa_float_denorm_mode_32 3
		.amdhsa_float_denorm_mode_16_64 3
		.amdhsa_dx10_clamp 1
		.amdhsa_ieee_mode 1
		.amdhsa_fp16_overflow 0
		.amdhsa_exception_fp_ieee_invalid_op 0
		.amdhsa_exception_fp_denorm_src 0
		.amdhsa_exception_fp_ieee_div_zero 0
		.amdhsa_exception_fp_ieee_overflow 0
		.amdhsa_exception_fp_ieee_underflow 0
		.amdhsa_exception_fp_ieee_inexact 0
		.amdhsa_exception_int_div_zero 0
	.end_amdhsa_kernel
	.section	.text._ZN9rocsparseL20bsrxmvn_17_32_kernelILj20EdlifddEEvT2_20rocsparse_direction_NS_24const_host_device_scalarIT0_EES1_PKS1_PKT1_SA_S7_PKT3_PKT4_S5_PT5_21rocsparse_index_base_b,"axG",@progbits,_ZN9rocsparseL20bsrxmvn_17_32_kernelILj20EdlifddEEvT2_20rocsparse_direction_NS_24const_host_device_scalarIT0_EES1_PKS1_PKT1_SA_S7_PKT3_PKT4_S5_PT5_21rocsparse_index_base_b,comdat
.Lfunc_end499:
	.size	_ZN9rocsparseL20bsrxmvn_17_32_kernelILj20EdlifddEEvT2_20rocsparse_direction_NS_24const_host_device_scalarIT0_EES1_PKS1_PKT1_SA_S7_PKT3_PKT4_S5_PT5_21rocsparse_index_base_b, .Lfunc_end499-_ZN9rocsparseL20bsrxmvn_17_32_kernelILj20EdlifddEEvT2_20rocsparse_direction_NS_24const_host_device_scalarIT0_EES1_PKS1_PKT1_SA_S7_PKT3_PKT4_S5_PT5_21rocsparse_index_base_b
                                        ; -- End function
	.set _ZN9rocsparseL20bsrxmvn_17_32_kernelILj20EdlifddEEvT2_20rocsparse_direction_NS_24const_host_device_scalarIT0_EES1_PKS1_PKT1_SA_S7_PKT3_PKT4_S5_PT5_21rocsparse_index_base_b.num_vgpr, 20
	.set _ZN9rocsparseL20bsrxmvn_17_32_kernelILj20EdlifddEEvT2_20rocsparse_direction_NS_24const_host_device_scalarIT0_EES1_PKS1_PKT1_SA_S7_PKT3_PKT4_S5_PT5_21rocsparse_index_base_b.num_agpr, 0
	.set _ZN9rocsparseL20bsrxmvn_17_32_kernelILj20EdlifddEEvT2_20rocsparse_direction_NS_24const_host_device_scalarIT0_EES1_PKS1_PKT1_SA_S7_PKT3_PKT4_S5_PT5_21rocsparse_index_base_b.numbered_sgpr, 22
	.set _ZN9rocsparseL20bsrxmvn_17_32_kernelILj20EdlifddEEvT2_20rocsparse_direction_NS_24const_host_device_scalarIT0_EES1_PKS1_PKT1_SA_S7_PKT3_PKT4_S5_PT5_21rocsparse_index_base_b.num_named_barrier, 0
	.set _ZN9rocsparseL20bsrxmvn_17_32_kernelILj20EdlifddEEvT2_20rocsparse_direction_NS_24const_host_device_scalarIT0_EES1_PKS1_PKT1_SA_S7_PKT3_PKT4_S5_PT5_21rocsparse_index_base_b.private_seg_size, 0
	.set _ZN9rocsparseL20bsrxmvn_17_32_kernelILj20EdlifddEEvT2_20rocsparse_direction_NS_24const_host_device_scalarIT0_EES1_PKS1_PKT1_SA_S7_PKT3_PKT4_S5_PT5_21rocsparse_index_base_b.uses_vcc, 1
	.set _ZN9rocsparseL20bsrxmvn_17_32_kernelILj20EdlifddEEvT2_20rocsparse_direction_NS_24const_host_device_scalarIT0_EES1_PKS1_PKT1_SA_S7_PKT3_PKT4_S5_PT5_21rocsparse_index_base_b.uses_flat_scratch, 0
	.set _ZN9rocsparseL20bsrxmvn_17_32_kernelILj20EdlifddEEvT2_20rocsparse_direction_NS_24const_host_device_scalarIT0_EES1_PKS1_PKT1_SA_S7_PKT3_PKT4_S5_PT5_21rocsparse_index_base_b.has_dyn_sized_stack, 0
	.set _ZN9rocsparseL20bsrxmvn_17_32_kernelILj20EdlifddEEvT2_20rocsparse_direction_NS_24const_host_device_scalarIT0_EES1_PKS1_PKT1_SA_S7_PKT3_PKT4_S5_PT5_21rocsparse_index_base_b.has_recursion, 0
	.set _ZN9rocsparseL20bsrxmvn_17_32_kernelILj20EdlifddEEvT2_20rocsparse_direction_NS_24const_host_device_scalarIT0_EES1_PKS1_PKT1_SA_S7_PKT3_PKT4_S5_PT5_21rocsparse_index_base_b.has_indirect_call, 0
	.section	.AMDGPU.csdata,"",@progbits
; Kernel info:
; codeLenInByte = 1412
; TotalNumSgprs: 26
; NumVgprs: 20
; ScratchSize: 0
; MemoryBound: 0
; FloatMode: 240
; IeeeMode: 1
; LDSByteSize: 3200 bytes/workgroup (compile time only)
; SGPRBlocks: 8
; VGPRBlocks: 6
; NumSGPRsForWavesPerEU: 65
; NumVGPRsForWavesPerEU: 25
; Occupancy: 9
; WaveLimiterHint : 1
; COMPUTE_PGM_RSRC2:SCRATCH_EN: 0
; COMPUTE_PGM_RSRC2:USER_SGPR: 6
; COMPUTE_PGM_RSRC2:TRAP_HANDLER: 0
; COMPUTE_PGM_RSRC2:TGID_X_EN: 1
; COMPUTE_PGM_RSRC2:TGID_Y_EN: 0
; COMPUTE_PGM_RSRC2:TGID_Z_EN: 0
; COMPUTE_PGM_RSRC2:TIDIG_COMP_CNT: 0
	.section	.text._ZN9rocsparseL20bsrxmvn_17_32_kernelILj21EdlifddEEvT2_20rocsparse_direction_NS_24const_host_device_scalarIT0_EES1_PKS1_PKT1_SA_S7_PKT3_PKT4_S5_PT5_21rocsparse_index_base_b,"axG",@progbits,_ZN9rocsparseL20bsrxmvn_17_32_kernelILj21EdlifddEEvT2_20rocsparse_direction_NS_24const_host_device_scalarIT0_EES1_PKS1_PKT1_SA_S7_PKT3_PKT4_S5_PT5_21rocsparse_index_base_b,comdat
	.globl	_ZN9rocsparseL20bsrxmvn_17_32_kernelILj21EdlifddEEvT2_20rocsparse_direction_NS_24const_host_device_scalarIT0_EES1_PKS1_PKT1_SA_S7_PKT3_PKT4_S5_PT5_21rocsparse_index_base_b ; -- Begin function _ZN9rocsparseL20bsrxmvn_17_32_kernelILj21EdlifddEEvT2_20rocsparse_direction_NS_24const_host_device_scalarIT0_EES1_PKS1_PKT1_SA_S7_PKT3_PKT4_S5_PT5_21rocsparse_index_base_b
	.p2align	8
	.type	_ZN9rocsparseL20bsrxmvn_17_32_kernelILj21EdlifddEEvT2_20rocsparse_direction_NS_24const_host_device_scalarIT0_EES1_PKS1_PKT1_SA_S7_PKT3_PKT4_S5_PT5_21rocsparse_index_base_b,@function
_ZN9rocsparseL20bsrxmvn_17_32_kernelILj21EdlifddEEvT2_20rocsparse_direction_NS_24const_host_device_scalarIT0_EES1_PKS1_PKT1_SA_S7_PKT3_PKT4_S5_PT5_21rocsparse_index_base_b: ; @_ZN9rocsparseL20bsrxmvn_17_32_kernelILj21EdlifddEEvT2_20rocsparse_direction_NS_24const_host_device_scalarIT0_EES1_PKS1_PKT1_SA_S7_PKT3_PKT4_S5_PT5_21rocsparse_index_base_b
; %bb.0:
	s_load_dwordx2 s[14:15], s[4:5], 0x58
	s_load_dwordx2 s[8:9], s[4:5], 0x8
	;; [unrolled: 1-line block ×3, first 2 shown]
	s_waitcnt lgkmcnt(0)
	s_bitcmp1_b32 s15, 0
	s_cselect_b64 s[10:11], -1, 0
	v_mov_b32_e32 v3, s8
	s_xor_b64 s[2:3], s[10:11], -1
	s_and_b64 vcc, exec, s[10:11]
	v_mov_b32_e32 v4, s9
	s_cbranch_vccnz .LBB500_2
; %bb.1:
	v_mov_b32_e32 v1, s8
	v_mov_b32_e32 v2, s9
	flat_load_dwordx2 v[3:4], v[1:2]
.LBB500_2:
	v_mov_b32_e32 v2, s1
	s_andn2_b64 vcc, exec, s[2:3]
	v_mov_b32_e32 v1, s0
	s_cbranch_vccnz .LBB500_4
; %bb.3:
	v_mov_b32_e32 v2, s1
	v_mov_b32_e32 v1, s0
	flat_load_dwordx2 v[1:2], v[1:2]
.LBB500_4:
	s_waitcnt vmcnt(0) lgkmcnt(0)
	v_cmp_neq_f64_e32 vcc, 0, v[3:4]
	v_cmp_neq_f64_e64 s[0:1], 1.0, v[1:2]
	s_or_b64 s[0:1], vcc, s[0:1]
	s_and_saveexec_b64 s[2:3], s[0:1]
	s_cbranch_execz .LBB500_41
; %bb.5:
	s_load_dwordx4 s[0:3], s[4:5], 0x18
	s_load_dwordx2 s[8:9], s[4:5], 0x28
	s_waitcnt lgkmcnt(0)
	s_cmp_eq_u64 s[0:1], 0
	s_cbranch_scc1 .LBB500_7
; %bb.6:
	s_ashr_i32 s7, s6, 31
	s_lshl_b64 s[6:7], s[6:7], 2
	s_add_u32 s0, s0, s6
	s_addc_u32 s1, s1, s7
	s_load_dword s0, s[0:1], 0x0
	s_waitcnt lgkmcnt(0)
	s_sub_i32 s6, s0, s14
.LBB500_7:
	s_load_dword s7, s[4:5], 0x4
	s_load_dwordx2 s[12:13], s[4:5], 0x50
	v_mul_u32_u24_e32 v7, 0xc31, v0
	v_mov_b32_e32 v5, 21
	v_mul_lo_u16_sdwa v5, v7, v5 dst_sel:DWORD dst_unused:UNUSED_PAD src0_sel:WORD_1 src1_sel:DWORD
	s_waitcnt lgkmcnt(0)
	s_cmp_eq_u32 s7, 1
	s_cselect_b64 s[0:1], -1, 0
	s_cmp_lg_u32 s7, 1
	s_cselect_b64 s[16:17], -1, 0
	s_ashr_i32 s7, s6, 31
	s_lshl_b64 s[10:11], s[6:7], 3
	s_add_u32 s2, s2, s10
	s_addc_u32 s3, s3, s11
	s_add_u32 s7, s2, 8
	s_addc_u32 s15, s3, 0
	s_add_u32 s10, s8, s10
	s_addc_u32 s11, s9, s11
	s_cmp_eq_u64 s[8:9], 0
	s_cselect_b32 s9, s15, s11
	s_cselect_b32 s8, s7, s10
	s_load_dwordx2 s[18:19], s[8:9], 0x0
	s_load_dwordx2 s[20:21], s[2:3], 0x0
	v_sub_u16_e32 v14, v0, v5
	s_waitcnt lgkmcnt(0)
	v_mov_b32_e32 v5, s18
	v_mov_b32_e32 v6, s19
	v_cmp_ge_i64_e32 vcc, s[20:21], v[5:6]
	v_mov_b32_e32 v5, 0
	v_mov_b32_e32 v6, 0
	s_cbranch_vccnz .LBB500_12
; %bb.8:
	v_mov_b32_e32 v5, 25
	v_mul_lo_u16_sdwa v5, v7, v5 dst_sel:DWORD dst_unused:UNUSED_PAD src0_sel:WORD_1 src1_sel:DWORD
	s_load_dwordx4 s[8:11], s[4:5], 0x30
	s_load_dwordx2 s[2:3], s[4:5], 0x40
	s_sub_u32 s4, s18, s14
	v_lshrrev_b16_e32 v5, 9, v5
	s_subb_u32 s5, s19, 0
	v_mul_lo_u16_e32 v5, 21, v5
	v_sub_u16_sdwa v5, v7, v5 dst_sel:DWORD dst_unused:UNUSED_PAD src0_sel:WORD_1 src1_sel:DWORD
	s_sub_u32 s18, s20, s14
	v_and_b32_e32 v5, 0xff, v5
	s_subb_u32 s19, s21, 0
	v_cndmask_b32_e64 v7, v14, v5, s[0:1]
	s_mul_i32 s0, s19, 0x6e4
	s_mul_hi_u32 s1, s18, 0x6e4
	s_add_i32 s1, s1, s0
	s_mul_i32 s0, s18, 0x6e4
	s_waitcnt lgkmcnt(0)
	s_add_u32 s0, s10, s0
	v_lshlrev_b32_e32 v5, 2, v0
	s_addc_u32 s1, s11, s1
	v_add_co_u32_e32 v8, vcc, s0, v5
	s_movk_i32 s0, 0x253
	v_mov_b32_e32 v6, s1
	v_mul_u32_u24_sdwa v5, v0, s0 dst_sel:DWORD dst_unused:UNUSED_PAD src0_sel:WORD_0 src1_sel:DWORD
	v_addc_co_u32_e32 v9, vcc, 0, v6, vcc
	v_lshrrev_b32_e32 v15, 18, v5
	v_mov_b32_e32 v5, s21
	v_add_co_u32_e32 v6, vcc, s20, v15
	v_addc_co_u32_e32 v10, vcc, 0, v5, vcc
	v_subrev_co_u32_e32 v5, vcc, s14, v6
	v_subbrev_co_u32_e32 v6, vcc, 0, v10, vcc
	v_lshlrev_b64 v[5:6], 2, v[5:6]
	v_mov_b32_e32 v11, s9
	v_add_co_u32_e32 v10, vcc, s8, v5
	v_addc_co_u32_e32 v11, vcc, v11, v6, vcc
	v_mov_b32_e32 v5, 0
	v_mov_b32_e32 v13, s5
	v_mov_b32_e32 v6, 0
	v_mov_b32_e32 v12, s4
	s_branch .LBB500_10
.LBB500_9:                              ;   in Loop: Header=BB500_10 Depth=1
	s_or_b64 exec, exec, s[0:1]
	s_add_u32 s18, s18, 1
	s_addc_u32 s19, s19, 0
	v_cmp_lt_i64_e32 vcc, s[18:19], v[12:13]
	v_add_co_u32_e64 v10, s[0:1], 4, v10
	v_addc_co_u32_e64 v11, s[0:1], 0, v11, s[0:1]
	s_cbranch_vccz .LBB500_12
.LBB500_10:                             ; =>This Inner Loop Header: Depth=1
	v_mov_b32_e32 v17, s19
	v_add_co_u32_e32 v16, vcc, s18, v15
	v_addc_co_u32_e32 v17, vcc, 0, v17, vcc
	v_cmp_gt_i64_e32 vcc, s[4:5], v[16:17]
	s_and_saveexec_b64 s[0:1], vcc
	s_cbranch_execz .LBB500_9
; %bb.11:                               ;   in Loop: Header=BB500_10 Depth=1
	global_load_dword v16, v[10:11], off
	global_load_dword v18, v[8:9], off
	v_mov_b32_e32 v19, s3
	s_waitcnt vmcnt(1)
	v_subrev_u32_e32 v16, s14, v16
	v_mad_u64_u32 v[16:17], s[8:9], v16, 21, v[7:8]
	v_ashrrev_i32_e32 v17, 31, v16
	v_lshlrev_b64 v[16:17], 3, v[16:17]
	v_add_co_u32_e32 v16, vcc, s2, v16
	v_addc_co_u32_e32 v17, vcc, v19, v17, vcc
	global_load_dwordx2 v[16:17], v[16:17], off
	s_waitcnt vmcnt(1)
	v_cvt_f64_f32_e32 v[18:19], v18
	v_add_co_u32_e32 v8, vcc, 0x6e4, v8
	v_addc_co_u32_e32 v9, vcc, 0, v9, vcc
	s_waitcnt vmcnt(0)
	v_fma_f64 v[5:6], v[18:19], v[16:17], v[5:6]
	s_branch .LBB500_9
.LBB500_12:
	v_lshlrev_b32_e32 v9, 3, v0
	s_and_b64 vcc, exec, s[16:17]
	ds_write_b64 v9, v[5:6]
	s_waitcnt lgkmcnt(0)
	s_barrier
	s_cbranch_vccz .LBB500_24
; %bb.13:
	v_cmp_gt_u16_e32 vcc, 5, v14
	s_and_saveexec_b64 s[0:1], vcc
	s_cbranch_execz .LBB500_15
; %bb.14:
	ds_read2_b64 v[10:13], v9 offset1:16
	s_waitcnt lgkmcnt(0)
	v_add_f64 v[7:8], v[12:13], v[10:11]
	ds_write_b64 v9, v[7:8]
.LBB500_15:
	s_or_b64 exec, exec, s[0:1]
	v_cmp_gt_u16_e32 vcc, 8, v14
	s_waitcnt lgkmcnt(0)
	s_barrier
	s_and_saveexec_b64 s[0:1], vcc
	s_cbranch_execz .LBB500_17
; %bb.16:
	ds_read2_b64 v[10:13], v9 offset1:8
	s_waitcnt lgkmcnt(0)
	v_add_f64 v[7:8], v[12:13], v[10:11]
	ds_write_b64 v9, v[7:8]
.LBB500_17:
	s_or_b64 exec, exec, s[0:1]
	v_cmp_gt_u16_e32 vcc, 4, v14
	s_waitcnt lgkmcnt(0)
	s_barrier
	;; [unrolled: 12-line block ×3, first 2 shown]
	s_and_saveexec_b64 s[0:1], vcc
	s_cbranch_execz .LBB500_21
; %bb.20:
	ds_read2_b64 v[10:13], v9 offset1:2
	s_waitcnt lgkmcnt(0)
	v_add_f64 v[7:8], v[12:13], v[10:11]
	ds_write_b64 v9, v[7:8]
.LBB500_21:
	s_or_b64 exec, exec, s[0:1]
	v_mov_b32_e32 v8, v6
	v_cmp_gt_u32_e32 vcc, 21, v0
	v_mov_b32_e32 v7, v5
	s_waitcnt lgkmcnt(0)
	s_barrier
	s_and_saveexec_b64 s[0:1], vcc
	s_cbranch_execz .LBB500_23
; %bb.22:
	s_movk_i32 s2, 0xa0
	v_mad_u32_u24 v7, v0, s2, v9
	ds_read2_b64 v[10:13], v7 offset1:1
	s_waitcnt lgkmcnt(0)
	v_add_f64 v[7:8], v[10:11], v[12:13]
.LBB500_23:
	s_or_b64 exec, exec, s[0:1]
	s_branch .LBB500_36
.LBB500_24:
                                        ; implicit-def: $vgpr7_vgpr8
	s_cbranch_execz .LBB500_36
; %bb.25:
	s_movk_i32 s0, 0x69
	v_cmp_gt_u32_e32 vcc, s0, v0
	s_and_saveexec_b64 s[0:1], vcc
	s_cbranch_execz .LBB500_27
; %bb.26:
	ds_read_b64 v[7:8], v9 offset:2688
	ds_read_b64 v[10:11], v9
	s_waitcnt lgkmcnt(0)
	v_add_f64 v[7:8], v[7:8], v[10:11]
	ds_write_b64 v9, v[7:8]
.LBB500_27:
	s_or_b64 exec, exec, s[0:1]
	s_movk_i32 s0, 0xa8
	v_cmp_gt_u32_e32 vcc, s0, v0
	s_waitcnt lgkmcnt(0)
	s_barrier
	s_and_saveexec_b64 s[0:1], vcc
	s_cbranch_execz .LBB500_29
; %bb.28:
	ds_read2_b64 v[10:13], v9 offset1:168
	s_waitcnt lgkmcnt(0)
	v_add_f64 v[7:8], v[12:13], v[10:11]
	ds_write_b64 v9, v[7:8]
.LBB500_29:
	s_or_b64 exec, exec, s[0:1]
	s_movk_i32 s0, 0x54
	v_cmp_gt_u32_e32 vcc, s0, v0
	s_waitcnt lgkmcnt(0)
	s_barrier
	s_and_saveexec_b64 s[0:1], vcc
	s_cbranch_execz .LBB500_31
; %bb.30:
	ds_read2_b64 v[10:13], v9 offset1:84
	s_waitcnt lgkmcnt(0)
	v_add_f64 v[7:8], v[12:13], v[10:11]
	ds_write_b64 v9, v[7:8]
.LBB500_31:
	s_or_b64 exec, exec, s[0:1]
	v_cmp_gt_u32_e32 vcc, 42, v0
	s_waitcnt lgkmcnt(0)
	s_barrier
	s_and_saveexec_b64 s[0:1], vcc
	s_cbranch_execz .LBB500_33
; %bb.32:
	ds_read2_b64 v[10:13], v9 offset1:42
	s_waitcnt lgkmcnt(0)
	v_add_f64 v[7:8], v[12:13], v[10:11]
	ds_write_b64 v9, v[7:8]
.LBB500_33:
	s_or_b64 exec, exec, s[0:1]
	v_cmp_gt_u32_e32 vcc, 21, v0
	s_waitcnt lgkmcnt(0)
	s_and_saveexec_b64 s[0:1], vcc
	s_cbranch_execz .LBB500_35
; %bb.34:
	ds_read2_b64 v[5:8], v9 offset1:21
	s_waitcnt lgkmcnt(0)
	v_add_f64 v[5:6], v[5:6], v[7:8]
.LBB500_35:
	s_or_b64 exec, exec, s[0:1]
	v_mov_b32_e32 v8, v6
	v_mov_b32_e32 v7, v5
.LBB500_36:
	v_cmp_gt_u32_e32 vcc, 21, v0
	s_and_b64 exec, exec, vcc
	s_cbranch_execz .LBB500_41
; %bb.37:
	v_cmp_eq_f64_e32 vcc, 0, v[1:2]
	v_mul_f64 v[3:4], v[3:4], v[7:8]
	s_and_saveexec_b64 s[0:1], vcc
	s_xor_b64 s[0:1], exec, s[0:1]
	s_cbranch_execz .LBB500_39
; %bb.38:
	v_mad_u64_u32 v[0:1], s[2:3], s6, 21, v[0:1]
	v_mov_b32_e32 v1, 0
	v_mov_b32_e32 v2, s13
	v_lshlrev_b64 v[0:1], 3, v[0:1]
	v_add_co_u32_e32 v0, vcc, s12, v0
	v_addc_co_u32_e32 v1, vcc, v2, v1, vcc
	global_store_dwordx2 v[0:1], v[3:4], off
                                        ; implicit-def: $vgpr0
                                        ; implicit-def: $vgpr1_vgpr2
                                        ; implicit-def: $vgpr3_vgpr4
.LBB500_39:
	s_andn2_saveexec_b64 s[0:1], s[0:1]
	s_cbranch_execz .LBB500_41
; %bb.40:
	v_mad_u64_u32 v[5:6], s[0:1], s6, 21, v[0:1]
	v_mov_b32_e32 v6, 0
	v_mov_b32_e32 v0, s13
	v_lshlrev_b64 v[5:6], 3, v[5:6]
	v_add_co_u32_e32 v5, vcc, s12, v5
	v_addc_co_u32_e32 v6, vcc, v0, v6, vcc
	global_load_dwordx2 v[7:8], v[5:6], off
	s_waitcnt vmcnt(0)
	v_fma_f64 v[0:1], v[1:2], v[7:8], v[3:4]
	global_store_dwordx2 v[5:6], v[0:1], off
.LBB500_41:
	s_endpgm
	.section	.rodata,"a",@progbits
	.p2align	6, 0x0
	.amdhsa_kernel _ZN9rocsparseL20bsrxmvn_17_32_kernelILj21EdlifddEEvT2_20rocsparse_direction_NS_24const_host_device_scalarIT0_EES1_PKS1_PKT1_SA_S7_PKT3_PKT4_S5_PT5_21rocsparse_index_base_b
		.amdhsa_group_segment_fixed_size 3528
		.amdhsa_private_segment_fixed_size 0
		.amdhsa_kernarg_size 96
		.amdhsa_user_sgpr_count 6
		.amdhsa_user_sgpr_private_segment_buffer 1
		.amdhsa_user_sgpr_dispatch_ptr 0
		.amdhsa_user_sgpr_queue_ptr 0
		.amdhsa_user_sgpr_kernarg_segment_ptr 1
		.amdhsa_user_sgpr_dispatch_id 0
		.amdhsa_user_sgpr_flat_scratch_init 0
		.amdhsa_user_sgpr_private_segment_size 0
		.amdhsa_uses_dynamic_stack 0
		.amdhsa_system_sgpr_private_segment_wavefront_offset 0
		.amdhsa_system_sgpr_workgroup_id_x 1
		.amdhsa_system_sgpr_workgroup_id_y 0
		.amdhsa_system_sgpr_workgroup_id_z 0
		.amdhsa_system_sgpr_workgroup_info 0
		.amdhsa_system_vgpr_workitem_id 0
		.amdhsa_next_free_vgpr 25
		.amdhsa_next_free_sgpr 61
		.amdhsa_reserve_vcc 1
		.amdhsa_reserve_flat_scratch 0
		.amdhsa_float_round_mode_32 0
		.amdhsa_float_round_mode_16_64 0
		.amdhsa_float_denorm_mode_32 3
		.amdhsa_float_denorm_mode_16_64 3
		.amdhsa_dx10_clamp 1
		.amdhsa_ieee_mode 1
		.amdhsa_fp16_overflow 0
		.amdhsa_exception_fp_ieee_invalid_op 0
		.amdhsa_exception_fp_denorm_src 0
		.amdhsa_exception_fp_ieee_div_zero 0
		.amdhsa_exception_fp_ieee_overflow 0
		.amdhsa_exception_fp_ieee_underflow 0
		.amdhsa_exception_fp_ieee_inexact 0
		.amdhsa_exception_int_div_zero 0
	.end_amdhsa_kernel
	.section	.text._ZN9rocsparseL20bsrxmvn_17_32_kernelILj21EdlifddEEvT2_20rocsparse_direction_NS_24const_host_device_scalarIT0_EES1_PKS1_PKT1_SA_S7_PKT3_PKT4_S5_PT5_21rocsparse_index_base_b,"axG",@progbits,_ZN9rocsparseL20bsrxmvn_17_32_kernelILj21EdlifddEEvT2_20rocsparse_direction_NS_24const_host_device_scalarIT0_EES1_PKS1_PKT1_SA_S7_PKT3_PKT4_S5_PT5_21rocsparse_index_base_b,comdat
.Lfunc_end500:
	.size	_ZN9rocsparseL20bsrxmvn_17_32_kernelILj21EdlifddEEvT2_20rocsparse_direction_NS_24const_host_device_scalarIT0_EES1_PKS1_PKT1_SA_S7_PKT3_PKT4_S5_PT5_21rocsparse_index_base_b, .Lfunc_end500-_ZN9rocsparseL20bsrxmvn_17_32_kernelILj21EdlifddEEvT2_20rocsparse_direction_NS_24const_host_device_scalarIT0_EES1_PKS1_PKT1_SA_S7_PKT3_PKT4_S5_PT5_21rocsparse_index_base_b
                                        ; -- End function
	.set _ZN9rocsparseL20bsrxmvn_17_32_kernelILj21EdlifddEEvT2_20rocsparse_direction_NS_24const_host_device_scalarIT0_EES1_PKS1_PKT1_SA_S7_PKT3_PKT4_S5_PT5_21rocsparse_index_base_b.num_vgpr, 20
	.set _ZN9rocsparseL20bsrxmvn_17_32_kernelILj21EdlifddEEvT2_20rocsparse_direction_NS_24const_host_device_scalarIT0_EES1_PKS1_PKT1_SA_S7_PKT3_PKT4_S5_PT5_21rocsparse_index_base_b.num_agpr, 0
	.set _ZN9rocsparseL20bsrxmvn_17_32_kernelILj21EdlifddEEvT2_20rocsparse_direction_NS_24const_host_device_scalarIT0_EES1_PKS1_PKT1_SA_S7_PKT3_PKT4_S5_PT5_21rocsparse_index_base_b.numbered_sgpr, 22
	.set _ZN9rocsparseL20bsrxmvn_17_32_kernelILj21EdlifddEEvT2_20rocsparse_direction_NS_24const_host_device_scalarIT0_EES1_PKS1_PKT1_SA_S7_PKT3_PKT4_S5_PT5_21rocsparse_index_base_b.num_named_barrier, 0
	.set _ZN9rocsparseL20bsrxmvn_17_32_kernelILj21EdlifddEEvT2_20rocsparse_direction_NS_24const_host_device_scalarIT0_EES1_PKS1_PKT1_SA_S7_PKT3_PKT4_S5_PT5_21rocsparse_index_base_b.private_seg_size, 0
	.set _ZN9rocsparseL20bsrxmvn_17_32_kernelILj21EdlifddEEvT2_20rocsparse_direction_NS_24const_host_device_scalarIT0_EES1_PKS1_PKT1_SA_S7_PKT3_PKT4_S5_PT5_21rocsparse_index_base_b.uses_vcc, 1
	.set _ZN9rocsparseL20bsrxmvn_17_32_kernelILj21EdlifddEEvT2_20rocsparse_direction_NS_24const_host_device_scalarIT0_EES1_PKS1_PKT1_SA_S7_PKT3_PKT4_S5_PT5_21rocsparse_index_base_b.uses_flat_scratch, 0
	.set _ZN9rocsparseL20bsrxmvn_17_32_kernelILj21EdlifddEEvT2_20rocsparse_direction_NS_24const_host_device_scalarIT0_EES1_PKS1_PKT1_SA_S7_PKT3_PKT4_S5_PT5_21rocsparse_index_base_b.has_dyn_sized_stack, 0
	.set _ZN9rocsparseL20bsrxmvn_17_32_kernelILj21EdlifddEEvT2_20rocsparse_direction_NS_24const_host_device_scalarIT0_EES1_PKS1_PKT1_SA_S7_PKT3_PKT4_S5_PT5_21rocsparse_index_base_b.has_recursion, 0
	.set _ZN9rocsparseL20bsrxmvn_17_32_kernelILj21EdlifddEEvT2_20rocsparse_direction_NS_24const_host_device_scalarIT0_EES1_PKS1_PKT1_SA_S7_PKT3_PKT4_S5_PT5_21rocsparse_index_base_b.has_indirect_call, 0
	.section	.AMDGPU.csdata,"",@progbits
; Kernel info:
; codeLenInByte = 1424
; TotalNumSgprs: 26
; NumVgprs: 20
; ScratchSize: 0
; MemoryBound: 0
; FloatMode: 240
; IeeeMode: 1
; LDSByteSize: 3528 bytes/workgroup (compile time only)
; SGPRBlocks: 8
; VGPRBlocks: 6
; NumSGPRsForWavesPerEU: 65
; NumVGPRsForWavesPerEU: 25
; Occupancy: 9
; WaveLimiterHint : 1
; COMPUTE_PGM_RSRC2:SCRATCH_EN: 0
; COMPUTE_PGM_RSRC2:USER_SGPR: 6
; COMPUTE_PGM_RSRC2:TRAP_HANDLER: 0
; COMPUTE_PGM_RSRC2:TGID_X_EN: 1
; COMPUTE_PGM_RSRC2:TGID_Y_EN: 0
; COMPUTE_PGM_RSRC2:TGID_Z_EN: 0
; COMPUTE_PGM_RSRC2:TIDIG_COMP_CNT: 0
	.section	.text._ZN9rocsparseL20bsrxmvn_17_32_kernelILj22EdlifddEEvT2_20rocsparse_direction_NS_24const_host_device_scalarIT0_EES1_PKS1_PKT1_SA_S7_PKT3_PKT4_S5_PT5_21rocsparse_index_base_b,"axG",@progbits,_ZN9rocsparseL20bsrxmvn_17_32_kernelILj22EdlifddEEvT2_20rocsparse_direction_NS_24const_host_device_scalarIT0_EES1_PKS1_PKT1_SA_S7_PKT3_PKT4_S5_PT5_21rocsparse_index_base_b,comdat
	.globl	_ZN9rocsparseL20bsrxmvn_17_32_kernelILj22EdlifddEEvT2_20rocsparse_direction_NS_24const_host_device_scalarIT0_EES1_PKS1_PKT1_SA_S7_PKT3_PKT4_S5_PT5_21rocsparse_index_base_b ; -- Begin function _ZN9rocsparseL20bsrxmvn_17_32_kernelILj22EdlifddEEvT2_20rocsparse_direction_NS_24const_host_device_scalarIT0_EES1_PKS1_PKT1_SA_S7_PKT3_PKT4_S5_PT5_21rocsparse_index_base_b
	.p2align	8
	.type	_ZN9rocsparseL20bsrxmvn_17_32_kernelILj22EdlifddEEvT2_20rocsparse_direction_NS_24const_host_device_scalarIT0_EES1_PKS1_PKT1_SA_S7_PKT3_PKT4_S5_PT5_21rocsparse_index_base_b,@function
_ZN9rocsparseL20bsrxmvn_17_32_kernelILj22EdlifddEEvT2_20rocsparse_direction_NS_24const_host_device_scalarIT0_EES1_PKS1_PKT1_SA_S7_PKT3_PKT4_S5_PT5_21rocsparse_index_base_b: ; @_ZN9rocsparseL20bsrxmvn_17_32_kernelILj22EdlifddEEvT2_20rocsparse_direction_NS_24const_host_device_scalarIT0_EES1_PKS1_PKT1_SA_S7_PKT3_PKT4_S5_PT5_21rocsparse_index_base_b
; %bb.0:
	s_load_dwordx2 s[14:15], s[4:5], 0x58
	s_load_dwordx2 s[8:9], s[4:5], 0x8
	;; [unrolled: 1-line block ×3, first 2 shown]
	s_waitcnt lgkmcnt(0)
	s_bitcmp1_b32 s15, 0
	s_cselect_b64 s[10:11], -1, 0
	v_mov_b32_e32 v3, s8
	s_xor_b64 s[2:3], s[10:11], -1
	s_and_b64 vcc, exec, s[10:11]
	v_mov_b32_e32 v4, s9
	s_cbranch_vccnz .LBB501_2
; %bb.1:
	v_mov_b32_e32 v1, s8
	v_mov_b32_e32 v2, s9
	flat_load_dwordx2 v[3:4], v[1:2]
.LBB501_2:
	v_mov_b32_e32 v2, s1
	s_andn2_b64 vcc, exec, s[2:3]
	v_mov_b32_e32 v1, s0
	s_cbranch_vccnz .LBB501_4
; %bb.3:
	v_mov_b32_e32 v2, s1
	v_mov_b32_e32 v1, s0
	flat_load_dwordx2 v[1:2], v[1:2]
.LBB501_4:
	s_waitcnt vmcnt(0) lgkmcnt(0)
	v_cmp_neq_f64_e32 vcc, 0, v[3:4]
	v_cmp_neq_f64_e64 s[0:1], 1.0, v[1:2]
	s_or_b64 s[0:1], vcc, s[0:1]
	s_and_saveexec_b64 s[2:3], s[0:1]
	s_cbranch_execz .LBB501_41
; %bb.5:
	s_load_dwordx4 s[0:3], s[4:5], 0x18
	s_load_dwordx2 s[8:9], s[4:5], 0x28
	s_waitcnt lgkmcnt(0)
	s_cmp_eq_u64 s[0:1], 0
	s_cbranch_scc1 .LBB501_7
; %bb.6:
	s_ashr_i32 s7, s6, 31
	s_lshl_b64 s[6:7], s[6:7], 2
	s_add_u32 s0, s0, s6
	s_addc_u32 s1, s1, s7
	s_load_dword s0, s[0:1], 0x0
	s_waitcnt lgkmcnt(0)
	s_sub_i32 s6, s0, s14
.LBB501_7:
	s_load_dword s7, s[4:5], 0x4
	s_load_dwordx2 s[12:13], s[4:5], 0x50
	v_mul_u32_u24_e32 v7, 0xba3, v0
	v_mov_b32_e32 v8, 22
	v_mul_lo_u16_sdwa v5, v7, v8 dst_sel:DWORD dst_unused:UNUSED_PAD src0_sel:WORD_1 src1_sel:DWORD
	s_waitcnt lgkmcnt(0)
	s_cmp_eq_u32 s7, 1
	s_cselect_b64 s[0:1], -1, 0
	s_cmp_lg_u32 s7, 1
	s_cselect_b64 s[16:17], -1, 0
	s_ashr_i32 s7, s6, 31
	s_lshl_b64 s[10:11], s[6:7], 3
	s_add_u32 s2, s2, s10
	s_addc_u32 s3, s3, s11
	s_add_u32 s7, s2, 8
	s_addc_u32 s15, s3, 0
	;; [unrolled: 2-line block ×3, first 2 shown]
	s_cmp_eq_u64 s[8:9], 0
	s_cselect_b32 s9, s15, s11
	s_cselect_b32 s8, s7, s10
	s_load_dwordx2 s[18:19], s[8:9], 0x0
	s_load_dwordx2 s[20:21], s[2:3], 0x0
	v_sub_u16_e32 v14, v0, v5
	s_waitcnt lgkmcnt(0)
	v_mov_b32_e32 v5, s18
	v_mov_b32_e32 v6, s19
	v_cmp_ge_i64_e32 vcc, s[20:21], v[5:6]
	v_mov_b32_e32 v5, 0
	v_mov_b32_e32 v6, 0
	s_cbranch_vccnz .LBB501_12
; %bb.8:
	v_mov_b32_e32 v5, 12
	s_load_dwordx4 s[8:11], s[4:5], 0x30
	s_load_dwordx2 s[2:3], s[4:5], 0x40
	s_sub_u32 s4, s18, s14
	v_mul_lo_u16_sdwa v5, v7, v5 dst_sel:DWORD dst_unused:UNUSED_PAD src0_sel:WORD_1 src1_sel:DWORD
	s_subb_u32 s5, s19, 0
	v_mul_lo_u16_sdwa v5, v5, v8 dst_sel:DWORD dst_unused:UNUSED_PAD src0_sel:BYTE_1 src1_sel:DWORD
	v_sub_u16_sdwa v5, v7, v5 dst_sel:DWORD dst_unused:UNUSED_PAD src0_sel:WORD_1 src1_sel:DWORD
	s_sub_u32 s18, s20, s14
	v_and_b32_e32 v5, 0xff, v5
	s_subb_u32 s19, s21, 0
	v_cndmask_b32_e64 v7, v14, v5, s[0:1]
	s_mul_i32 s0, s19, 0x790
	s_mul_hi_u32 s1, s18, 0x790
	s_add_i32 s1, s1, s0
	s_mul_i32 s0, s18, 0x790
	s_waitcnt lgkmcnt(0)
	s_add_u32 s0, s10, s0
	v_lshlrev_b32_e32 v5, 2, v0
	s_addc_u32 s1, s11, s1
	v_add_co_u32_e32 v8, vcc, s0, v5
	s_movk_i32 s0, 0x10f
	v_mov_b32_e32 v6, s1
	v_mul_u32_u24_sdwa v5, v0, s0 dst_sel:DWORD dst_unused:UNUSED_PAD src0_sel:WORD_0 src1_sel:DWORD
	v_addc_co_u32_e32 v9, vcc, 0, v6, vcc
	v_lshrrev_b32_e32 v15, 17, v5
	v_mov_b32_e32 v5, s21
	v_add_co_u32_e32 v6, vcc, s20, v15
	v_addc_co_u32_e32 v10, vcc, 0, v5, vcc
	v_subrev_co_u32_e32 v5, vcc, s14, v6
	v_subbrev_co_u32_e32 v6, vcc, 0, v10, vcc
	v_lshlrev_b64 v[5:6], 2, v[5:6]
	v_mov_b32_e32 v11, s9
	v_add_co_u32_e32 v10, vcc, s8, v5
	v_addc_co_u32_e32 v11, vcc, v11, v6, vcc
	v_mov_b32_e32 v5, 0
	v_mov_b32_e32 v13, s5
	;; [unrolled: 1-line block ×4, first 2 shown]
	s_branch .LBB501_10
.LBB501_9:                              ;   in Loop: Header=BB501_10 Depth=1
	s_or_b64 exec, exec, s[0:1]
	s_add_u32 s18, s18, 1
	s_addc_u32 s19, s19, 0
	v_cmp_lt_i64_e32 vcc, s[18:19], v[12:13]
	v_add_co_u32_e64 v10, s[0:1], 4, v10
	v_addc_co_u32_e64 v11, s[0:1], 0, v11, s[0:1]
	s_cbranch_vccz .LBB501_12
.LBB501_10:                             ; =>This Inner Loop Header: Depth=1
	v_mov_b32_e32 v17, s19
	v_add_co_u32_e32 v16, vcc, s18, v15
	v_addc_co_u32_e32 v17, vcc, 0, v17, vcc
	v_cmp_gt_i64_e32 vcc, s[4:5], v[16:17]
	s_and_saveexec_b64 s[0:1], vcc
	s_cbranch_execz .LBB501_9
; %bb.11:                               ;   in Loop: Header=BB501_10 Depth=1
	global_load_dword v16, v[10:11], off
	global_load_dword v18, v[8:9], off
	v_mov_b32_e32 v19, s3
	s_waitcnt vmcnt(1)
	v_subrev_u32_e32 v16, s14, v16
	v_mad_u64_u32 v[16:17], s[8:9], v16, 22, v[7:8]
	v_ashrrev_i32_e32 v17, 31, v16
	v_lshlrev_b64 v[16:17], 3, v[16:17]
	v_add_co_u32_e32 v16, vcc, s2, v16
	v_addc_co_u32_e32 v17, vcc, v19, v17, vcc
	global_load_dwordx2 v[16:17], v[16:17], off
	s_waitcnt vmcnt(1)
	v_cvt_f64_f32_e32 v[18:19], v18
	v_add_co_u32_e32 v8, vcc, 0x790, v8
	v_addc_co_u32_e32 v9, vcc, 0, v9, vcc
	s_waitcnt vmcnt(0)
	v_fma_f64 v[5:6], v[18:19], v[16:17], v[5:6]
	s_branch .LBB501_9
.LBB501_12:
	v_lshlrev_b32_e32 v9, 3, v0
	s_and_b64 vcc, exec, s[16:17]
	ds_write_b64 v9, v[5:6]
	s_waitcnt lgkmcnt(0)
	s_barrier
	s_cbranch_vccz .LBB501_24
; %bb.13:
	v_cmp_gt_u16_e32 vcc, 6, v14
	s_and_saveexec_b64 s[0:1], vcc
	s_cbranch_execz .LBB501_15
; %bb.14:
	ds_read2_b64 v[10:13], v9 offset1:16
	s_waitcnt lgkmcnt(0)
	v_add_f64 v[7:8], v[12:13], v[10:11]
	ds_write_b64 v9, v[7:8]
.LBB501_15:
	s_or_b64 exec, exec, s[0:1]
	v_cmp_gt_u16_e32 vcc, 8, v14
	s_waitcnt lgkmcnt(0)
	s_barrier
	s_and_saveexec_b64 s[0:1], vcc
	s_cbranch_execz .LBB501_17
; %bb.16:
	ds_read2_b64 v[10:13], v9 offset1:8
	s_waitcnt lgkmcnt(0)
	v_add_f64 v[7:8], v[12:13], v[10:11]
	ds_write_b64 v9, v[7:8]
.LBB501_17:
	s_or_b64 exec, exec, s[0:1]
	v_cmp_gt_u16_e32 vcc, 4, v14
	s_waitcnt lgkmcnt(0)
	s_barrier
	;; [unrolled: 12-line block ×3, first 2 shown]
	s_and_saveexec_b64 s[0:1], vcc
	s_cbranch_execz .LBB501_21
; %bb.20:
	ds_read2_b64 v[10:13], v9 offset1:2
	s_waitcnt lgkmcnt(0)
	v_add_f64 v[7:8], v[12:13], v[10:11]
	ds_write_b64 v9, v[7:8]
.LBB501_21:
	s_or_b64 exec, exec, s[0:1]
	v_mov_b32_e32 v8, v6
	v_cmp_gt_u32_e32 vcc, 22, v0
	v_mov_b32_e32 v7, v5
	s_waitcnt lgkmcnt(0)
	s_barrier
	s_and_saveexec_b64 s[0:1], vcc
	s_cbranch_execz .LBB501_23
; %bb.22:
	s_movk_i32 s2, 0xa8
	v_mad_u32_u24 v7, v0, s2, v9
	ds_read_b128 v[10:13], v7
	s_waitcnt lgkmcnt(0)
	v_add_f64 v[7:8], v[10:11], v[12:13]
.LBB501_23:
	s_or_b64 exec, exec, s[0:1]
	s_branch .LBB501_36
.LBB501_24:
                                        ; implicit-def: $vgpr7_vgpr8
	s_cbranch_execz .LBB501_36
; %bb.25:
	s_movk_i32 s0, 0x84
	v_cmp_gt_u32_e32 vcc, s0, v0
	s_and_saveexec_b64 s[0:1], vcc
	s_cbranch_execz .LBB501_27
; %bb.26:
	ds_read_b64 v[7:8], v9 offset:2816
	ds_read_b64 v[10:11], v9
	s_waitcnt lgkmcnt(0)
	v_add_f64 v[7:8], v[7:8], v[10:11]
	ds_write_b64 v9, v[7:8]
.LBB501_27:
	s_or_b64 exec, exec, s[0:1]
	s_movk_i32 s0, 0xb0
	v_cmp_gt_u32_e32 vcc, s0, v0
	s_waitcnt lgkmcnt(0)
	s_barrier
	s_and_saveexec_b64 s[0:1], vcc
	s_cbranch_execz .LBB501_29
; %bb.28:
	ds_read2_b64 v[10:13], v9 offset1:176
	s_waitcnt lgkmcnt(0)
	v_add_f64 v[7:8], v[12:13], v[10:11]
	ds_write_b64 v9, v[7:8]
.LBB501_29:
	s_or_b64 exec, exec, s[0:1]
	s_movk_i32 s0, 0x58
	v_cmp_gt_u32_e32 vcc, s0, v0
	s_waitcnt lgkmcnt(0)
	s_barrier
	s_and_saveexec_b64 s[0:1], vcc
	s_cbranch_execz .LBB501_31
; %bb.30:
	ds_read2_b64 v[10:13], v9 offset1:88
	s_waitcnt lgkmcnt(0)
	v_add_f64 v[7:8], v[12:13], v[10:11]
	ds_write_b64 v9, v[7:8]
.LBB501_31:
	s_or_b64 exec, exec, s[0:1]
	v_cmp_gt_u32_e32 vcc, 44, v0
	s_waitcnt lgkmcnt(0)
	s_barrier
	s_and_saveexec_b64 s[0:1], vcc
	s_cbranch_execz .LBB501_33
; %bb.32:
	ds_read2_b64 v[10:13], v9 offset1:44
	s_waitcnt lgkmcnt(0)
	v_add_f64 v[7:8], v[12:13], v[10:11]
	ds_write_b64 v9, v[7:8]
.LBB501_33:
	s_or_b64 exec, exec, s[0:1]
	v_cmp_gt_u32_e32 vcc, 22, v0
	s_waitcnt lgkmcnt(0)
	s_and_saveexec_b64 s[0:1], vcc
	s_cbranch_execz .LBB501_35
; %bb.34:
	ds_read2_b64 v[5:8], v9 offset1:22
	s_waitcnt lgkmcnt(0)
	v_add_f64 v[5:6], v[5:6], v[7:8]
.LBB501_35:
	s_or_b64 exec, exec, s[0:1]
	v_mov_b32_e32 v8, v6
	v_mov_b32_e32 v7, v5
.LBB501_36:
	v_cmp_gt_u32_e32 vcc, 22, v0
	s_and_b64 exec, exec, vcc
	s_cbranch_execz .LBB501_41
; %bb.37:
	v_cmp_eq_f64_e32 vcc, 0, v[1:2]
	v_mul_f64 v[3:4], v[3:4], v[7:8]
	s_and_saveexec_b64 s[0:1], vcc
	s_xor_b64 s[0:1], exec, s[0:1]
	s_cbranch_execz .LBB501_39
; %bb.38:
	v_mad_u64_u32 v[0:1], s[2:3], s6, 22, v[0:1]
	v_mov_b32_e32 v1, 0
	v_mov_b32_e32 v2, s13
	v_lshlrev_b64 v[0:1], 3, v[0:1]
	v_add_co_u32_e32 v0, vcc, s12, v0
	v_addc_co_u32_e32 v1, vcc, v2, v1, vcc
	global_store_dwordx2 v[0:1], v[3:4], off
                                        ; implicit-def: $vgpr0
                                        ; implicit-def: $vgpr1_vgpr2
                                        ; implicit-def: $vgpr3_vgpr4
.LBB501_39:
	s_andn2_saveexec_b64 s[0:1], s[0:1]
	s_cbranch_execz .LBB501_41
; %bb.40:
	v_mad_u64_u32 v[5:6], s[0:1], s6, 22, v[0:1]
	v_mov_b32_e32 v6, 0
	v_mov_b32_e32 v0, s13
	v_lshlrev_b64 v[5:6], 3, v[5:6]
	v_add_co_u32_e32 v5, vcc, s12, v5
	v_addc_co_u32_e32 v6, vcc, v0, v6, vcc
	global_load_dwordx2 v[7:8], v[5:6], off
	s_waitcnt vmcnt(0)
	v_fma_f64 v[0:1], v[1:2], v[7:8], v[3:4]
	global_store_dwordx2 v[5:6], v[0:1], off
.LBB501_41:
	s_endpgm
	.section	.rodata,"a",@progbits
	.p2align	6, 0x0
	.amdhsa_kernel _ZN9rocsparseL20bsrxmvn_17_32_kernelILj22EdlifddEEvT2_20rocsparse_direction_NS_24const_host_device_scalarIT0_EES1_PKS1_PKT1_SA_S7_PKT3_PKT4_S5_PT5_21rocsparse_index_base_b
		.amdhsa_group_segment_fixed_size 3872
		.amdhsa_private_segment_fixed_size 0
		.amdhsa_kernarg_size 96
		.amdhsa_user_sgpr_count 6
		.amdhsa_user_sgpr_private_segment_buffer 1
		.amdhsa_user_sgpr_dispatch_ptr 0
		.amdhsa_user_sgpr_queue_ptr 0
		.amdhsa_user_sgpr_kernarg_segment_ptr 1
		.amdhsa_user_sgpr_dispatch_id 0
		.amdhsa_user_sgpr_flat_scratch_init 0
		.amdhsa_user_sgpr_private_segment_size 0
		.amdhsa_uses_dynamic_stack 0
		.amdhsa_system_sgpr_private_segment_wavefront_offset 0
		.amdhsa_system_sgpr_workgroup_id_x 1
		.amdhsa_system_sgpr_workgroup_id_y 0
		.amdhsa_system_sgpr_workgroup_id_z 0
		.amdhsa_system_sgpr_workgroup_info 0
		.amdhsa_system_vgpr_workitem_id 0
		.amdhsa_next_free_vgpr 20
		.amdhsa_next_free_sgpr 22
		.amdhsa_reserve_vcc 1
		.amdhsa_reserve_flat_scratch 0
		.amdhsa_float_round_mode_32 0
		.amdhsa_float_round_mode_16_64 0
		.amdhsa_float_denorm_mode_32 3
		.amdhsa_float_denorm_mode_16_64 3
		.amdhsa_dx10_clamp 1
		.amdhsa_ieee_mode 1
		.amdhsa_fp16_overflow 0
		.amdhsa_exception_fp_ieee_invalid_op 0
		.amdhsa_exception_fp_denorm_src 0
		.amdhsa_exception_fp_ieee_div_zero 0
		.amdhsa_exception_fp_ieee_overflow 0
		.amdhsa_exception_fp_ieee_underflow 0
		.amdhsa_exception_fp_ieee_inexact 0
		.amdhsa_exception_int_div_zero 0
	.end_amdhsa_kernel
	.section	.text._ZN9rocsparseL20bsrxmvn_17_32_kernelILj22EdlifddEEvT2_20rocsparse_direction_NS_24const_host_device_scalarIT0_EES1_PKS1_PKT1_SA_S7_PKT3_PKT4_S5_PT5_21rocsparse_index_base_b,"axG",@progbits,_ZN9rocsparseL20bsrxmvn_17_32_kernelILj22EdlifddEEvT2_20rocsparse_direction_NS_24const_host_device_scalarIT0_EES1_PKS1_PKT1_SA_S7_PKT3_PKT4_S5_PT5_21rocsparse_index_base_b,comdat
.Lfunc_end501:
	.size	_ZN9rocsparseL20bsrxmvn_17_32_kernelILj22EdlifddEEvT2_20rocsparse_direction_NS_24const_host_device_scalarIT0_EES1_PKS1_PKT1_SA_S7_PKT3_PKT4_S5_PT5_21rocsparse_index_base_b, .Lfunc_end501-_ZN9rocsparseL20bsrxmvn_17_32_kernelILj22EdlifddEEvT2_20rocsparse_direction_NS_24const_host_device_scalarIT0_EES1_PKS1_PKT1_SA_S7_PKT3_PKT4_S5_PT5_21rocsparse_index_base_b
                                        ; -- End function
	.set _ZN9rocsparseL20bsrxmvn_17_32_kernelILj22EdlifddEEvT2_20rocsparse_direction_NS_24const_host_device_scalarIT0_EES1_PKS1_PKT1_SA_S7_PKT3_PKT4_S5_PT5_21rocsparse_index_base_b.num_vgpr, 20
	.set _ZN9rocsparseL20bsrxmvn_17_32_kernelILj22EdlifddEEvT2_20rocsparse_direction_NS_24const_host_device_scalarIT0_EES1_PKS1_PKT1_SA_S7_PKT3_PKT4_S5_PT5_21rocsparse_index_base_b.num_agpr, 0
	.set _ZN9rocsparseL20bsrxmvn_17_32_kernelILj22EdlifddEEvT2_20rocsparse_direction_NS_24const_host_device_scalarIT0_EES1_PKS1_PKT1_SA_S7_PKT3_PKT4_S5_PT5_21rocsparse_index_base_b.numbered_sgpr, 22
	.set _ZN9rocsparseL20bsrxmvn_17_32_kernelILj22EdlifddEEvT2_20rocsparse_direction_NS_24const_host_device_scalarIT0_EES1_PKS1_PKT1_SA_S7_PKT3_PKT4_S5_PT5_21rocsparse_index_base_b.num_named_barrier, 0
	.set _ZN9rocsparseL20bsrxmvn_17_32_kernelILj22EdlifddEEvT2_20rocsparse_direction_NS_24const_host_device_scalarIT0_EES1_PKS1_PKT1_SA_S7_PKT3_PKT4_S5_PT5_21rocsparse_index_base_b.private_seg_size, 0
	.set _ZN9rocsparseL20bsrxmvn_17_32_kernelILj22EdlifddEEvT2_20rocsparse_direction_NS_24const_host_device_scalarIT0_EES1_PKS1_PKT1_SA_S7_PKT3_PKT4_S5_PT5_21rocsparse_index_base_b.uses_vcc, 1
	.set _ZN9rocsparseL20bsrxmvn_17_32_kernelILj22EdlifddEEvT2_20rocsparse_direction_NS_24const_host_device_scalarIT0_EES1_PKS1_PKT1_SA_S7_PKT3_PKT4_S5_PT5_21rocsparse_index_base_b.uses_flat_scratch, 0
	.set _ZN9rocsparseL20bsrxmvn_17_32_kernelILj22EdlifddEEvT2_20rocsparse_direction_NS_24const_host_device_scalarIT0_EES1_PKS1_PKT1_SA_S7_PKT3_PKT4_S5_PT5_21rocsparse_index_base_b.has_dyn_sized_stack, 0
	.set _ZN9rocsparseL20bsrxmvn_17_32_kernelILj22EdlifddEEvT2_20rocsparse_direction_NS_24const_host_device_scalarIT0_EES1_PKS1_PKT1_SA_S7_PKT3_PKT4_S5_PT5_21rocsparse_index_base_b.has_recursion, 0
	.set _ZN9rocsparseL20bsrxmvn_17_32_kernelILj22EdlifddEEvT2_20rocsparse_direction_NS_24const_host_device_scalarIT0_EES1_PKS1_PKT1_SA_S7_PKT3_PKT4_S5_PT5_21rocsparse_index_base_b.has_indirect_call, 0
	.section	.AMDGPU.csdata,"",@progbits
; Kernel info:
; codeLenInByte = 1424
; TotalNumSgprs: 26
; NumVgprs: 20
; ScratchSize: 0
; MemoryBound: 0
; FloatMode: 240
; IeeeMode: 1
; LDSByteSize: 3872 bytes/workgroup (compile time only)
; SGPRBlocks: 3
; VGPRBlocks: 4
; NumSGPRsForWavesPerEU: 26
; NumVGPRsForWavesPerEU: 20
; Occupancy: 10
; WaveLimiterHint : 1
; COMPUTE_PGM_RSRC2:SCRATCH_EN: 0
; COMPUTE_PGM_RSRC2:USER_SGPR: 6
; COMPUTE_PGM_RSRC2:TRAP_HANDLER: 0
; COMPUTE_PGM_RSRC2:TGID_X_EN: 1
; COMPUTE_PGM_RSRC2:TGID_Y_EN: 0
; COMPUTE_PGM_RSRC2:TGID_Z_EN: 0
; COMPUTE_PGM_RSRC2:TIDIG_COMP_CNT: 0
	.section	.text._ZN9rocsparseL20bsrxmvn_17_32_kernelILj23EdlifddEEvT2_20rocsparse_direction_NS_24const_host_device_scalarIT0_EES1_PKS1_PKT1_SA_S7_PKT3_PKT4_S5_PT5_21rocsparse_index_base_b,"axG",@progbits,_ZN9rocsparseL20bsrxmvn_17_32_kernelILj23EdlifddEEvT2_20rocsparse_direction_NS_24const_host_device_scalarIT0_EES1_PKS1_PKT1_SA_S7_PKT3_PKT4_S5_PT5_21rocsparse_index_base_b,comdat
	.globl	_ZN9rocsparseL20bsrxmvn_17_32_kernelILj23EdlifddEEvT2_20rocsparse_direction_NS_24const_host_device_scalarIT0_EES1_PKS1_PKT1_SA_S7_PKT3_PKT4_S5_PT5_21rocsparse_index_base_b ; -- Begin function _ZN9rocsparseL20bsrxmvn_17_32_kernelILj23EdlifddEEvT2_20rocsparse_direction_NS_24const_host_device_scalarIT0_EES1_PKS1_PKT1_SA_S7_PKT3_PKT4_S5_PT5_21rocsparse_index_base_b
	.p2align	8
	.type	_ZN9rocsparseL20bsrxmvn_17_32_kernelILj23EdlifddEEvT2_20rocsparse_direction_NS_24const_host_device_scalarIT0_EES1_PKS1_PKT1_SA_S7_PKT3_PKT4_S5_PT5_21rocsparse_index_base_b,@function
_ZN9rocsparseL20bsrxmvn_17_32_kernelILj23EdlifddEEvT2_20rocsparse_direction_NS_24const_host_device_scalarIT0_EES1_PKS1_PKT1_SA_S7_PKT3_PKT4_S5_PT5_21rocsparse_index_base_b: ; @_ZN9rocsparseL20bsrxmvn_17_32_kernelILj23EdlifddEEvT2_20rocsparse_direction_NS_24const_host_device_scalarIT0_EES1_PKS1_PKT1_SA_S7_PKT3_PKT4_S5_PT5_21rocsparse_index_base_b
; %bb.0:
	s_load_dwordx2 s[14:15], s[4:5], 0x58
	s_load_dwordx2 s[8:9], s[4:5], 0x8
	;; [unrolled: 1-line block ×3, first 2 shown]
	s_waitcnt lgkmcnt(0)
	s_bitcmp1_b32 s15, 0
	s_cselect_b64 s[10:11], -1, 0
	v_mov_b32_e32 v3, s8
	s_xor_b64 s[2:3], s[10:11], -1
	s_and_b64 vcc, exec, s[10:11]
	v_mov_b32_e32 v4, s9
	s_cbranch_vccnz .LBB502_2
; %bb.1:
	v_mov_b32_e32 v1, s8
	v_mov_b32_e32 v2, s9
	flat_load_dwordx2 v[3:4], v[1:2]
.LBB502_2:
	v_mov_b32_e32 v2, s1
	s_andn2_b64 vcc, exec, s[2:3]
	v_mov_b32_e32 v1, s0
	s_cbranch_vccnz .LBB502_4
; %bb.3:
	v_mov_b32_e32 v2, s1
	v_mov_b32_e32 v1, s0
	flat_load_dwordx2 v[1:2], v[1:2]
.LBB502_4:
	s_waitcnt vmcnt(0) lgkmcnt(0)
	v_cmp_neq_f64_e32 vcc, 0, v[3:4]
	v_cmp_neq_f64_e64 s[0:1], 1.0, v[1:2]
	s_or_b64 s[0:1], vcc, s[0:1]
	s_and_saveexec_b64 s[2:3], s[0:1]
	s_cbranch_execz .LBB502_41
; %bb.5:
	s_load_dwordx4 s[0:3], s[4:5], 0x18
	s_load_dwordx2 s[8:9], s[4:5], 0x28
	s_waitcnt lgkmcnt(0)
	s_cmp_eq_u64 s[0:1], 0
	s_cbranch_scc1 .LBB502_7
; %bb.6:
	s_ashr_i32 s7, s6, 31
	s_lshl_b64 s[6:7], s[6:7], 2
	s_add_u32 s0, s0, s6
	s_addc_u32 s1, s1, s7
	s_load_dword s0, s[0:1], 0x0
	s_waitcnt lgkmcnt(0)
	s_sub_i32 s6, s0, s14
.LBB502_7:
	s_load_dword s7, s[4:5], 0x4
	s_load_dwordx2 s[12:13], s[4:5], 0x50
	v_mul_u32_u24_e32 v7, 0xb22, v0
	v_mov_b32_e32 v5, 23
	v_mul_lo_u16_sdwa v5, v7, v5 dst_sel:DWORD dst_unused:UNUSED_PAD src0_sel:WORD_1 src1_sel:DWORD
	s_waitcnt lgkmcnt(0)
	s_cmp_eq_u32 s7, 1
	s_cselect_b64 s[0:1], -1, 0
	s_cmp_lg_u32 s7, 1
	s_cselect_b64 s[16:17], -1, 0
	s_ashr_i32 s7, s6, 31
	s_lshl_b64 s[10:11], s[6:7], 3
	s_add_u32 s2, s2, s10
	s_addc_u32 s3, s3, s11
	s_add_u32 s7, s2, 8
	s_addc_u32 s15, s3, 0
	;; [unrolled: 2-line block ×3, first 2 shown]
	s_cmp_eq_u64 s[8:9], 0
	s_cselect_b32 s9, s15, s11
	s_cselect_b32 s8, s7, s10
	s_load_dwordx2 s[18:19], s[8:9], 0x0
	s_load_dwordx2 s[20:21], s[2:3], 0x0
	v_sub_u16_e32 v14, v0, v5
	s_waitcnt lgkmcnt(0)
	v_mov_b32_e32 v5, s18
	v_mov_b32_e32 v6, s19
	v_cmp_ge_i64_e32 vcc, s[20:21], v[5:6]
	v_mov_b32_e32 v5, 0
	v_mov_b32_e32 v6, 0
	s_cbranch_vccnz .LBB502_12
; %bb.8:
	s_load_dwordx4 s[8:11], s[4:5], 0x30
	s_load_dwordx2 s[2:3], s[4:5], 0x40
	s_sub_u32 s4, s18, s14
	s_mov_b32 s7, 0xffff
	s_subb_u32 s5, s19, 0
	s_movk_i32 s15, 0x211
	v_and_b32_sdwa v5, s7, v7 dst_sel:DWORD dst_unused:UNUSED_PAD src0_sel:DWORD src1_sel:WORD_1
	v_subrev_u32_e32 v6, 23, v5
	v_cmp_gt_u32_e32 vcc, s15, v0
	s_sub_u32 s18, s20, s14
	v_cndmask_b32_e32 v5, v6, v5, vcc
	s_subb_u32 s19, s21, 0
	v_cndmask_b32_e64 v7, v14, v5, s[0:1]
	s_mul_i32 s0, s19, 0x844
	s_mul_hi_u32 s1, s18, 0x844
	s_add_i32 s1, s1, s0
	s_mul_i32 s0, s18, 0x844
	s_waitcnt lgkmcnt(0)
	s_add_u32 s0, s10, s0
	s_addc_u32 s1, s11, s1
	v_lshlrev_b32_e32 v5, 2, v0
	v_mov_b32_e32 v6, s1
	v_add_co_u32_e32 v8, vcc, s0, v5
	v_addc_co_u32_e32 v9, vcc, 0, v6, vcc
	s_movk_i32 s0, 0x210
	v_cmp_lt_u32_e32 vcc, s0, v0
	v_cndmask_b32_e64 v15, 0, 1, vcc
	v_mov_b32_e32 v5, s21
	v_add_co_u32_e32 v6, vcc, s20, v15
	v_addc_co_u32_e32 v10, vcc, 0, v5, vcc
	v_subrev_co_u32_e32 v5, vcc, s14, v6
	v_subbrev_co_u32_e32 v6, vcc, 0, v10, vcc
	v_lshlrev_b64 v[5:6], 2, v[5:6]
	v_mov_b32_e32 v11, s9
	v_add_co_u32_e32 v10, vcc, s8, v5
	v_addc_co_u32_e32 v11, vcc, v11, v6, vcc
	v_mov_b32_e32 v5, 0
	v_mov_b32_e32 v13, s5
	;; [unrolled: 1-line block ×4, first 2 shown]
	s_branch .LBB502_10
.LBB502_9:                              ;   in Loop: Header=BB502_10 Depth=1
	s_or_b64 exec, exec, s[0:1]
	s_add_u32 s18, s18, 1
	s_addc_u32 s19, s19, 0
	v_cmp_lt_i64_e32 vcc, s[18:19], v[12:13]
	v_add_co_u32_e64 v10, s[0:1], 4, v10
	v_addc_co_u32_e64 v11, s[0:1], 0, v11, s[0:1]
	s_cbranch_vccz .LBB502_12
.LBB502_10:                             ; =>This Inner Loop Header: Depth=1
	v_mov_b32_e32 v17, s19
	v_add_co_u32_e32 v16, vcc, s18, v15
	v_addc_co_u32_e32 v17, vcc, 0, v17, vcc
	v_cmp_gt_i64_e32 vcc, s[4:5], v[16:17]
	s_and_saveexec_b64 s[0:1], vcc
	s_cbranch_execz .LBB502_9
; %bb.11:                               ;   in Loop: Header=BB502_10 Depth=1
	global_load_dword v16, v[10:11], off
	global_load_dword v18, v[8:9], off
	v_mov_b32_e32 v19, s3
	s_waitcnt vmcnt(1)
	v_subrev_u32_e32 v16, s14, v16
	v_mad_u64_u32 v[16:17], s[8:9], v16, 23, v[7:8]
	v_ashrrev_i32_e32 v17, 31, v16
	v_lshlrev_b64 v[16:17], 3, v[16:17]
	v_add_co_u32_e32 v16, vcc, s2, v16
	v_addc_co_u32_e32 v17, vcc, v19, v17, vcc
	global_load_dwordx2 v[16:17], v[16:17], off
	s_waitcnt vmcnt(1)
	v_cvt_f64_f32_e32 v[18:19], v18
	v_add_co_u32_e32 v8, vcc, 0x844, v8
	v_addc_co_u32_e32 v9, vcc, 0, v9, vcc
	s_waitcnt vmcnt(0)
	v_fma_f64 v[5:6], v[18:19], v[16:17], v[5:6]
	s_branch .LBB502_9
.LBB502_12:
	v_lshlrev_b32_e32 v9, 3, v0
	s_and_b64 vcc, exec, s[16:17]
	ds_write_b64 v9, v[5:6]
	s_waitcnt lgkmcnt(0)
	s_barrier
	s_cbranch_vccz .LBB502_24
; %bb.13:
	v_cmp_gt_u16_e32 vcc, 7, v14
	s_and_saveexec_b64 s[0:1], vcc
	s_cbranch_execz .LBB502_15
; %bb.14:
	ds_read2_b64 v[10:13], v9 offset1:16
	s_waitcnt lgkmcnt(0)
	v_add_f64 v[7:8], v[12:13], v[10:11]
	ds_write_b64 v9, v[7:8]
.LBB502_15:
	s_or_b64 exec, exec, s[0:1]
	v_cmp_gt_u16_e32 vcc, 8, v14
	s_waitcnt lgkmcnt(0)
	s_barrier
	s_and_saveexec_b64 s[0:1], vcc
	s_cbranch_execz .LBB502_17
; %bb.16:
	ds_read2_b64 v[10:13], v9 offset1:8
	s_waitcnt lgkmcnt(0)
	v_add_f64 v[7:8], v[12:13], v[10:11]
	ds_write_b64 v9, v[7:8]
.LBB502_17:
	s_or_b64 exec, exec, s[0:1]
	v_cmp_gt_u16_e32 vcc, 4, v14
	s_waitcnt lgkmcnt(0)
	s_barrier
	;; [unrolled: 12-line block ×3, first 2 shown]
	s_and_saveexec_b64 s[0:1], vcc
	s_cbranch_execz .LBB502_21
; %bb.20:
	ds_read2_b64 v[10:13], v9 offset1:2
	s_waitcnt lgkmcnt(0)
	v_add_f64 v[7:8], v[12:13], v[10:11]
	ds_write_b64 v9, v[7:8]
.LBB502_21:
	s_or_b64 exec, exec, s[0:1]
	v_mov_b32_e32 v8, v6
	v_cmp_gt_u32_e32 vcc, 23, v0
	v_mov_b32_e32 v7, v5
	s_waitcnt lgkmcnt(0)
	s_barrier
	s_and_saveexec_b64 s[0:1], vcc
	s_cbranch_execz .LBB502_23
; %bb.22:
	s_movk_i32 s2, 0xb0
	v_mad_u32_u24 v7, v0, s2, v9
	ds_read2_b64 v[10:13], v7 offset1:1
	s_waitcnt lgkmcnt(0)
	v_add_f64 v[7:8], v[10:11], v[12:13]
.LBB502_23:
	s_or_b64 exec, exec, s[0:1]
	s_branch .LBB502_36
.LBB502_24:
                                        ; implicit-def: $vgpr7_vgpr8
	s_cbranch_execz .LBB502_36
; %bb.25:
	s_movk_i32 s0, 0xa1
	v_cmp_gt_u32_e32 vcc, s0, v0
	s_and_saveexec_b64 s[0:1], vcc
	s_cbranch_execz .LBB502_27
; %bb.26:
	ds_read_b64 v[7:8], v9 offset:2944
	ds_read_b64 v[10:11], v9
	s_waitcnt lgkmcnt(0)
	v_add_f64 v[7:8], v[7:8], v[10:11]
	ds_write_b64 v9, v[7:8]
.LBB502_27:
	s_or_b64 exec, exec, s[0:1]
	s_movk_i32 s0, 0xb8
	v_cmp_gt_u32_e32 vcc, s0, v0
	s_waitcnt lgkmcnt(0)
	s_barrier
	s_and_saveexec_b64 s[0:1], vcc
	s_cbranch_execz .LBB502_29
; %bb.28:
	ds_read2_b64 v[10:13], v9 offset1:184
	s_waitcnt lgkmcnt(0)
	v_add_f64 v[7:8], v[12:13], v[10:11]
	ds_write_b64 v9, v[7:8]
.LBB502_29:
	s_or_b64 exec, exec, s[0:1]
	s_movk_i32 s0, 0x5c
	v_cmp_gt_u32_e32 vcc, s0, v0
	s_waitcnt lgkmcnt(0)
	s_barrier
	s_and_saveexec_b64 s[0:1], vcc
	s_cbranch_execz .LBB502_31
; %bb.30:
	ds_read2_b64 v[10:13], v9 offset1:92
	s_waitcnt lgkmcnt(0)
	v_add_f64 v[7:8], v[12:13], v[10:11]
	ds_write_b64 v9, v[7:8]
.LBB502_31:
	s_or_b64 exec, exec, s[0:1]
	v_cmp_gt_u32_e32 vcc, 46, v0
	s_waitcnt lgkmcnt(0)
	s_barrier
	s_and_saveexec_b64 s[0:1], vcc
	s_cbranch_execz .LBB502_33
; %bb.32:
	ds_read2_b64 v[10:13], v9 offset1:46
	s_waitcnt lgkmcnt(0)
	v_add_f64 v[7:8], v[12:13], v[10:11]
	ds_write_b64 v9, v[7:8]
.LBB502_33:
	s_or_b64 exec, exec, s[0:1]
	v_cmp_gt_u32_e32 vcc, 23, v0
	s_waitcnt lgkmcnt(0)
	s_and_saveexec_b64 s[0:1], vcc
	s_cbranch_execz .LBB502_35
; %bb.34:
	ds_read2_b64 v[5:8], v9 offset1:23
	s_waitcnt lgkmcnt(0)
	v_add_f64 v[5:6], v[5:6], v[7:8]
.LBB502_35:
	s_or_b64 exec, exec, s[0:1]
	v_mov_b32_e32 v8, v6
	v_mov_b32_e32 v7, v5
.LBB502_36:
	v_cmp_gt_u32_e32 vcc, 23, v0
	s_and_b64 exec, exec, vcc
	s_cbranch_execz .LBB502_41
; %bb.37:
	v_cmp_eq_f64_e32 vcc, 0, v[1:2]
	v_mul_f64 v[3:4], v[3:4], v[7:8]
	s_and_saveexec_b64 s[0:1], vcc
	s_xor_b64 s[0:1], exec, s[0:1]
	s_cbranch_execz .LBB502_39
; %bb.38:
	v_mad_u64_u32 v[0:1], s[2:3], s6, 23, v[0:1]
	v_mov_b32_e32 v1, 0
	v_mov_b32_e32 v2, s13
	v_lshlrev_b64 v[0:1], 3, v[0:1]
	v_add_co_u32_e32 v0, vcc, s12, v0
	v_addc_co_u32_e32 v1, vcc, v2, v1, vcc
	global_store_dwordx2 v[0:1], v[3:4], off
                                        ; implicit-def: $vgpr0
                                        ; implicit-def: $vgpr1_vgpr2
                                        ; implicit-def: $vgpr3_vgpr4
.LBB502_39:
	s_andn2_saveexec_b64 s[0:1], s[0:1]
	s_cbranch_execz .LBB502_41
; %bb.40:
	v_mad_u64_u32 v[5:6], s[0:1], s6, 23, v[0:1]
	v_mov_b32_e32 v6, 0
	v_mov_b32_e32 v0, s13
	v_lshlrev_b64 v[5:6], 3, v[5:6]
	v_add_co_u32_e32 v5, vcc, s12, v5
	v_addc_co_u32_e32 v6, vcc, v0, v6, vcc
	global_load_dwordx2 v[7:8], v[5:6], off
	s_waitcnt vmcnt(0)
	v_fma_f64 v[0:1], v[1:2], v[7:8], v[3:4]
	global_store_dwordx2 v[5:6], v[0:1], off
.LBB502_41:
	s_endpgm
	.section	.rodata,"a",@progbits
	.p2align	6, 0x0
	.amdhsa_kernel _ZN9rocsparseL20bsrxmvn_17_32_kernelILj23EdlifddEEvT2_20rocsparse_direction_NS_24const_host_device_scalarIT0_EES1_PKS1_PKT1_SA_S7_PKT3_PKT4_S5_PT5_21rocsparse_index_base_b
		.amdhsa_group_segment_fixed_size 4232
		.amdhsa_private_segment_fixed_size 0
		.amdhsa_kernarg_size 96
		.amdhsa_user_sgpr_count 6
		.amdhsa_user_sgpr_private_segment_buffer 1
		.amdhsa_user_sgpr_dispatch_ptr 0
		.amdhsa_user_sgpr_queue_ptr 0
		.amdhsa_user_sgpr_kernarg_segment_ptr 1
		.amdhsa_user_sgpr_dispatch_id 0
		.amdhsa_user_sgpr_flat_scratch_init 0
		.amdhsa_user_sgpr_private_segment_size 0
		.amdhsa_uses_dynamic_stack 0
		.amdhsa_system_sgpr_private_segment_wavefront_offset 0
		.amdhsa_system_sgpr_workgroup_id_x 1
		.amdhsa_system_sgpr_workgroup_id_y 0
		.amdhsa_system_sgpr_workgroup_id_z 0
		.amdhsa_system_sgpr_workgroup_info 0
		.amdhsa_system_vgpr_workitem_id 0
		.amdhsa_next_free_vgpr 25
		.amdhsa_next_free_sgpr 61
		.amdhsa_reserve_vcc 1
		.amdhsa_reserve_flat_scratch 0
		.amdhsa_float_round_mode_32 0
		.amdhsa_float_round_mode_16_64 0
		.amdhsa_float_denorm_mode_32 3
		.amdhsa_float_denorm_mode_16_64 3
		.amdhsa_dx10_clamp 1
		.amdhsa_ieee_mode 1
		.amdhsa_fp16_overflow 0
		.amdhsa_exception_fp_ieee_invalid_op 0
		.amdhsa_exception_fp_denorm_src 0
		.amdhsa_exception_fp_ieee_div_zero 0
		.amdhsa_exception_fp_ieee_overflow 0
		.amdhsa_exception_fp_ieee_underflow 0
		.amdhsa_exception_fp_ieee_inexact 0
		.amdhsa_exception_int_div_zero 0
	.end_amdhsa_kernel
	.section	.text._ZN9rocsparseL20bsrxmvn_17_32_kernelILj23EdlifddEEvT2_20rocsparse_direction_NS_24const_host_device_scalarIT0_EES1_PKS1_PKT1_SA_S7_PKT3_PKT4_S5_PT5_21rocsparse_index_base_b,"axG",@progbits,_ZN9rocsparseL20bsrxmvn_17_32_kernelILj23EdlifddEEvT2_20rocsparse_direction_NS_24const_host_device_scalarIT0_EES1_PKS1_PKT1_SA_S7_PKT3_PKT4_S5_PT5_21rocsparse_index_base_b,comdat
.Lfunc_end502:
	.size	_ZN9rocsparseL20bsrxmvn_17_32_kernelILj23EdlifddEEvT2_20rocsparse_direction_NS_24const_host_device_scalarIT0_EES1_PKS1_PKT1_SA_S7_PKT3_PKT4_S5_PT5_21rocsparse_index_base_b, .Lfunc_end502-_ZN9rocsparseL20bsrxmvn_17_32_kernelILj23EdlifddEEvT2_20rocsparse_direction_NS_24const_host_device_scalarIT0_EES1_PKS1_PKT1_SA_S7_PKT3_PKT4_S5_PT5_21rocsparse_index_base_b
                                        ; -- End function
	.set _ZN9rocsparseL20bsrxmvn_17_32_kernelILj23EdlifddEEvT2_20rocsparse_direction_NS_24const_host_device_scalarIT0_EES1_PKS1_PKT1_SA_S7_PKT3_PKT4_S5_PT5_21rocsparse_index_base_b.num_vgpr, 20
	.set _ZN9rocsparseL20bsrxmvn_17_32_kernelILj23EdlifddEEvT2_20rocsparse_direction_NS_24const_host_device_scalarIT0_EES1_PKS1_PKT1_SA_S7_PKT3_PKT4_S5_PT5_21rocsparse_index_base_b.num_agpr, 0
	.set _ZN9rocsparseL20bsrxmvn_17_32_kernelILj23EdlifddEEvT2_20rocsparse_direction_NS_24const_host_device_scalarIT0_EES1_PKS1_PKT1_SA_S7_PKT3_PKT4_S5_PT5_21rocsparse_index_base_b.numbered_sgpr, 22
	.set _ZN9rocsparseL20bsrxmvn_17_32_kernelILj23EdlifddEEvT2_20rocsparse_direction_NS_24const_host_device_scalarIT0_EES1_PKS1_PKT1_SA_S7_PKT3_PKT4_S5_PT5_21rocsparse_index_base_b.num_named_barrier, 0
	.set _ZN9rocsparseL20bsrxmvn_17_32_kernelILj23EdlifddEEvT2_20rocsparse_direction_NS_24const_host_device_scalarIT0_EES1_PKS1_PKT1_SA_S7_PKT3_PKT4_S5_PT5_21rocsparse_index_base_b.private_seg_size, 0
	.set _ZN9rocsparseL20bsrxmvn_17_32_kernelILj23EdlifddEEvT2_20rocsparse_direction_NS_24const_host_device_scalarIT0_EES1_PKS1_PKT1_SA_S7_PKT3_PKT4_S5_PT5_21rocsparse_index_base_b.uses_vcc, 1
	.set _ZN9rocsparseL20bsrxmvn_17_32_kernelILj23EdlifddEEvT2_20rocsparse_direction_NS_24const_host_device_scalarIT0_EES1_PKS1_PKT1_SA_S7_PKT3_PKT4_S5_PT5_21rocsparse_index_base_b.uses_flat_scratch, 0
	.set _ZN9rocsparseL20bsrxmvn_17_32_kernelILj23EdlifddEEvT2_20rocsparse_direction_NS_24const_host_device_scalarIT0_EES1_PKS1_PKT1_SA_S7_PKT3_PKT4_S5_PT5_21rocsparse_index_base_b.has_dyn_sized_stack, 0
	.set _ZN9rocsparseL20bsrxmvn_17_32_kernelILj23EdlifddEEvT2_20rocsparse_direction_NS_24const_host_device_scalarIT0_EES1_PKS1_PKT1_SA_S7_PKT3_PKT4_S5_PT5_21rocsparse_index_base_b.has_recursion, 0
	.set _ZN9rocsparseL20bsrxmvn_17_32_kernelILj23EdlifddEEvT2_20rocsparse_direction_NS_24const_host_device_scalarIT0_EES1_PKS1_PKT1_SA_S7_PKT3_PKT4_S5_PT5_21rocsparse_index_base_b.has_indirect_call, 0
	.section	.AMDGPU.csdata,"",@progbits
; Kernel info:
; codeLenInByte = 1420
; TotalNumSgprs: 26
; NumVgprs: 20
; ScratchSize: 0
; MemoryBound: 0
; FloatMode: 240
; IeeeMode: 1
; LDSByteSize: 4232 bytes/workgroup (compile time only)
; SGPRBlocks: 8
; VGPRBlocks: 6
; NumSGPRsForWavesPerEU: 65
; NumVGPRsForWavesPerEU: 25
; Occupancy: 9
; WaveLimiterHint : 1
; COMPUTE_PGM_RSRC2:SCRATCH_EN: 0
; COMPUTE_PGM_RSRC2:USER_SGPR: 6
; COMPUTE_PGM_RSRC2:TRAP_HANDLER: 0
; COMPUTE_PGM_RSRC2:TGID_X_EN: 1
; COMPUTE_PGM_RSRC2:TGID_Y_EN: 0
; COMPUTE_PGM_RSRC2:TGID_Z_EN: 0
; COMPUTE_PGM_RSRC2:TIDIG_COMP_CNT: 0
	.section	.text._ZN9rocsparseL20bsrxmvn_17_32_kernelILj24EdlifddEEvT2_20rocsparse_direction_NS_24const_host_device_scalarIT0_EES1_PKS1_PKT1_SA_S7_PKT3_PKT4_S5_PT5_21rocsparse_index_base_b,"axG",@progbits,_ZN9rocsparseL20bsrxmvn_17_32_kernelILj24EdlifddEEvT2_20rocsparse_direction_NS_24const_host_device_scalarIT0_EES1_PKS1_PKT1_SA_S7_PKT3_PKT4_S5_PT5_21rocsparse_index_base_b,comdat
	.globl	_ZN9rocsparseL20bsrxmvn_17_32_kernelILj24EdlifddEEvT2_20rocsparse_direction_NS_24const_host_device_scalarIT0_EES1_PKS1_PKT1_SA_S7_PKT3_PKT4_S5_PT5_21rocsparse_index_base_b ; -- Begin function _ZN9rocsparseL20bsrxmvn_17_32_kernelILj24EdlifddEEvT2_20rocsparse_direction_NS_24const_host_device_scalarIT0_EES1_PKS1_PKT1_SA_S7_PKT3_PKT4_S5_PT5_21rocsparse_index_base_b
	.p2align	8
	.type	_ZN9rocsparseL20bsrxmvn_17_32_kernelILj24EdlifddEEvT2_20rocsparse_direction_NS_24const_host_device_scalarIT0_EES1_PKS1_PKT1_SA_S7_PKT3_PKT4_S5_PT5_21rocsparse_index_base_b,@function
_ZN9rocsparseL20bsrxmvn_17_32_kernelILj24EdlifddEEvT2_20rocsparse_direction_NS_24const_host_device_scalarIT0_EES1_PKS1_PKT1_SA_S7_PKT3_PKT4_S5_PT5_21rocsparse_index_base_b: ; @_ZN9rocsparseL20bsrxmvn_17_32_kernelILj24EdlifddEEvT2_20rocsparse_direction_NS_24const_host_device_scalarIT0_EES1_PKS1_PKT1_SA_S7_PKT3_PKT4_S5_PT5_21rocsparse_index_base_b
; %bb.0:
	s_load_dwordx2 s[14:15], s[4:5], 0x58
	s_load_dwordx2 s[8:9], s[4:5], 0x8
	;; [unrolled: 1-line block ×3, first 2 shown]
	s_waitcnt lgkmcnt(0)
	s_bitcmp1_b32 s15, 0
	s_cselect_b64 s[10:11], -1, 0
	v_mov_b32_e32 v3, s8
	s_xor_b64 s[2:3], s[10:11], -1
	s_and_b64 vcc, exec, s[10:11]
	v_mov_b32_e32 v4, s9
	s_cbranch_vccnz .LBB503_2
; %bb.1:
	v_mov_b32_e32 v1, s8
	v_mov_b32_e32 v2, s9
	flat_load_dwordx2 v[3:4], v[1:2]
.LBB503_2:
	v_mov_b32_e32 v2, s1
	s_andn2_b64 vcc, exec, s[2:3]
	v_mov_b32_e32 v1, s0
	s_cbranch_vccnz .LBB503_4
; %bb.3:
	v_mov_b32_e32 v2, s1
	v_mov_b32_e32 v1, s0
	flat_load_dwordx2 v[1:2], v[1:2]
.LBB503_4:
	s_waitcnt vmcnt(0) lgkmcnt(0)
	v_cmp_neq_f64_e32 vcc, 0, v[3:4]
	v_cmp_neq_f64_e64 s[0:1], 1.0, v[1:2]
	s_or_b64 s[0:1], vcc, s[0:1]
	s_and_saveexec_b64 s[2:3], s[0:1]
	s_cbranch_execz .LBB503_41
; %bb.5:
	s_load_dwordx4 s[0:3], s[4:5], 0x18
	s_load_dwordx2 s[8:9], s[4:5], 0x28
	s_waitcnt lgkmcnt(0)
	s_cmp_eq_u64 s[0:1], 0
	s_cbranch_scc1 .LBB503_7
; %bb.6:
	s_ashr_i32 s7, s6, 31
	s_lshl_b64 s[6:7], s[6:7], 2
	s_add_u32 s0, s0, s6
	s_addc_u32 s1, s1, s7
	s_load_dword s0, s[0:1], 0x0
	s_waitcnt lgkmcnt(0)
	s_sub_i32 s6, s0, s14
.LBB503_7:
	s_load_dword s7, s[4:5], 0x4
	s_load_dwordx2 s[12:13], s[4:5], 0x50
	v_mul_u32_u24_e32 v7, 0xaab, v0
	v_mov_b32_e32 v5, 24
	v_mul_lo_u16_sdwa v5, v7, v5 dst_sel:DWORD dst_unused:UNUSED_PAD src0_sel:WORD_1 src1_sel:DWORD
	s_waitcnt lgkmcnt(0)
	s_cmp_eq_u32 s7, 1
	s_cselect_b64 s[0:1], -1, 0
	s_cmp_lg_u32 s7, 1
	s_cselect_b64 s[16:17], -1, 0
	s_ashr_i32 s7, s6, 31
	s_lshl_b64 s[10:11], s[6:7], 3
	s_add_u32 s2, s2, s10
	s_addc_u32 s3, s3, s11
	s_add_u32 s7, s2, 8
	s_addc_u32 s15, s3, 0
	;; [unrolled: 2-line block ×3, first 2 shown]
	s_cmp_eq_u64 s[8:9], 0
	s_cselect_b32 s9, s15, s11
	s_cselect_b32 s8, s7, s10
	s_load_dwordx2 s[18:19], s[8:9], 0x0
	s_load_dwordx2 s[20:21], s[2:3], 0x0
	v_sub_u16_e32 v14, v0, v5
	s_waitcnt lgkmcnt(0)
	v_mov_b32_e32 v5, s18
	v_mov_b32_e32 v6, s19
	v_cmp_ge_i64_e32 vcc, s[20:21], v[5:6]
	v_mov_b32_e32 v5, 0
	v_mov_b32_e32 v6, 0
	s_cbranch_vccnz .LBB503_12
; %bb.8:
	s_load_dwordx4 s[8:11], s[4:5], 0x30
	s_load_dwordx2 s[2:3], s[4:5], 0x40
	s_sub_u32 s4, s18, s14
	s_mov_b32 s7, 0xffff
	s_subb_u32 s5, s19, 0
	s_movk_i32 s15, 0x240
	v_and_b32_sdwa v5, s7, v7 dst_sel:DWORD dst_unused:UNUSED_PAD src0_sel:DWORD src1_sel:WORD_1
	v_subrev_u32_e32 v6, 24, v5
	v_cmp_gt_u32_e32 vcc, s15, v0
	s_sub_u32 s18, s20, s14
	v_cndmask_b32_e32 v5, v6, v5, vcc
	s_subb_u32 s19, s21, 0
	v_cndmask_b32_e64 v7, v14, v5, s[0:1]
	s_mul_i32 s0, s19, 0x900
	s_mul_hi_u32 s1, s18, 0x900
	s_add_i32 s1, s1, s0
	s_mul_i32 s0, s18, 0x900
	s_waitcnt lgkmcnt(0)
	s_add_u32 s0, s10, s0
	s_addc_u32 s1, s11, s1
	v_lshlrev_b32_e32 v5, 2, v0
	v_mov_b32_e32 v6, s1
	v_add_co_u32_e32 v8, vcc, s0, v5
	v_addc_co_u32_e32 v9, vcc, 0, v6, vcc
	s_movk_i32 s0, 0x23f
	v_cmp_lt_u32_e32 vcc, s0, v0
	v_cndmask_b32_e64 v15, 0, 1, vcc
	v_mov_b32_e32 v5, s21
	v_add_co_u32_e32 v6, vcc, s20, v15
	v_addc_co_u32_e32 v10, vcc, 0, v5, vcc
	v_subrev_co_u32_e32 v5, vcc, s14, v6
	v_subbrev_co_u32_e32 v6, vcc, 0, v10, vcc
	v_lshlrev_b64 v[5:6], 2, v[5:6]
	v_mov_b32_e32 v11, s9
	v_add_co_u32_e32 v10, vcc, s8, v5
	v_addc_co_u32_e32 v11, vcc, v11, v6, vcc
	v_mov_b32_e32 v5, 0
	v_mov_b32_e32 v13, s5
	;; [unrolled: 1-line block ×4, first 2 shown]
	s_branch .LBB503_10
.LBB503_9:                              ;   in Loop: Header=BB503_10 Depth=1
	s_or_b64 exec, exec, s[0:1]
	s_add_u32 s18, s18, 1
	s_addc_u32 s19, s19, 0
	v_cmp_lt_i64_e32 vcc, s[18:19], v[12:13]
	v_add_co_u32_e64 v10, s[0:1], 4, v10
	v_addc_co_u32_e64 v11, s[0:1], 0, v11, s[0:1]
	s_cbranch_vccz .LBB503_12
.LBB503_10:                             ; =>This Inner Loop Header: Depth=1
	v_mov_b32_e32 v17, s19
	v_add_co_u32_e32 v16, vcc, s18, v15
	v_addc_co_u32_e32 v17, vcc, 0, v17, vcc
	v_cmp_gt_i64_e32 vcc, s[4:5], v[16:17]
	s_and_saveexec_b64 s[0:1], vcc
	s_cbranch_execz .LBB503_9
; %bb.11:                               ;   in Loop: Header=BB503_10 Depth=1
	global_load_dword v16, v[10:11], off
	global_load_dword v18, v[8:9], off
	v_mov_b32_e32 v19, s3
	s_waitcnt vmcnt(1)
	v_subrev_u32_e32 v16, s14, v16
	v_mad_u64_u32 v[16:17], s[8:9], v16, 24, v[7:8]
	v_ashrrev_i32_e32 v17, 31, v16
	v_lshlrev_b64 v[16:17], 3, v[16:17]
	v_add_co_u32_e32 v16, vcc, s2, v16
	v_addc_co_u32_e32 v17, vcc, v19, v17, vcc
	global_load_dwordx2 v[16:17], v[16:17], off
	s_waitcnt vmcnt(1)
	v_cvt_f64_f32_e32 v[18:19], v18
	v_add_co_u32_e32 v8, vcc, 0x900, v8
	v_addc_co_u32_e32 v9, vcc, 0, v9, vcc
	s_waitcnt vmcnt(0)
	v_fma_f64 v[5:6], v[18:19], v[16:17], v[5:6]
	s_branch .LBB503_9
.LBB503_12:
	v_lshlrev_b32_e32 v9, 3, v0
	s_and_b64 vcc, exec, s[16:17]
	ds_write_b64 v9, v[5:6]
	s_waitcnt lgkmcnt(0)
	s_barrier
	s_cbranch_vccz .LBB503_24
; %bb.13:
	v_cmp_gt_u16_e32 vcc, 8, v14
	s_and_saveexec_b64 s[0:1], vcc
	s_cbranch_execz .LBB503_15
; %bb.14:
	ds_read2_b64 v[10:13], v9 offset1:16
	s_waitcnt lgkmcnt(0)
	v_add_f64 v[7:8], v[12:13], v[10:11]
	ds_write_b64 v9, v[7:8]
.LBB503_15:
	s_or_b64 exec, exec, s[0:1]
	s_waitcnt lgkmcnt(0)
	s_barrier
	s_and_saveexec_b64 s[0:1], vcc
	s_cbranch_execz .LBB503_17
; %bb.16:
	ds_read2_b64 v[10:13], v9 offset1:8
	s_waitcnt lgkmcnt(0)
	v_add_f64 v[7:8], v[12:13], v[10:11]
	ds_write_b64 v9, v[7:8]
.LBB503_17:
	s_or_b64 exec, exec, s[0:1]
	v_cmp_gt_u16_e32 vcc, 4, v14
	s_waitcnt lgkmcnt(0)
	s_barrier
	s_and_saveexec_b64 s[0:1], vcc
	s_cbranch_execz .LBB503_19
; %bb.18:
	ds_read2_b64 v[10:13], v9 offset1:4
	s_waitcnt lgkmcnt(0)
	v_add_f64 v[7:8], v[12:13], v[10:11]
	ds_write_b64 v9, v[7:8]
.LBB503_19:
	s_or_b64 exec, exec, s[0:1]
	v_cmp_gt_u16_e32 vcc, 2, v14
	s_waitcnt lgkmcnt(0)
	s_barrier
	s_and_saveexec_b64 s[0:1], vcc
	s_cbranch_execz .LBB503_21
; %bb.20:
	ds_read2_b64 v[10:13], v9 offset1:2
	s_waitcnt lgkmcnt(0)
	v_add_f64 v[7:8], v[12:13], v[10:11]
	ds_write_b64 v9, v[7:8]
.LBB503_21:
	s_or_b64 exec, exec, s[0:1]
	v_mov_b32_e32 v8, v6
	v_cmp_gt_u32_e32 vcc, 24, v0
	v_mov_b32_e32 v7, v5
	s_waitcnt lgkmcnt(0)
	s_barrier
	s_and_saveexec_b64 s[0:1], vcc
	s_cbranch_execz .LBB503_23
; %bb.22:
	s_movk_i32 s2, 0xb8
	v_mad_u32_u24 v7, v0, s2, v9
	ds_read_b128 v[10:13], v7
	s_waitcnt lgkmcnt(0)
	v_add_f64 v[7:8], v[10:11], v[12:13]
.LBB503_23:
	s_or_b64 exec, exec, s[0:1]
	s_branch .LBB503_36
.LBB503_24:
                                        ; implicit-def: $vgpr7_vgpr8
	s_cbranch_execz .LBB503_36
; %bb.25:
	s_movk_i32 s0, 0xc0
	v_cmp_gt_u32_e32 vcc, s0, v0
	s_and_saveexec_b64 s[0:1], vcc
	s_cbranch_execz .LBB503_27
; %bb.26:
	ds_read2st64_b64 v[10:13], v9 offset1:6
	s_waitcnt lgkmcnt(0)
	v_add_f64 v[7:8], v[12:13], v[10:11]
	ds_write_b64 v9, v[7:8]
.LBB503_27:
	s_or_b64 exec, exec, s[0:1]
	s_waitcnt lgkmcnt(0)
	s_barrier
	s_and_saveexec_b64 s[0:1], vcc
	s_cbranch_execz .LBB503_29
; %bb.28:
	ds_read2st64_b64 v[10:13], v9 offset1:3
	s_waitcnt lgkmcnt(0)
	v_add_f64 v[7:8], v[12:13], v[10:11]
	ds_write_b64 v9, v[7:8]
.LBB503_29:
	s_or_b64 exec, exec, s[0:1]
	s_movk_i32 s0, 0x60
	v_cmp_gt_u32_e32 vcc, s0, v0
	s_waitcnt lgkmcnt(0)
	s_barrier
	s_and_saveexec_b64 s[0:1], vcc
	s_cbranch_execz .LBB503_31
; %bb.30:
	ds_read2_b64 v[10:13], v9 offset1:96
	s_waitcnt lgkmcnt(0)
	v_add_f64 v[7:8], v[12:13], v[10:11]
	ds_write_b64 v9, v[7:8]
.LBB503_31:
	s_or_b64 exec, exec, s[0:1]
	v_cmp_gt_u32_e32 vcc, 48, v0
	s_waitcnt lgkmcnt(0)
	s_barrier
	s_and_saveexec_b64 s[0:1], vcc
	s_cbranch_execz .LBB503_33
; %bb.32:
	ds_read2_b64 v[10:13], v9 offset1:48
	s_waitcnt lgkmcnt(0)
	v_add_f64 v[7:8], v[12:13], v[10:11]
	ds_write_b64 v9, v[7:8]
.LBB503_33:
	s_or_b64 exec, exec, s[0:1]
	v_cmp_gt_u32_e32 vcc, 24, v0
	s_waitcnt lgkmcnt(0)
	s_and_saveexec_b64 s[0:1], vcc
	s_cbranch_execz .LBB503_35
; %bb.34:
	ds_read2_b64 v[5:8], v9 offset1:24
	s_waitcnt lgkmcnt(0)
	v_add_f64 v[5:6], v[5:6], v[7:8]
.LBB503_35:
	s_or_b64 exec, exec, s[0:1]
	v_mov_b32_e32 v8, v6
	v_mov_b32_e32 v7, v5
.LBB503_36:
	v_cmp_gt_u32_e32 vcc, 24, v0
	s_and_b64 exec, exec, vcc
	s_cbranch_execz .LBB503_41
; %bb.37:
	v_cmp_eq_f64_e32 vcc, 0, v[1:2]
	v_mul_f64 v[3:4], v[3:4], v[7:8]
	s_and_saveexec_b64 s[0:1], vcc
	s_xor_b64 s[0:1], exec, s[0:1]
	s_cbranch_execz .LBB503_39
; %bb.38:
	v_mad_u64_u32 v[0:1], s[2:3], s6, 24, v[0:1]
	v_mov_b32_e32 v1, 0
	v_mov_b32_e32 v2, s13
	v_lshlrev_b64 v[0:1], 3, v[0:1]
	v_add_co_u32_e32 v0, vcc, s12, v0
	v_addc_co_u32_e32 v1, vcc, v2, v1, vcc
	global_store_dwordx2 v[0:1], v[3:4], off
                                        ; implicit-def: $vgpr0
                                        ; implicit-def: $vgpr1_vgpr2
                                        ; implicit-def: $vgpr3_vgpr4
.LBB503_39:
	s_andn2_saveexec_b64 s[0:1], s[0:1]
	s_cbranch_execz .LBB503_41
; %bb.40:
	v_mad_u64_u32 v[5:6], s[0:1], s6, 24, v[0:1]
	v_mov_b32_e32 v6, 0
	v_mov_b32_e32 v0, s13
	v_lshlrev_b64 v[5:6], 3, v[5:6]
	v_add_co_u32_e32 v5, vcc, s12, v5
	v_addc_co_u32_e32 v6, vcc, v0, v6, vcc
	global_load_dwordx2 v[7:8], v[5:6], off
	s_waitcnt vmcnt(0)
	v_fma_f64 v[0:1], v[1:2], v[7:8], v[3:4]
	global_store_dwordx2 v[5:6], v[0:1], off
.LBB503_41:
	s_endpgm
	.section	.rodata,"a",@progbits
	.p2align	6, 0x0
	.amdhsa_kernel _ZN9rocsparseL20bsrxmvn_17_32_kernelILj24EdlifddEEvT2_20rocsparse_direction_NS_24const_host_device_scalarIT0_EES1_PKS1_PKT1_SA_S7_PKT3_PKT4_S5_PT5_21rocsparse_index_base_b
		.amdhsa_group_segment_fixed_size 4608
		.amdhsa_private_segment_fixed_size 0
		.amdhsa_kernarg_size 96
		.amdhsa_user_sgpr_count 6
		.amdhsa_user_sgpr_private_segment_buffer 1
		.amdhsa_user_sgpr_dispatch_ptr 0
		.amdhsa_user_sgpr_queue_ptr 0
		.amdhsa_user_sgpr_kernarg_segment_ptr 1
		.amdhsa_user_sgpr_dispatch_id 0
		.amdhsa_user_sgpr_flat_scratch_init 0
		.amdhsa_user_sgpr_private_segment_size 0
		.amdhsa_uses_dynamic_stack 0
		.amdhsa_system_sgpr_private_segment_wavefront_offset 0
		.amdhsa_system_sgpr_workgroup_id_x 1
		.amdhsa_system_sgpr_workgroup_id_y 0
		.amdhsa_system_sgpr_workgroup_id_z 0
		.amdhsa_system_sgpr_workgroup_info 0
		.amdhsa_system_vgpr_workitem_id 0
		.amdhsa_next_free_vgpr 25
		.amdhsa_next_free_sgpr 61
		.amdhsa_reserve_vcc 1
		.amdhsa_reserve_flat_scratch 0
		.amdhsa_float_round_mode_32 0
		.amdhsa_float_round_mode_16_64 0
		.amdhsa_float_denorm_mode_32 3
		.amdhsa_float_denorm_mode_16_64 3
		.amdhsa_dx10_clamp 1
		.amdhsa_ieee_mode 1
		.amdhsa_fp16_overflow 0
		.amdhsa_exception_fp_ieee_invalid_op 0
		.amdhsa_exception_fp_denorm_src 0
		.amdhsa_exception_fp_ieee_div_zero 0
		.amdhsa_exception_fp_ieee_overflow 0
		.amdhsa_exception_fp_ieee_underflow 0
		.amdhsa_exception_fp_ieee_inexact 0
		.amdhsa_exception_int_div_zero 0
	.end_amdhsa_kernel
	.section	.text._ZN9rocsparseL20bsrxmvn_17_32_kernelILj24EdlifddEEvT2_20rocsparse_direction_NS_24const_host_device_scalarIT0_EES1_PKS1_PKT1_SA_S7_PKT3_PKT4_S5_PT5_21rocsparse_index_base_b,"axG",@progbits,_ZN9rocsparseL20bsrxmvn_17_32_kernelILj24EdlifddEEvT2_20rocsparse_direction_NS_24const_host_device_scalarIT0_EES1_PKS1_PKT1_SA_S7_PKT3_PKT4_S5_PT5_21rocsparse_index_base_b,comdat
.Lfunc_end503:
	.size	_ZN9rocsparseL20bsrxmvn_17_32_kernelILj24EdlifddEEvT2_20rocsparse_direction_NS_24const_host_device_scalarIT0_EES1_PKS1_PKT1_SA_S7_PKT3_PKT4_S5_PT5_21rocsparse_index_base_b, .Lfunc_end503-_ZN9rocsparseL20bsrxmvn_17_32_kernelILj24EdlifddEEvT2_20rocsparse_direction_NS_24const_host_device_scalarIT0_EES1_PKS1_PKT1_SA_S7_PKT3_PKT4_S5_PT5_21rocsparse_index_base_b
                                        ; -- End function
	.set _ZN9rocsparseL20bsrxmvn_17_32_kernelILj24EdlifddEEvT2_20rocsparse_direction_NS_24const_host_device_scalarIT0_EES1_PKS1_PKT1_SA_S7_PKT3_PKT4_S5_PT5_21rocsparse_index_base_b.num_vgpr, 20
	.set _ZN9rocsparseL20bsrxmvn_17_32_kernelILj24EdlifddEEvT2_20rocsparse_direction_NS_24const_host_device_scalarIT0_EES1_PKS1_PKT1_SA_S7_PKT3_PKT4_S5_PT5_21rocsparse_index_base_b.num_agpr, 0
	.set _ZN9rocsparseL20bsrxmvn_17_32_kernelILj24EdlifddEEvT2_20rocsparse_direction_NS_24const_host_device_scalarIT0_EES1_PKS1_PKT1_SA_S7_PKT3_PKT4_S5_PT5_21rocsparse_index_base_b.numbered_sgpr, 22
	.set _ZN9rocsparseL20bsrxmvn_17_32_kernelILj24EdlifddEEvT2_20rocsparse_direction_NS_24const_host_device_scalarIT0_EES1_PKS1_PKT1_SA_S7_PKT3_PKT4_S5_PT5_21rocsparse_index_base_b.num_named_barrier, 0
	.set _ZN9rocsparseL20bsrxmvn_17_32_kernelILj24EdlifddEEvT2_20rocsparse_direction_NS_24const_host_device_scalarIT0_EES1_PKS1_PKT1_SA_S7_PKT3_PKT4_S5_PT5_21rocsparse_index_base_b.private_seg_size, 0
	.set _ZN9rocsparseL20bsrxmvn_17_32_kernelILj24EdlifddEEvT2_20rocsparse_direction_NS_24const_host_device_scalarIT0_EES1_PKS1_PKT1_SA_S7_PKT3_PKT4_S5_PT5_21rocsparse_index_base_b.uses_vcc, 1
	.set _ZN9rocsparseL20bsrxmvn_17_32_kernelILj24EdlifddEEvT2_20rocsparse_direction_NS_24const_host_device_scalarIT0_EES1_PKS1_PKT1_SA_S7_PKT3_PKT4_S5_PT5_21rocsparse_index_base_b.uses_flat_scratch, 0
	.set _ZN9rocsparseL20bsrxmvn_17_32_kernelILj24EdlifddEEvT2_20rocsparse_direction_NS_24const_host_device_scalarIT0_EES1_PKS1_PKT1_SA_S7_PKT3_PKT4_S5_PT5_21rocsparse_index_base_b.has_dyn_sized_stack, 0
	.set _ZN9rocsparseL20bsrxmvn_17_32_kernelILj24EdlifddEEvT2_20rocsparse_direction_NS_24const_host_device_scalarIT0_EES1_PKS1_PKT1_SA_S7_PKT3_PKT4_S5_PT5_21rocsparse_index_base_b.has_recursion, 0
	.set _ZN9rocsparseL20bsrxmvn_17_32_kernelILj24EdlifddEEvT2_20rocsparse_direction_NS_24const_host_device_scalarIT0_EES1_PKS1_PKT1_SA_S7_PKT3_PKT4_S5_PT5_21rocsparse_index_base_b.has_indirect_call, 0
	.section	.AMDGPU.csdata,"",@progbits
; Kernel info:
; codeLenInByte = 1400
; TotalNumSgprs: 26
; NumVgprs: 20
; ScratchSize: 0
; MemoryBound: 0
; FloatMode: 240
; IeeeMode: 1
; LDSByteSize: 4608 bytes/workgroup (compile time only)
; SGPRBlocks: 8
; VGPRBlocks: 6
; NumSGPRsForWavesPerEU: 65
; NumVGPRsForWavesPerEU: 25
; Occupancy: 9
; WaveLimiterHint : 1
; COMPUTE_PGM_RSRC2:SCRATCH_EN: 0
; COMPUTE_PGM_RSRC2:USER_SGPR: 6
; COMPUTE_PGM_RSRC2:TRAP_HANDLER: 0
; COMPUTE_PGM_RSRC2:TGID_X_EN: 1
; COMPUTE_PGM_RSRC2:TGID_Y_EN: 0
; COMPUTE_PGM_RSRC2:TGID_Z_EN: 0
; COMPUTE_PGM_RSRC2:TIDIG_COMP_CNT: 0
	.section	.text._ZN9rocsparseL20bsrxmvn_17_32_kernelILj25EdlifddEEvT2_20rocsparse_direction_NS_24const_host_device_scalarIT0_EES1_PKS1_PKT1_SA_S7_PKT3_PKT4_S5_PT5_21rocsparse_index_base_b,"axG",@progbits,_ZN9rocsparseL20bsrxmvn_17_32_kernelILj25EdlifddEEvT2_20rocsparse_direction_NS_24const_host_device_scalarIT0_EES1_PKS1_PKT1_SA_S7_PKT3_PKT4_S5_PT5_21rocsparse_index_base_b,comdat
	.globl	_ZN9rocsparseL20bsrxmvn_17_32_kernelILj25EdlifddEEvT2_20rocsparse_direction_NS_24const_host_device_scalarIT0_EES1_PKS1_PKT1_SA_S7_PKT3_PKT4_S5_PT5_21rocsparse_index_base_b ; -- Begin function _ZN9rocsparseL20bsrxmvn_17_32_kernelILj25EdlifddEEvT2_20rocsparse_direction_NS_24const_host_device_scalarIT0_EES1_PKS1_PKT1_SA_S7_PKT3_PKT4_S5_PT5_21rocsparse_index_base_b
	.p2align	8
	.type	_ZN9rocsparseL20bsrxmvn_17_32_kernelILj25EdlifddEEvT2_20rocsparse_direction_NS_24const_host_device_scalarIT0_EES1_PKS1_PKT1_SA_S7_PKT3_PKT4_S5_PT5_21rocsparse_index_base_b,@function
_ZN9rocsparseL20bsrxmvn_17_32_kernelILj25EdlifddEEvT2_20rocsparse_direction_NS_24const_host_device_scalarIT0_EES1_PKS1_PKT1_SA_S7_PKT3_PKT4_S5_PT5_21rocsparse_index_base_b: ; @_ZN9rocsparseL20bsrxmvn_17_32_kernelILj25EdlifddEEvT2_20rocsparse_direction_NS_24const_host_device_scalarIT0_EES1_PKS1_PKT1_SA_S7_PKT3_PKT4_S5_PT5_21rocsparse_index_base_b
; %bb.0:
	s_load_dwordx2 s[14:15], s[4:5], 0x58
	s_load_dwordx2 s[8:9], s[4:5], 0x8
	;; [unrolled: 1-line block ×3, first 2 shown]
	s_waitcnt lgkmcnt(0)
	s_bitcmp1_b32 s15, 0
	s_cselect_b64 s[10:11], -1, 0
	v_mov_b32_e32 v3, s8
	s_xor_b64 s[2:3], s[10:11], -1
	s_and_b64 vcc, exec, s[10:11]
	v_mov_b32_e32 v4, s9
	s_cbranch_vccnz .LBB504_2
; %bb.1:
	v_mov_b32_e32 v1, s8
	v_mov_b32_e32 v2, s9
	flat_load_dwordx2 v[3:4], v[1:2]
.LBB504_2:
	v_mov_b32_e32 v2, s1
	s_andn2_b64 vcc, exec, s[2:3]
	v_mov_b32_e32 v1, s0
	s_cbranch_vccnz .LBB504_4
; %bb.3:
	v_mov_b32_e32 v2, s1
	v_mov_b32_e32 v1, s0
	flat_load_dwordx2 v[1:2], v[1:2]
.LBB504_4:
	s_waitcnt vmcnt(0) lgkmcnt(0)
	v_cmp_neq_f64_e32 vcc, 0, v[3:4]
	v_cmp_neq_f64_e64 s[0:1], 1.0, v[1:2]
	s_or_b64 s[0:1], vcc, s[0:1]
	s_and_saveexec_b64 s[2:3], s[0:1]
	s_cbranch_execz .LBB504_41
; %bb.5:
	s_load_dwordx4 s[0:3], s[4:5], 0x18
	s_load_dwordx2 s[8:9], s[4:5], 0x28
	s_waitcnt lgkmcnt(0)
	s_cmp_eq_u64 s[0:1], 0
	s_cbranch_scc1 .LBB504_7
; %bb.6:
	s_ashr_i32 s7, s6, 31
	s_lshl_b64 s[6:7], s[6:7], 2
	s_add_u32 s0, s0, s6
	s_addc_u32 s1, s1, s7
	s_load_dword s0, s[0:1], 0x0
	s_waitcnt lgkmcnt(0)
	s_sub_i32 s6, s0, s14
.LBB504_7:
	s_load_dword s7, s[4:5], 0x4
	s_load_dwordx2 s[12:13], s[4:5], 0x50
	v_mul_u32_u24_e32 v7, 0xa3e, v0
	v_mov_b32_e32 v5, 25
	v_mul_lo_u16_sdwa v5, v7, v5 dst_sel:DWORD dst_unused:UNUSED_PAD src0_sel:WORD_1 src1_sel:DWORD
	s_waitcnt lgkmcnt(0)
	s_cmp_eq_u32 s7, 1
	s_cselect_b64 s[0:1], -1, 0
	s_cmp_lg_u32 s7, 1
	s_cselect_b64 s[16:17], -1, 0
	s_ashr_i32 s7, s6, 31
	s_lshl_b64 s[10:11], s[6:7], 3
	s_add_u32 s2, s2, s10
	s_addc_u32 s3, s3, s11
	s_add_u32 s7, s2, 8
	s_addc_u32 s15, s3, 0
	;; [unrolled: 2-line block ×3, first 2 shown]
	s_cmp_eq_u64 s[8:9], 0
	s_cselect_b32 s9, s15, s11
	s_cselect_b32 s8, s7, s10
	s_load_dwordx2 s[18:19], s[8:9], 0x0
	s_load_dwordx2 s[20:21], s[2:3], 0x0
	v_sub_u16_e32 v14, v0, v5
	s_waitcnt lgkmcnt(0)
	v_mov_b32_e32 v5, s18
	v_mov_b32_e32 v6, s19
	v_cmp_ge_i64_e32 vcc, s[20:21], v[5:6]
	v_mov_b32_e32 v5, 0
	v_mov_b32_e32 v6, 0
	s_cbranch_vccnz .LBB504_12
; %bb.8:
	s_load_dwordx4 s[8:11], s[4:5], 0x30
	s_load_dwordx2 s[2:3], s[4:5], 0x40
	s_sub_u32 s4, s18, s14
	s_mov_b32 s7, 0xffff
	s_subb_u32 s5, s19, 0
	s_movk_i32 s15, 0x271
	v_and_b32_sdwa v5, s7, v7 dst_sel:DWORD dst_unused:UNUSED_PAD src0_sel:DWORD src1_sel:WORD_1
	v_subrev_u32_e32 v6, 25, v5
	v_cmp_gt_u32_e32 vcc, s15, v0
	s_sub_u32 s18, s20, s14
	v_cndmask_b32_e32 v5, v6, v5, vcc
	s_subb_u32 s19, s21, 0
	v_cndmask_b32_e64 v7, v14, v5, s[0:1]
	s_mul_i32 s0, s19, 0x9c4
	s_mul_hi_u32 s1, s18, 0x9c4
	s_add_i32 s1, s1, s0
	s_mul_i32 s0, s18, 0x9c4
	s_waitcnt lgkmcnt(0)
	s_add_u32 s0, s10, s0
	s_addc_u32 s1, s11, s1
	v_lshlrev_b32_e32 v5, 2, v0
	v_mov_b32_e32 v6, s1
	v_add_co_u32_e32 v8, vcc, s0, v5
	v_addc_co_u32_e32 v9, vcc, 0, v6, vcc
	s_movk_i32 s0, 0x270
	v_cmp_lt_u32_e32 vcc, s0, v0
	v_cndmask_b32_e64 v15, 0, 1, vcc
	v_mov_b32_e32 v5, s21
	v_add_co_u32_e32 v6, vcc, s20, v15
	v_addc_co_u32_e32 v10, vcc, 0, v5, vcc
	v_subrev_co_u32_e32 v5, vcc, s14, v6
	v_subbrev_co_u32_e32 v6, vcc, 0, v10, vcc
	v_lshlrev_b64 v[5:6], 2, v[5:6]
	v_mov_b32_e32 v11, s9
	v_add_co_u32_e32 v10, vcc, s8, v5
	v_addc_co_u32_e32 v11, vcc, v11, v6, vcc
	v_mov_b32_e32 v5, 0
	v_mov_b32_e32 v13, s5
	v_mov_b32_e32 v6, 0
	v_mov_b32_e32 v12, s4
	s_branch .LBB504_10
.LBB504_9:                              ;   in Loop: Header=BB504_10 Depth=1
	s_or_b64 exec, exec, s[0:1]
	s_add_u32 s18, s18, 1
	s_addc_u32 s19, s19, 0
	v_cmp_lt_i64_e32 vcc, s[18:19], v[12:13]
	v_add_co_u32_e64 v10, s[0:1], 4, v10
	v_addc_co_u32_e64 v11, s[0:1], 0, v11, s[0:1]
	s_cbranch_vccz .LBB504_12
.LBB504_10:                             ; =>This Inner Loop Header: Depth=1
	v_mov_b32_e32 v17, s19
	v_add_co_u32_e32 v16, vcc, s18, v15
	v_addc_co_u32_e32 v17, vcc, 0, v17, vcc
	v_cmp_gt_i64_e32 vcc, s[4:5], v[16:17]
	s_and_saveexec_b64 s[0:1], vcc
	s_cbranch_execz .LBB504_9
; %bb.11:                               ;   in Loop: Header=BB504_10 Depth=1
	global_load_dword v16, v[10:11], off
	global_load_dword v18, v[8:9], off
	v_mov_b32_e32 v19, s3
	s_waitcnt vmcnt(1)
	v_subrev_u32_e32 v16, s14, v16
	v_mad_u64_u32 v[16:17], s[8:9], v16, 25, v[7:8]
	v_ashrrev_i32_e32 v17, 31, v16
	v_lshlrev_b64 v[16:17], 3, v[16:17]
	v_add_co_u32_e32 v16, vcc, s2, v16
	v_addc_co_u32_e32 v17, vcc, v19, v17, vcc
	global_load_dwordx2 v[16:17], v[16:17], off
	s_waitcnt vmcnt(1)
	v_cvt_f64_f32_e32 v[18:19], v18
	v_add_co_u32_e32 v8, vcc, 0x9c4, v8
	v_addc_co_u32_e32 v9, vcc, 0, v9, vcc
	s_waitcnt vmcnt(0)
	v_fma_f64 v[5:6], v[18:19], v[16:17], v[5:6]
	s_branch .LBB504_9
.LBB504_12:
	v_lshlrev_b32_e32 v9, 3, v0
	s_and_b64 vcc, exec, s[16:17]
	ds_write_b64 v9, v[5:6]
	s_waitcnt lgkmcnt(0)
	s_barrier
	s_cbranch_vccz .LBB504_24
; %bb.13:
	v_cmp_gt_u16_e32 vcc, 9, v14
	s_and_saveexec_b64 s[0:1], vcc
	s_cbranch_execz .LBB504_15
; %bb.14:
	ds_read2_b64 v[10:13], v9 offset1:16
	s_waitcnt lgkmcnt(0)
	v_add_f64 v[7:8], v[12:13], v[10:11]
	ds_write_b64 v9, v[7:8]
.LBB504_15:
	s_or_b64 exec, exec, s[0:1]
	v_cmp_gt_u16_e32 vcc, 8, v14
	s_waitcnt lgkmcnt(0)
	s_barrier
	s_and_saveexec_b64 s[0:1], vcc
	s_cbranch_execz .LBB504_17
; %bb.16:
	ds_read2_b64 v[10:13], v9 offset1:8
	s_waitcnt lgkmcnt(0)
	v_add_f64 v[7:8], v[12:13], v[10:11]
	ds_write_b64 v9, v[7:8]
.LBB504_17:
	s_or_b64 exec, exec, s[0:1]
	v_cmp_gt_u16_e32 vcc, 4, v14
	s_waitcnt lgkmcnt(0)
	s_barrier
	;; [unrolled: 12-line block ×3, first 2 shown]
	s_and_saveexec_b64 s[0:1], vcc
	s_cbranch_execz .LBB504_21
; %bb.20:
	ds_read2_b64 v[10:13], v9 offset1:2
	s_waitcnt lgkmcnt(0)
	v_add_f64 v[7:8], v[12:13], v[10:11]
	ds_write_b64 v9, v[7:8]
.LBB504_21:
	s_or_b64 exec, exec, s[0:1]
	v_mov_b32_e32 v8, v6
	v_cmp_gt_u32_e32 vcc, 25, v0
	v_mov_b32_e32 v7, v5
	s_waitcnt lgkmcnt(0)
	s_barrier
	s_and_saveexec_b64 s[0:1], vcc
	s_cbranch_execz .LBB504_23
; %bb.22:
	s_movk_i32 s2, 0xc0
	v_mad_u32_u24 v7, v0, s2, v9
	ds_read2_b64 v[10:13], v7 offset1:1
	s_waitcnt lgkmcnt(0)
	v_add_f64 v[7:8], v[10:11], v[12:13]
.LBB504_23:
	s_or_b64 exec, exec, s[0:1]
	s_branch .LBB504_36
.LBB504_24:
                                        ; implicit-def: $vgpr7_vgpr8
	s_cbranch_execz .LBB504_36
; %bb.25:
	s_movk_i32 s0, 0xe1
	v_cmp_gt_u32_e32 vcc, s0, v0
	s_and_saveexec_b64 s[0:1], vcc
	s_cbranch_execz .LBB504_27
; %bb.26:
	ds_read_b64 v[7:8], v9 offset:3200
	ds_read_b64 v[10:11], v9
	s_waitcnt lgkmcnt(0)
	v_add_f64 v[7:8], v[7:8], v[10:11]
	ds_write_b64 v9, v[7:8]
.LBB504_27:
	s_or_b64 exec, exec, s[0:1]
	s_movk_i32 s0, 0xc8
	v_cmp_gt_u32_e32 vcc, s0, v0
	s_waitcnt lgkmcnt(0)
	s_barrier
	s_and_saveexec_b64 s[0:1], vcc
	s_cbranch_execz .LBB504_29
; %bb.28:
	ds_read2_b64 v[10:13], v9 offset1:200
	s_waitcnt lgkmcnt(0)
	v_add_f64 v[7:8], v[12:13], v[10:11]
	ds_write_b64 v9, v[7:8]
.LBB504_29:
	s_or_b64 exec, exec, s[0:1]
	s_movk_i32 s0, 0x64
	v_cmp_gt_u32_e32 vcc, s0, v0
	s_waitcnt lgkmcnt(0)
	s_barrier
	s_and_saveexec_b64 s[0:1], vcc
	s_cbranch_execz .LBB504_31
; %bb.30:
	ds_read2_b64 v[10:13], v9 offset1:100
	s_waitcnt lgkmcnt(0)
	v_add_f64 v[7:8], v[12:13], v[10:11]
	ds_write_b64 v9, v[7:8]
.LBB504_31:
	s_or_b64 exec, exec, s[0:1]
	v_cmp_gt_u32_e32 vcc, 50, v0
	s_waitcnt lgkmcnt(0)
	s_barrier
	s_and_saveexec_b64 s[0:1], vcc
	s_cbranch_execz .LBB504_33
; %bb.32:
	ds_read2_b64 v[10:13], v9 offset1:50
	s_waitcnt lgkmcnt(0)
	v_add_f64 v[7:8], v[12:13], v[10:11]
	ds_write_b64 v9, v[7:8]
.LBB504_33:
	s_or_b64 exec, exec, s[0:1]
	v_cmp_gt_u32_e32 vcc, 25, v0
	s_waitcnt lgkmcnt(0)
	s_and_saveexec_b64 s[0:1], vcc
	s_cbranch_execz .LBB504_35
; %bb.34:
	ds_read2_b64 v[5:8], v9 offset1:25
	s_waitcnt lgkmcnt(0)
	v_add_f64 v[5:6], v[5:6], v[7:8]
.LBB504_35:
	s_or_b64 exec, exec, s[0:1]
	v_mov_b32_e32 v8, v6
	v_mov_b32_e32 v7, v5
.LBB504_36:
	v_cmp_gt_u32_e32 vcc, 25, v0
	s_and_b64 exec, exec, vcc
	s_cbranch_execz .LBB504_41
; %bb.37:
	v_cmp_eq_f64_e32 vcc, 0, v[1:2]
	v_mul_f64 v[3:4], v[3:4], v[7:8]
	s_and_saveexec_b64 s[0:1], vcc
	s_xor_b64 s[0:1], exec, s[0:1]
	s_cbranch_execz .LBB504_39
; %bb.38:
	v_mad_u64_u32 v[0:1], s[2:3], s6, 25, v[0:1]
	v_mov_b32_e32 v1, 0
	v_mov_b32_e32 v2, s13
	v_lshlrev_b64 v[0:1], 3, v[0:1]
	v_add_co_u32_e32 v0, vcc, s12, v0
	v_addc_co_u32_e32 v1, vcc, v2, v1, vcc
	global_store_dwordx2 v[0:1], v[3:4], off
                                        ; implicit-def: $vgpr0
                                        ; implicit-def: $vgpr1_vgpr2
                                        ; implicit-def: $vgpr3_vgpr4
.LBB504_39:
	s_andn2_saveexec_b64 s[0:1], s[0:1]
	s_cbranch_execz .LBB504_41
; %bb.40:
	v_mad_u64_u32 v[5:6], s[0:1], s6, 25, v[0:1]
	v_mov_b32_e32 v6, 0
	v_mov_b32_e32 v0, s13
	v_lshlrev_b64 v[5:6], 3, v[5:6]
	v_add_co_u32_e32 v5, vcc, s12, v5
	v_addc_co_u32_e32 v6, vcc, v0, v6, vcc
	global_load_dwordx2 v[7:8], v[5:6], off
	s_waitcnt vmcnt(0)
	v_fma_f64 v[0:1], v[1:2], v[7:8], v[3:4]
	global_store_dwordx2 v[5:6], v[0:1], off
.LBB504_41:
	s_endpgm
	.section	.rodata,"a",@progbits
	.p2align	6, 0x0
	.amdhsa_kernel _ZN9rocsparseL20bsrxmvn_17_32_kernelILj25EdlifddEEvT2_20rocsparse_direction_NS_24const_host_device_scalarIT0_EES1_PKS1_PKT1_SA_S7_PKT3_PKT4_S5_PT5_21rocsparse_index_base_b
		.amdhsa_group_segment_fixed_size 5000
		.amdhsa_private_segment_fixed_size 0
		.amdhsa_kernarg_size 96
		.amdhsa_user_sgpr_count 6
		.amdhsa_user_sgpr_private_segment_buffer 1
		.amdhsa_user_sgpr_dispatch_ptr 0
		.amdhsa_user_sgpr_queue_ptr 0
		.amdhsa_user_sgpr_kernarg_segment_ptr 1
		.amdhsa_user_sgpr_dispatch_id 0
		.amdhsa_user_sgpr_flat_scratch_init 0
		.amdhsa_user_sgpr_private_segment_size 0
		.amdhsa_uses_dynamic_stack 0
		.amdhsa_system_sgpr_private_segment_wavefront_offset 0
		.amdhsa_system_sgpr_workgroup_id_x 1
		.amdhsa_system_sgpr_workgroup_id_y 0
		.amdhsa_system_sgpr_workgroup_id_z 0
		.amdhsa_system_sgpr_workgroup_info 0
		.amdhsa_system_vgpr_workitem_id 0
		.amdhsa_next_free_vgpr 20
		.amdhsa_next_free_sgpr 22
		.amdhsa_reserve_vcc 1
		.amdhsa_reserve_flat_scratch 0
		.amdhsa_float_round_mode_32 0
		.amdhsa_float_round_mode_16_64 0
		.amdhsa_float_denorm_mode_32 3
		.amdhsa_float_denorm_mode_16_64 3
		.amdhsa_dx10_clamp 1
		.amdhsa_ieee_mode 1
		.amdhsa_fp16_overflow 0
		.amdhsa_exception_fp_ieee_invalid_op 0
		.amdhsa_exception_fp_denorm_src 0
		.amdhsa_exception_fp_ieee_div_zero 0
		.amdhsa_exception_fp_ieee_overflow 0
		.amdhsa_exception_fp_ieee_underflow 0
		.amdhsa_exception_fp_ieee_inexact 0
		.amdhsa_exception_int_div_zero 0
	.end_amdhsa_kernel
	.section	.text._ZN9rocsparseL20bsrxmvn_17_32_kernelILj25EdlifddEEvT2_20rocsparse_direction_NS_24const_host_device_scalarIT0_EES1_PKS1_PKT1_SA_S7_PKT3_PKT4_S5_PT5_21rocsparse_index_base_b,"axG",@progbits,_ZN9rocsparseL20bsrxmvn_17_32_kernelILj25EdlifddEEvT2_20rocsparse_direction_NS_24const_host_device_scalarIT0_EES1_PKS1_PKT1_SA_S7_PKT3_PKT4_S5_PT5_21rocsparse_index_base_b,comdat
.Lfunc_end504:
	.size	_ZN9rocsparseL20bsrxmvn_17_32_kernelILj25EdlifddEEvT2_20rocsparse_direction_NS_24const_host_device_scalarIT0_EES1_PKS1_PKT1_SA_S7_PKT3_PKT4_S5_PT5_21rocsparse_index_base_b, .Lfunc_end504-_ZN9rocsparseL20bsrxmvn_17_32_kernelILj25EdlifddEEvT2_20rocsparse_direction_NS_24const_host_device_scalarIT0_EES1_PKS1_PKT1_SA_S7_PKT3_PKT4_S5_PT5_21rocsparse_index_base_b
                                        ; -- End function
	.set _ZN9rocsparseL20bsrxmvn_17_32_kernelILj25EdlifddEEvT2_20rocsparse_direction_NS_24const_host_device_scalarIT0_EES1_PKS1_PKT1_SA_S7_PKT3_PKT4_S5_PT5_21rocsparse_index_base_b.num_vgpr, 20
	.set _ZN9rocsparseL20bsrxmvn_17_32_kernelILj25EdlifddEEvT2_20rocsparse_direction_NS_24const_host_device_scalarIT0_EES1_PKS1_PKT1_SA_S7_PKT3_PKT4_S5_PT5_21rocsparse_index_base_b.num_agpr, 0
	.set _ZN9rocsparseL20bsrxmvn_17_32_kernelILj25EdlifddEEvT2_20rocsparse_direction_NS_24const_host_device_scalarIT0_EES1_PKS1_PKT1_SA_S7_PKT3_PKT4_S5_PT5_21rocsparse_index_base_b.numbered_sgpr, 22
	.set _ZN9rocsparseL20bsrxmvn_17_32_kernelILj25EdlifddEEvT2_20rocsparse_direction_NS_24const_host_device_scalarIT0_EES1_PKS1_PKT1_SA_S7_PKT3_PKT4_S5_PT5_21rocsparse_index_base_b.num_named_barrier, 0
	.set _ZN9rocsparseL20bsrxmvn_17_32_kernelILj25EdlifddEEvT2_20rocsparse_direction_NS_24const_host_device_scalarIT0_EES1_PKS1_PKT1_SA_S7_PKT3_PKT4_S5_PT5_21rocsparse_index_base_b.private_seg_size, 0
	.set _ZN9rocsparseL20bsrxmvn_17_32_kernelILj25EdlifddEEvT2_20rocsparse_direction_NS_24const_host_device_scalarIT0_EES1_PKS1_PKT1_SA_S7_PKT3_PKT4_S5_PT5_21rocsparse_index_base_b.uses_vcc, 1
	.set _ZN9rocsparseL20bsrxmvn_17_32_kernelILj25EdlifddEEvT2_20rocsparse_direction_NS_24const_host_device_scalarIT0_EES1_PKS1_PKT1_SA_S7_PKT3_PKT4_S5_PT5_21rocsparse_index_base_b.uses_flat_scratch, 0
	.set _ZN9rocsparseL20bsrxmvn_17_32_kernelILj25EdlifddEEvT2_20rocsparse_direction_NS_24const_host_device_scalarIT0_EES1_PKS1_PKT1_SA_S7_PKT3_PKT4_S5_PT5_21rocsparse_index_base_b.has_dyn_sized_stack, 0
	.set _ZN9rocsparseL20bsrxmvn_17_32_kernelILj25EdlifddEEvT2_20rocsparse_direction_NS_24const_host_device_scalarIT0_EES1_PKS1_PKT1_SA_S7_PKT3_PKT4_S5_PT5_21rocsparse_index_base_b.has_recursion, 0
	.set _ZN9rocsparseL20bsrxmvn_17_32_kernelILj25EdlifddEEvT2_20rocsparse_direction_NS_24const_host_device_scalarIT0_EES1_PKS1_PKT1_SA_S7_PKT3_PKT4_S5_PT5_21rocsparse_index_base_b.has_indirect_call, 0
	.section	.AMDGPU.csdata,"",@progbits
; Kernel info:
; codeLenInByte = 1420
; TotalNumSgprs: 26
; NumVgprs: 20
; ScratchSize: 0
; MemoryBound: 0
; FloatMode: 240
; IeeeMode: 1
; LDSByteSize: 5000 bytes/workgroup (compile time only)
; SGPRBlocks: 3
; VGPRBlocks: 4
; NumSGPRsForWavesPerEU: 26
; NumVGPRsForWavesPerEU: 20
; Occupancy: 10
; WaveLimiterHint : 1
; COMPUTE_PGM_RSRC2:SCRATCH_EN: 0
; COMPUTE_PGM_RSRC2:USER_SGPR: 6
; COMPUTE_PGM_RSRC2:TRAP_HANDLER: 0
; COMPUTE_PGM_RSRC2:TGID_X_EN: 1
; COMPUTE_PGM_RSRC2:TGID_Y_EN: 0
; COMPUTE_PGM_RSRC2:TGID_Z_EN: 0
; COMPUTE_PGM_RSRC2:TIDIG_COMP_CNT: 0
	.section	.text._ZN9rocsparseL20bsrxmvn_17_32_kernelILj26EdlifddEEvT2_20rocsparse_direction_NS_24const_host_device_scalarIT0_EES1_PKS1_PKT1_SA_S7_PKT3_PKT4_S5_PT5_21rocsparse_index_base_b,"axG",@progbits,_ZN9rocsparseL20bsrxmvn_17_32_kernelILj26EdlifddEEvT2_20rocsparse_direction_NS_24const_host_device_scalarIT0_EES1_PKS1_PKT1_SA_S7_PKT3_PKT4_S5_PT5_21rocsparse_index_base_b,comdat
	.globl	_ZN9rocsparseL20bsrxmvn_17_32_kernelILj26EdlifddEEvT2_20rocsparse_direction_NS_24const_host_device_scalarIT0_EES1_PKS1_PKT1_SA_S7_PKT3_PKT4_S5_PT5_21rocsparse_index_base_b ; -- Begin function _ZN9rocsparseL20bsrxmvn_17_32_kernelILj26EdlifddEEvT2_20rocsparse_direction_NS_24const_host_device_scalarIT0_EES1_PKS1_PKT1_SA_S7_PKT3_PKT4_S5_PT5_21rocsparse_index_base_b
	.p2align	8
	.type	_ZN9rocsparseL20bsrxmvn_17_32_kernelILj26EdlifddEEvT2_20rocsparse_direction_NS_24const_host_device_scalarIT0_EES1_PKS1_PKT1_SA_S7_PKT3_PKT4_S5_PT5_21rocsparse_index_base_b,@function
_ZN9rocsparseL20bsrxmvn_17_32_kernelILj26EdlifddEEvT2_20rocsparse_direction_NS_24const_host_device_scalarIT0_EES1_PKS1_PKT1_SA_S7_PKT3_PKT4_S5_PT5_21rocsparse_index_base_b: ; @_ZN9rocsparseL20bsrxmvn_17_32_kernelILj26EdlifddEEvT2_20rocsparse_direction_NS_24const_host_device_scalarIT0_EES1_PKS1_PKT1_SA_S7_PKT3_PKT4_S5_PT5_21rocsparse_index_base_b
; %bb.0:
	s_load_dwordx2 s[14:15], s[4:5], 0x58
	s_load_dwordx2 s[8:9], s[4:5], 0x8
	;; [unrolled: 1-line block ×3, first 2 shown]
	s_waitcnt lgkmcnt(0)
	s_bitcmp1_b32 s15, 0
	s_cselect_b64 s[10:11], -1, 0
	v_mov_b32_e32 v3, s8
	s_xor_b64 s[2:3], s[10:11], -1
	s_and_b64 vcc, exec, s[10:11]
	v_mov_b32_e32 v4, s9
	s_cbranch_vccnz .LBB505_2
; %bb.1:
	v_mov_b32_e32 v1, s8
	v_mov_b32_e32 v2, s9
	flat_load_dwordx2 v[3:4], v[1:2]
.LBB505_2:
	v_mov_b32_e32 v2, s1
	s_andn2_b64 vcc, exec, s[2:3]
	v_mov_b32_e32 v1, s0
	s_cbranch_vccnz .LBB505_4
; %bb.3:
	v_mov_b32_e32 v2, s1
	v_mov_b32_e32 v1, s0
	flat_load_dwordx2 v[1:2], v[1:2]
.LBB505_4:
	s_waitcnt vmcnt(0) lgkmcnt(0)
	v_cmp_neq_f64_e32 vcc, 0, v[3:4]
	v_cmp_neq_f64_e64 s[0:1], 1.0, v[1:2]
	s_or_b64 s[0:1], vcc, s[0:1]
	s_and_saveexec_b64 s[2:3], s[0:1]
	s_cbranch_execz .LBB505_41
; %bb.5:
	s_load_dwordx4 s[0:3], s[4:5], 0x18
	s_load_dwordx2 s[8:9], s[4:5], 0x28
	s_waitcnt lgkmcnt(0)
	s_cmp_eq_u64 s[0:1], 0
	s_cbranch_scc1 .LBB505_7
; %bb.6:
	s_ashr_i32 s7, s6, 31
	s_lshl_b64 s[6:7], s[6:7], 2
	s_add_u32 s0, s0, s6
	s_addc_u32 s1, s1, s7
	s_load_dword s0, s[0:1], 0x0
	s_waitcnt lgkmcnt(0)
	s_sub_i32 s6, s0, s14
.LBB505_7:
	s_load_dword s7, s[4:5], 0x4
	s_load_dwordx2 s[12:13], s[4:5], 0x50
	v_mul_u32_u24_e32 v7, 0x9d9, v0
	v_mov_b32_e32 v5, 26
	v_mul_lo_u16_sdwa v5, v7, v5 dst_sel:DWORD dst_unused:UNUSED_PAD src0_sel:WORD_1 src1_sel:DWORD
	s_waitcnt lgkmcnt(0)
	s_cmp_eq_u32 s7, 1
	s_cselect_b64 s[0:1], -1, 0
	s_cmp_lg_u32 s7, 1
	s_cselect_b64 s[16:17], -1, 0
	s_ashr_i32 s7, s6, 31
	s_lshl_b64 s[10:11], s[6:7], 3
	s_add_u32 s2, s2, s10
	s_addc_u32 s3, s3, s11
	s_add_u32 s7, s2, 8
	s_addc_u32 s15, s3, 0
	;; [unrolled: 2-line block ×3, first 2 shown]
	s_cmp_eq_u64 s[8:9], 0
	s_cselect_b32 s9, s15, s11
	s_cselect_b32 s8, s7, s10
	s_load_dwordx2 s[18:19], s[8:9], 0x0
	s_load_dwordx2 s[20:21], s[2:3], 0x0
	v_sub_u16_e32 v14, v0, v5
	s_waitcnt lgkmcnt(0)
	v_mov_b32_e32 v5, s18
	v_mov_b32_e32 v6, s19
	v_cmp_ge_i64_e32 vcc, s[20:21], v[5:6]
	v_mov_b32_e32 v5, 0
	v_mov_b32_e32 v6, 0
	s_cbranch_vccnz .LBB505_12
; %bb.8:
	s_load_dwordx4 s[8:11], s[4:5], 0x30
	s_load_dwordx2 s[2:3], s[4:5], 0x40
	s_sub_u32 s4, s18, s14
	s_mov_b32 s7, 0xffff
	s_subb_u32 s5, s19, 0
	s_movk_i32 s15, 0x2a4
	v_and_b32_sdwa v5, s7, v7 dst_sel:DWORD dst_unused:UNUSED_PAD src0_sel:DWORD src1_sel:WORD_1
	v_subrev_u32_e32 v6, 26, v5
	v_cmp_gt_u32_e32 vcc, s15, v0
	s_sub_u32 s18, s20, s14
	v_cndmask_b32_e32 v5, v6, v5, vcc
	s_subb_u32 s19, s21, 0
	v_cndmask_b32_e64 v7, v14, v5, s[0:1]
	s_mul_i32 s0, s19, 0xa90
	s_mul_hi_u32 s1, s18, 0xa90
	s_add_i32 s1, s1, s0
	s_mul_i32 s0, s18, 0xa90
	s_waitcnt lgkmcnt(0)
	s_add_u32 s0, s10, s0
	s_addc_u32 s1, s11, s1
	v_lshlrev_b32_e32 v5, 2, v0
	v_mov_b32_e32 v6, s1
	v_add_co_u32_e32 v8, vcc, s0, v5
	v_addc_co_u32_e32 v9, vcc, 0, v6, vcc
	s_movk_i32 s0, 0x2a3
	v_cmp_lt_u32_e32 vcc, s0, v0
	v_cndmask_b32_e64 v15, 0, 1, vcc
	v_mov_b32_e32 v5, s21
	v_add_co_u32_e32 v6, vcc, s20, v15
	v_addc_co_u32_e32 v10, vcc, 0, v5, vcc
	v_subrev_co_u32_e32 v5, vcc, s14, v6
	v_subbrev_co_u32_e32 v6, vcc, 0, v10, vcc
	v_lshlrev_b64 v[5:6], 2, v[5:6]
	v_mov_b32_e32 v11, s9
	v_add_co_u32_e32 v10, vcc, s8, v5
	v_addc_co_u32_e32 v11, vcc, v11, v6, vcc
	v_mov_b32_e32 v5, 0
	v_mov_b32_e32 v13, s5
	v_mov_b32_e32 v6, 0
	v_mov_b32_e32 v12, s4
	s_branch .LBB505_10
.LBB505_9:                              ;   in Loop: Header=BB505_10 Depth=1
	s_or_b64 exec, exec, s[0:1]
	s_add_u32 s18, s18, 1
	s_addc_u32 s19, s19, 0
	v_cmp_lt_i64_e32 vcc, s[18:19], v[12:13]
	v_add_co_u32_e64 v10, s[0:1], 4, v10
	v_addc_co_u32_e64 v11, s[0:1], 0, v11, s[0:1]
	s_cbranch_vccz .LBB505_12
.LBB505_10:                             ; =>This Inner Loop Header: Depth=1
	v_mov_b32_e32 v17, s19
	v_add_co_u32_e32 v16, vcc, s18, v15
	v_addc_co_u32_e32 v17, vcc, 0, v17, vcc
	v_cmp_gt_i64_e32 vcc, s[4:5], v[16:17]
	s_and_saveexec_b64 s[0:1], vcc
	s_cbranch_execz .LBB505_9
; %bb.11:                               ;   in Loop: Header=BB505_10 Depth=1
	global_load_dword v16, v[10:11], off
	global_load_dword v18, v[8:9], off
	v_mov_b32_e32 v19, s3
	s_waitcnt vmcnt(1)
	v_subrev_u32_e32 v16, s14, v16
	v_mad_u64_u32 v[16:17], s[8:9], v16, 26, v[7:8]
	v_ashrrev_i32_e32 v17, 31, v16
	v_lshlrev_b64 v[16:17], 3, v[16:17]
	v_add_co_u32_e32 v16, vcc, s2, v16
	v_addc_co_u32_e32 v17, vcc, v19, v17, vcc
	global_load_dwordx2 v[16:17], v[16:17], off
	s_waitcnt vmcnt(1)
	v_cvt_f64_f32_e32 v[18:19], v18
	v_add_co_u32_e32 v8, vcc, 0xa90, v8
	v_addc_co_u32_e32 v9, vcc, 0, v9, vcc
	s_waitcnt vmcnt(0)
	v_fma_f64 v[5:6], v[18:19], v[16:17], v[5:6]
	s_branch .LBB505_9
.LBB505_12:
	v_lshlrev_b32_e32 v9, 3, v0
	s_and_b64 vcc, exec, s[16:17]
	ds_write_b64 v9, v[5:6]
	s_waitcnt lgkmcnt(0)
	s_barrier
	s_cbranch_vccz .LBB505_24
; %bb.13:
	v_cmp_gt_u16_e32 vcc, 10, v14
	s_and_saveexec_b64 s[0:1], vcc
	s_cbranch_execz .LBB505_15
; %bb.14:
	ds_read2_b64 v[10:13], v9 offset1:16
	s_waitcnt lgkmcnt(0)
	v_add_f64 v[7:8], v[12:13], v[10:11]
	ds_write_b64 v9, v[7:8]
.LBB505_15:
	s_or_b64 exec, exec, s[0:1]
	v_cmp_gt_u16_e32 vcc, 8, v14
	s_waitcnt lgkmcnt(0)
	s_barrier
	s_and_saveexec_b64 s[0:1], vcc
	s_cbranch_execz .LBB505_17
; %bb.16:
	ds_read2_b64 v[10:13], v9 offset1:8
	s_waitcnt lgkmcnt(0)
	v_add_f64 v[7:8], v[12:13], v[10:11]
	ds_write_b64 v9, v[7:8]
.LBB505_17:
	s_or_b64 exec, exec, s[0:1]
	v_cmp_gt_u16_e32 vcc, 4, v14
	s_waitcnt lgkmcnt(0)
	s_barrier
	;; [unrolled: 12-line block ×3, first 2 shown]
	s_and_saveexec_b64 s[0:1], vcc
	s_cbranch_execz .LBB505_21
; %bb.20:
	ds_read2_b64 v[10:13], v9 offset1:2
	s_waitcnt lgkmcnt(0)
	v_add_f64 v[7:8], v[12:13], v[10:11]
	ds_write_b64 v9, v[7:8]
.LBB505_21:
	s_or_b64 exec, exec, s[0:1]
	v_mov_b32_e32 v8, v6
	v_cmp_gt_u32_e32 vcc, 26, v0
	v_mov_b32_e32 v7, v5
	s_waitcnt lgkmcnt(0)
	s_barrier
	s_and_saveexec_b64 s[0:1], vcc
	s_cbranch_execz .LBB505_23
; %bb.22:
	s_movk_i32 s2, 0xc8
	v_mad_u32_u24 v7, v0, s2, v9
	ds_read_b128 v[10:13], v7
	s_waitcnt lgkmcnt(0)
	v_add_f64 v[7:8], v[10:11], v[12:13]
.LBB505_23:
	s_or_b64 exec, exec, s[0:1]
	s_branch .LBB505_36
.LBB505_24:
                                        ; implicit-def: $vgpr7_vgpr8
	s_cbranch_execz .LBB505_36
; %bb.25:
	s_movk_i32 s0, 0x104
	v_cmp_gt_u32_e32 vcc, s0, v0
	s_and_saveexec_b64 s[0:1], vcc
	s_cbranch_execz .LBB505_27
; %bb.26:
	ds_read_b64 v[7:8], v9 offset:3328
	ds_read_b64 v[10:11], v9
	s_waitcnt lgkmcnt(0)
	v_add_f64 v[7:8], v[7:8], v[10:11]
	ds_write_b64 v9, v[7:8]
.LBB505_27:
	s_or_b64 exec, exec, s[0:1]
	s_movk_i32 s0, 0xd0
	v_cmp_gt_u32_e32 vcc, s0, v0
	s_waitcnt lgkmcnt(0)
	s_barrier
	s_and_saveexec_b64 s[0:1], vcc
	s_cbranch_execz .LBB505_29
; %bb.28:
	ds_read2_b64 v[10:13], v9 offset1:208
	s_waitcnt lgkmcnt(0)
	v_add_f64 v[7:8], v[12:13], v[10:11]
	ds_write_b64 v9, v[7:8]
.LBB505_29:
	s_or_b64 exec, exec, s[0:1]
	s_movk_i32 s0, 0x68
	v_cmp_gt_u32_e32 vcc, s0, v0
	s_waitcnt lgkmcnt(0)
	s_barrier
	s_and_saveexec_b64 s[0:1], vcc
	s_cbranch_execz .LBB505_31
; %bb.30:
	ds_read2_b64 v[10:13], v9 offset1:104
	s_waitcnt lgkmcnt(0)
	v_add_f64 v[7:8], v[12:13], v[10:11]
	ds_write_b64 v9, v[7:8]
.LBB505_31:
	s_or_b64 exec, exec, s[0:1]
	v_cmp_gt_u32_e32 vcc, 52, v0
	s_waitcnt lgkmcnt(0)
	s_barrier
	s_and_saveexec_b64 s[0:1], vcc
	s_cbranch_execz .LBB505_33
; %bb.32:
	ds_read2_b64 v[10:13], v9 offset1:52
	s_waitcnt lgkmcnt(0)
	v_add_f64 v[7:8], v[12:13], v[10:11]
	ds_write_b64 v9, v[7:8]
.LBB505_33:
	s_or_b64 exec, exec, s[0:1]
	v_cmp_gt_u32_e32 vcc, 26, v0
	s_waitcnt lgkmcnt(0)
	s_and_saveexec_b64 s[0:1], vcc
	s_cbranch_execz .LBB505_35
; %bb.34:
	ds_read2_b64 v[5:8], v9 offset1:26
	s_waitcnt lgkmcnt(0)
	v_add_f64 v[5:6], v[5:6], v[7:8]
.LBB505_35:
	s_or_b64 exec, exec, s[0:1]
	v_mov_b32_e32 v8, v6
	v_mov_b32_e32 v7, v5
.LBB505_36:
	v_cmp_gt_u32_e32 vcc, 26, v0
	s_and_b64 exec, exec, vcc
	s_cbranch_execz .LBB505_41
; %bb.37:
	v_cmp_eq_f64_e32 vcc, 0, v[1:2]
	v_mul_f64 v[3:4], v[3:4], v[7:8]
	s_and_saveexec_b64 s[0:1], vcc
	s_xor_b64 s[0:1], exec, s[0:1]
	s_cbranch_execz .LBB505_39
; %bb.38:
	v_mad_u64_u32 v[0:1], s[2:3], s6, 26, v[0:1]
	v_mov_b32_e32 v1, 0
	v_mov_b32_e32 v2, s13
	v_lshlrev_b64 v[0:1], 3, v[0:1]
	v_add_co_u32_e32 v0, vcc, s12, v0
	v_addc_co_u32_e32 v1, vcc, v2, v1, vcc
	global_store_dwordx2 v[0:1], v[3:4], off
                                        ; implicit-def: $vgpr0
                                        ; implicit-def: $vgpr1_vgpr2
                                        ; implicit-def: $vgpr3_vgpr4
.LBB505_39:
	s_andn2_saveexec_b64 s[0:1], s[0:1]
	s_cbranch_execz .LBB505_41
; %bb.40:
	v_mad_u64_u32 v[5:6], s[0:1], s6, 26, v[0:1]
	v_mov_b32_e32 v6, 0
	v_mov_b32_e32 v0, s13
	v_lshlrev_b64 v[5:6], 3, v[5:6]
	v_add_co_u32_e32 v5, vcc, s12, v5
	v_addc_co_u32_e32 v6, vcc, v0, v6, vcc
	global_load_dwordx2 v[7:8], v[5:6], off
	s_waitcnt vmcnt(0)
	v_fma_f64 v[0:1], v[1:2], v[7:8], v[3:4]
	global_store_dwordx2 v[5:6], v[0:1], off
.LBB505_41:
	s_endpgm
	.section	.rodata,"a",@progbits
	.p2align	6, 0x0
	.amdhsa_kernel _ZN9rocsparseL20bsrxmvn_17_32_kernelILj26EdlifddEEvT2_20rocsparse_direction_NS_24const_host_device_scalarIT0_EES1_PKS1_PKT1_SA_S7_PKT3_PKT4_S5_PT5_21rocsparse_index_base_b
		.amdhsa_group_segment_fixed_size 5408
		.amdhsa_private_segment_fixed_size 0
		.amdhsa_kernarg_size 96
		.amdhsa_user_sgpr_count 6
		.amdhsa_user_sgpr_private_segment_buffer 1
		.amdhsa_user_sgpr_dispatch_ptr 0
		.amdhsa_user_sgpr_queue_ptr 0
		.amdhsa_user_sgpr_kernarg_segment_ptr 1
		.amdhsa_user_sgpr_dispatch_id 0
		.amdhsa_user_sgpr_flat_scratch_init 0
		.amdhsa_user_sgpr_private_segment_size 0
		.amdhsa_uses_dynamic_stack 0
		.amdhsa_system_sgpr_private_segment_wavefront_offset 0
		.amdhsa_system_sgpr_workgroup_id_x 1
		.amdhsa_system_sgpr_workgroup_id_y 0
		.amdhsa_system_sgpr_workgroup_id_z 0
		.amdhsa_system_sgpr_workgroup_info 0
		.amdhsa_system_vgpr_workitem_id 0
		.amdhsa_next_free_vgpr 25
		.amdhsa_next_free_sgpr 61
		.amdhsa_reserve_vcc 1
		.amdhsa_reserve_flat_scratch 0
		.amdhsa_float_round_mode_32 0
		.amdhsa_float_round_mode_16_64 0
		.amdhsa_float_denorm_mode_32 3
		.amdhsa_float_denorm_mode_16_64 3
		.amdhsa_dx10_clamp 1
		.amdhsa_ieee_mode 1
		.amdhsa_fp16_overflow 0
		.amdhsa_exception_fp_ieee_invalid_op 0
		.amdhsa_exception_fp_denorm_src 0
		.amdhsa_exception_fp_ieee_div_zero 0
		.amdhsa_exception_fp_ieee_overflow 0
		.amdhsa_exception_fp_ieee_underflow 0
		.amdhsa_exception_fp_ieee_inexact 0
		.amdhsa_exception_int_div_zero 0
	.end_amdhsa_kernel
	.section	.text._ZN9rocsparseL20bsrxmvn_17_32_kernelILj26EdlifddEEvT2_20rocsparse_direction_NS_24const_host_device_scalarIT0_EES1_PKS1_PKT1_SA_S7_PKT3_PKT4_S5_PT5_21rocsparse_index_base_b,"axG",@progbits,_ZN9rocsparseL20bsrxmvn_17_32_kernelILj26EdlifddEEvT2_20rocsparse_direction_NS_24const_host_device_scalarIT0_EES1_PKS1_PKT1_SA_S7_PKT3_PKT4_S5_PT5_21rocsparse_index_base_b,comdat
.Lfunc_end505:
	.size	_ZN9rocsparseL20bsrxmvn_17_32_kernelILj26EdlifddEEvT2_20rocsparse_direction_NS_24const_host_device_scalarIT0_EES1_PKS1_PKT1_SA_S7_PKT3_PKT4_S5_PT5_21rocsparse_index_base_b, .Lfunc_end505-_ZN9rocsparseL20bsrxmvn_17_32_kernelILj26EdlifddEEvT2_20rocsparse_direction_NS_24const_host_device_scalarIT0_EES1_PKS1_PKT1_SA_S7_PKT3_PKT4_S5_PT5_21rocsparse_index_base_b
                                        ; -- End function
	.set _ZN9rocsparseL20bsrxmvn_17_32_kernelILj26EdlifddEEvT2_20rocsparse_direction_NS_24const_host_device_scalarIT0_EES1_PKS1_PKT1_SA_S7_PKT3_PKT4_S5_PT5_21rocsparse_index_base_b.num_vgpr, 20
	.set _ZN9rocsparseL20bsrxmvn_17_32_kernelILj26EdlifddEEvT2_20rocsparse_direction_NS_24const_host_device_scalarIT0_EES1_PKS1_PKT1_SA_S7_PKT3_PKT4_S5_PT5_21rocsparse_index_base_b.num_agpr, 0
	.set _ZN9rocsparseL20bsrxmvn_17_32_kernelILj26EdlifddEEvT2_20rocsparse_direction_NS_24const_host_device_scalarIT0_EES1_PKS1_PKT1_SA_S7_PKT3_PKT4_S5_PT5_21rocsparse_index_base_b.numbered_sgpr, 22
	.set _ZN9rocsparseL20bsrxmvn_17_32_kernelILj26EdlifddEEvT2_20rocsparse_direction_NS_24const_host_device_scalarIT0_EES1_PKS1_PKT1_SA_S7_PKT3_PKT4_S5_PT5_21rocsparse_index_base_b.num_named_barrier, 0
	.set _ZN9rocsparseL20bsrxmvn_17_32_kernelILj26EdlifddEEvT2_20rocsparse_direction_NS_24const_host_device_scalarIT0_EES1_PKS1_PKT1_SA_S7_PKT3_PKT4_S5_PT5_21rocsparse_index_base_b.private_seg_size, 0
	.set _ZN9rocsparseL20bsrxmvn_17_32_kernelILj26EdlifddEEvT2_20rocsparse_direction_NS_24const_host_device_scalarIT0_EES1_PKS1_PKT1_SA_S7_PKT3_PKT4_S5_PT5_21rocsparse_index_base_b.uses_vcc, 1
	.set _ZN9rocsparseL20bsrxmvn_17_32_kernelILj26EdlifddEEvT2_20rocsparse_direction_NS_24const_host_device_scalarIT0_EES1_PKS1_PKT1_SA_S7_PKT3_PKT4_S5_PT5_21rocsparse_index_base_b.uses_flat_scratch, 0
	.set _ZN9rocsparseL20bsrxmvn_17_32_kernelILj26EdlifddEEvT2_20rocsparse_direction_NS_24const_host_device_scalarIT0_EES1_PKS1_PKT1_SA_S7_PKT3_PKT4_S5_PT5_21rocsparse_index_base_b.has_dyn_sized_stack, 0
	.set _ZN9rocsparseL20bsrxmvn_17_32_kernelILj26EdlifddEEvT2_20rocsparse_direction_NS_24const_host_device_scalarIT0_EES1_PKS1_PKT1_SA_S7_PKT3_PKT4_S5_PT5_21rocsparse_index_base_b.has_recursion, 0
	.set _ZN9rocsparseL20bsrxmvn_17_32_kernelILj26EdlifddEEvT2_20rocsparse_direction_NS_24const_host_device_scalarIT0_EES1_PKS1_PKT1_SA_S7_PKT3_PKT4_S5_PT5_21rocsparse_index_base_b.has_indirect_call, 0
	.section	.AMDGPU.csdata,"",@progbits
; Kernel info:
; codeLenInByte = 1420
; TotalNumSgprs: 26
; NumVgprs: 20
; ScratchSize: 0
; MemoryBound: 0
; FloatMode: 240
; IeeeMode: 1
; LDSByteSize: 5408 bytes/workgroup (compile time only)
; SGPRBlocks: 8
; VGPRBlocks: 6
; NumSGPRsForWavesPerEU: 65
; NumVGPRsForWavesPerEU: 25
; Occupancy: 9
; WaveLimiterHint : 1
; COMPUTE_PGM_RSRC2:SCRATCH_EN: 0
; COMPUTE_PGM_RSRC2:USER_SGPR: 6
; COMPUTE_PGM_RSRC2:TRAP_HANDLER: 0
; COMPUTE_PGM_RSRC2:TGID_X_EN: 1
; COMPUTE_PGM_RSRC2:TGID_Y_EN: 0
; COMPUTE_PGM_RSRC2:TGID_Z_EN: 0
; COMPUTE_PGM_RSRC2:TIDIG_COMP_CNT: 0
	.section	.text._ZN9rocsparseL20bsrxmvn_17_32_kernelILj27EdlifddEEvT2_20rocsparse_direction_NS_24const_host_device_scalarIT0_EES1_PKS1_PKT1_SA_S7_PKT3_PKT4_S5_PT5_21rocsparse_index_base_b,"axG",@progbits,_ZN9rocsparseL20bsrxmvn_17_32_kernelILj27EdlifddEEvT2_20rocsparse_direction_NS_24const_host_device_scalarIT0_EES1_PKS1_PKT1_SA_S7_PKT3_PKT4_S5_PT5_21rocsparse_index_base_b,comdat
	.globl	_ZN9rocsparseL20bsrxmvn_17_32_kernelILj27EdlifddEEvT2_20rocsparse_direction_NS_24const_host_device_scalarIT0_EES1_PKS1_PKT1_SA_S7_PKT3_PKT4_S5_PT5_21rocsparse_index_base_b ; -- Begin function _ZN9rocsparseL20bsrxmvn_17_32_kernelILj27EdlifddEEvT2_20rocsparse_direction_NS_24const_host_device_scalarIT0_EES1_PKS1_PKT1_SA_S7_PKT3_PKT4_S5_PT5_21rocsparse_index_base_b
	.p2align	8
	.type	_ZN9rocsparseL20bsrxmvn_17_32_kernelILj27EdlifddEEvT2_20rocsparse_direction_NS_24const_host_device_scalarIT0_EES1_PKS1_PKT1_SA_S7_PKT3_PKT4_S5_PT5_21rocsparse_index_base_b,@function
_ZN9rocsparseL20bsrxmvn_17_32_kernelILj27EdlifddEEvT2_20rocsparse_direction_NS_24const_host_device_scalarIT0_EES1_PKS1_PKT1_SA_S7_PKT3_PKT4_S5_PT5_21rocsparse_index_base_b: ; @_ZN9rocsparseL20bsrxmvn_17_32_kernelILj27EdlifddEEvT2_20rocsparse_direction_NS_24const_host_device_scalarIT0_EES1_PKS1_PKT1_SA_S7_PKT3_PKT4_S5_PT5_21rocsparse_index_base_b
; %bb.0:
	s_load_dwordx2 s[14:15], s[4:5], 0x58
	s_load_dwordx2 s[8:9], s[4:5], 0x8
	;; [unrolled: 1-line block ×3, first 2 shown]
	s_waitcnt lgkmcnt(0)
	s_bitcmp1_b32 s15, 0
	s_cselect_b64 s[10:11], -1, 0
	v_mov_b32_e32 v3, s8
	s_xor_b64 s[2:3], s[10:11], -1
	s_and_b64 vcc, exec, s[10:11]
	v_mov_b32_e32 v4, s9
	s_cbranch_vccnz .LBB506_2
; %bb.1:
	v_mov_b32_e32 v1, s8
	v_mov_b32_e32 v2, s9
	flat_load_dwordx2 v[3:4], v[1:2]
.LBB506_2:
	v_mov_b32_e32 v2, s1
	s_andn2_b64 vcc, exec, s[2:3]
	v_mov_b32_e32 v1, s0
	s_cbranch_vccnz .LBB506_4
; %bb.3:
	v_mov_b32_e32 v2, s1
	v_mov_b32_e32 v1, s0
	flat_load_dwordx2 v[1:2], v[1:2]
.LBB506_4:
	s_waitcnt vmcnt(0) lgkmcnt(0)
	v_cmp_neq_f64_e32 vcc, 0, v[3:4]
	v_cmp_neq_f64_e64 s[0:1], 1.0, v[1:2]
	s_or_b64 s[0:1], vcc, s[0:1]
	s_and_saveexec_b64 s[2:3], s[0:1]
	s_cbranch_execz .LBB506_41
; %bb.5:
	s_load_dwordx4 s[0:3], s[4:5], 0x18
	s_load_dwordx2 s[8:9], s[4:5], 0x28
	s_waitcnt lgkmcnt(0)
	s_cmp_eq_u64 s[0:1], 0
	s_cbranch_scc1 .LBB506_7
; %bb.6:
	s_ashr_i32 s7, s6, 31
	s_lshl_b64 s[6:7], s[6:7], 2
	s_add_u32 s0, s0, s6
	s_addc_u32 s1, s1, s7
	s_load_dword s0, s[0:1], 0x0
	s_waitcnt lgkmcnt(0)
	s_sub_i32 s6, s0, s14
.LBB506_7:
	s_load_dword s7, s[4:5], 0x4
	s_load_dwordx2 s[12:13], s[4:5], 0x50
	v_mul_u32_u24_e32 v7, 0x97c, v0
	v_mov_b32_e32 v5, 27
	v_mul_lo_u16_sdwa v5, v7, v5 dst_sel:DWORD dst_unused:UNUSED_PAD src0_sel:WORD_1 src1_sel:DWORD
	s_waitcnt lgkmcnt(0)
	s_cmp_eq_u32 s7, 1
	s_cselect_b64 s[0:1], -1, 0
	s_cmp_lg_u32 s7, 1
	s_cselect_b64 s[16:17], -1, 0
	s_ashr_i32 s7, s6, 31
	s_lshl_b64 s[10:11], s[6:7], 3
	s_add_u32 s2, s2, s10
	s_addc_u32 s3, s3, s11
	s_add_u32 s7, s2, 8
	s_addc_u32 s15, s3, 0
	;; [unrolled: 2-line block ×3, first 2 shown]
	s_cmp_eq_u64 s[8:9], 0
	s_cselect_b32 s9, s15, s11
	s_cselect_b32 s8, s7, s10
	s_load_dwordx2 s[18:19], s[8:9], 0x0
	s_load_dwordx2 s[20:21], s[2:3], 0x0
	v_sub_u16_e32 v14, v0, v5
	s_waitcnt lgkmcnt(0)
	v_mov_b32_e32 v5, s18
	v_mov_b32_e32 v6, s19
	v_cmp_ge_i64_e32 vcc, s[20:21], v[5:6]
	v_mov_b32_e32 v5, 0
	v_mov_b32_e32 v6, 0
	s_cbranch_vccnz .LBB506_12
; %bb.8:
	s_load_dwordx4 s[8:11], s[4:5], 0x30
	s_load_dwordx2 s[2:3], s[4:5], 0x40
	s_sub_u32 s4, s18, s14
	s_mov_b32 s7, 0xffff
	s_subb_u32 s5, s19, 0
	s_movk_i32 s15, 0x2d9
	v_and_b32_sdwa v5, s7, v7 dst_sel:DWORD dst_unused:UNUSED_PAD src0_sel:DWORD src1_sel:WORD_1
	v_subrev_u32_e32 v6, 27, v5
	v_cmp_gt_u32_e32 vcc, s15, v0
	s_sub_u32 s18, s20, s14
	v_cndmask_b32_e32 v5, v6, v5, vcc
	s_subb_u32 s19, s21, 0
	v_cndmask_b32_e64 v7, v14, v5, s[0:1]
	s_mul_i32 s0, s19, 0xb64
	s_mul_hi_u32 s1, s18, 0xb64
	s_add_i32 s1, s1, s0
	s_mul_i32 s0, s18, 0xb64
	s_waitcnt lgkmcnt(0)
	s_add_u32 s0, s10, s0
	s_addc_u32 s1, s11, s1
	v_lshlrev_b32_e32 v5, 2, v0
	v_mov_b32_e32 v6, s1
	v_add_co_u32_e32 v8, vcc, s0, v5
	v_addc_co_u32_e32 v9, vcc, 0, v6, vcc
	s_movk_i32 s0, 0x2d8
	v_cmp_lt_u32_e32 vcc, s0, v0
	v_cndmask_b32_e64 v15, 0, 1, vcc
	v_mov_b32_e32 v5, s21
	v_add_co_u32_e32 v6, vcc, s20, v15
	v_addc_co_u32_e32 v10, vcc, 0, v5, vcc
	v_subrev_co_u32_e32 v5, vcc, s14, v6
	v_subbrev_co_u32_e32 v6, vcc, 0, v10, vcc
	v_lshlrev_b64 v[5:6], 2, v[5:6]
	v_mov_b32_e32 v11, s9
	v_add_co_u32_e32 v10, vcc, s8, v5
	v_addc_co_u32_e32 v11, vcc, v11, v6, vcc
	v_mov_b32_e32 v5, 0
	v_mov_b32_e32 v13, s5
	;; [unrolled: 1-line block ×4, first 2 shown]
	s_branch .LBB506_10
.LBB506_9:                              ;   in Loop: Header=BB506_10 Depth=1
	s_or_b64 exec, exec, s[0:1]
	s_add_u32 s18, s18, 1
	s_addc_u32 s19, s19, 0
	v_cmp_lt_i64_e32 vcc, s[18:19], v[12:13]
	v_add_co_u32_e64 v10, s[0:1], 4, v10
	v_addc_co_u32_e64 v11, s[0:1], 0, v11, s[0:1]
	s_cbranch_vccz .LBB506_12
.LBB506_10:                             ; =>This Inner Loop Header: Depth=1
	v_mov_b32_e32 v17, s19
	v_add_co_u32_e32 v16, vcc, s18, v15
	v_addc_co_u32_e32 v17, vcc, 0, v17, vcc
	v_cmp_gt_i64_e32 vcc, s[4:5], v[16:17]
	s_and_saveexec_b64 s[0:1], vcc
	s_cbranch_execz .LBB506_9
; %bb.11:                               ;   in Loop: Header=BB506_10 Depth=1
	global_load_dword v16, v[10:11], off
	global_load_dword v18, v[8:9], off
	v_mov_b32_e32 v19, s3
	s_waitcnt vmcnt(1)
	v_subrev_u32_e32 v16, s14, v16
	v_mad_u64_u32 v[16:17], s[8:9], v16, 27, v[7:8]
	v_ashrrev_i32_e32 v17, 31, v16
	v_lshlrev_b64 v[16:17], 3, v[16:17]
	v_add_co_u32_e32 v16, vcc, s2, v16
	v_addc_co_u32_e32 v17, vcc, v19, v17, vcc
	global_load_dwordx2 v[16:17], v[16:17], off
	s_waitcnt vmcnt(1)
	v_cvt_f64_f32_e32 v[18:19], v18
	v_add_co_u32_e32 v8, vcc, 0xb64, v8
	v_addc_co_u32_e32 v9, vcc, 0, v9, vcc
	s_waitcnt vmcnt(0)
	v_fma_f64 v[5:6], v[18:19], v[16:17], v[5:6]
	s_branch .LBB506_9
.LBB506_12:
	v_lshlrev_b32_e32 v9, 3, v0
	s_and_b64 vcc, exec, s[16:17]
	ds_write_b64 v9, v[5:6]
	s_waitcnt lgkmcnt(0)
	s_barrier
	s_cbranch_vccz .LBB506_24
; %bb.13:
	v_cmp_gt_u16_e32 vcc, 11, v14
	s_and_saveexec_b64 s[0:1], vcc
	s_cbranch_execz .LBB506_15
; %bb.14:
	ds_read2_b64 v[10:13], v9 offset1:16
	s_waitcnt lgkmcnt(0)
	v_add_f64 v[7:8], v[12:13], v[10:11]
	ds_write_b64 v9, v[7:8]
.LBB506_15:
	s_or_b64 exec, exec, s[0:1]
	v_cmp_gt_u16_e32 vcc, 8, v14
	s_waitcnt lgkmcnt(0)
	s_barrier
	s_and_saveexec_b64 s[0:1], vcc
	s_cbranch_execz .LBB506_17
; %bb.16:
	ds_read2_b64 v[10:13], v9 offset1:8
	s_waitcnt lgkmcnt(0)
	v_add_f64 v[7:8], v[12:13], v[10:11]
	ds_write_b64 v9, v[7:8]
.LBB506_17:
	s_or_b64 exec, exec, s[0:1]
	v_cmp_gt_u16_e32 vcc, 4, v14
	s_waitcnt lgkmcnt(0)
	s_barrier
	;; [unrolled: 12-line block ×3, first 2 shown]
	s_and_saveexec_b64 s[0:1], vcc
	s_cbranch_execz .LBB506_21
; %bb.20:
	ds_read2_b64 v[10:13], v9 offset1:2
	s_waitcnt lgkmcnt(0)
	v_add_f64 v[7:8], v[12:13], v[10:11]
	ds_write_b64 v9, v[7:8]
.LBB506_21:
	s_or_b64 exec, exec, s[0:1]
	v_mov_b32_e32 v8, v6
	v_cmp_gt_u32_e32 vcc, 27, v0
	v_mov_b32_e32 v7, v5
	s_waitcnt lgkmcnt(0)
	s_barrier
	s_and_saveexec_b64 s[0:1], vcc
	s_cbranch_execz .LBB506_23
; %bb.22:
	s_movk_i32 s2, 0xd0
	v_mad_u32_u24 v7, v0, s2, v9
	ds_read2_b64 v[10:13], v7 offset1:1
	s_waitcnt lgkmcnt(0)
	v_add_f64 v[7:8], v[10:11], v[12:13]
.LBB506_23:
	s_or_b64 exec, exec, s[0:1]
	s_branch .LBB506_36
.LBB506_24:
                                        ; implicit-def: $vgpr7_vgpr8
	s_cbranch_execz .LBB506_36
; %bb.25:
	s_movk_i32 s0, 0x129
	v_cmp_gt_u32_e32 vcc, s0, v0
	s_and_saveexec_b64 s[0:1], vcc
	s_cbranch_execz .LBB506_27
; %bb.26:
	ds_read_b64 v[7:8], v9 offset:3456
	ds_read_b64 v[10:11], v9
	s_waitcnt lgkmcnt(0)
	v_add_f64 v[7:8], v[7:8], v[10:11]
	ds_write_b64 v9, v[7:8]
.LBB506_27:
	s_or_b64 exec, exec, s[0:1]
	s_movk_i32 s0, 0xd8
	v_cmp_gt_u32_e32 vcc, s0, v0
	s_waitcnt lgkmcnt(0)
	s_barrier
	s_and_saveexec_b64 s[0:1], vcc
	s_cbranch_execz .LBB506_29
; %bb.28:
	ds_read2_b64 v[10:13], v9 offset1:216
	s_waitcnt lgkmcnt(0)
	v_add_f64 v[7:8], v[12:13], v[10:11]
	ds_write_b64 v9, v[7:8]
.LBB506_29:
	s_or_b64 exec, exec, s[0:1]
	s_movk_i32 s0, 0x6c
	v_cmp_gt_u32_e32 vcc, s0, v0
	s_waitcnt lgkmcnt(0)
	s_barrier
	s_and_saveexec_b64 s[0:1], vcc
	s_cbranch_execz .LBB506_31
; %bb.30:
	ds_read2_b64 v[10:13], v9 offset1:108
	s_waitcnt lgkmcnt(0)
	v_add_f64 v[7:8], v[12:13], v[10:11]
	ds_write_b64 v9, v[7:8]
.LBB506_31:
	s_or_b64 exec, exec, s[0:1]
	v_cmp_gt_u32_e32 vcc, 54, v0
	s_waitcnt lgkmcnt(0)
	s_barrier
	s_and_saveexec_b64 s[0:1], vcc
	s_cbranch_execz .LBB506_33
; %bb.32:
	ds_read2_b64 v[10:13], v9 offset1:54
	s_waitcnt lgkmcnt(0)
	v_add_f64 v[7:8], v[12:13], v[10:11]
	ds_write_b64 v9, v[7:8]
.LBB506_33:
	s_or_b64 exec, exec, s[0:1]
	v_cmp_gt_u32_e32 vcc, 27, v0
	s_waitcnt lgkmcnt(0)
	s_and_saveexec_b64 s[0:1], vcc
	s_cbranch_execz .LBB506_35
; %bb.34:
	ds_read2_b64 v[5:8], v9 offset1:27
	s_waitcnt lgkmcnt(0)
	v_add_f64 v[5:6], v[5:6], v[7:8]
.LBB506_35:
	s_or_b64 exec, exec, s[0:1]
	v_mov_b32_e32 v8, v6
	v_mov_b32_e32 v7, v5
.LBB506_36:
	v_cmp_gt_u32_e32 vcc, 27, v0
	s_and_b64 exec, exec, vcc
	s_cbranch_execz .LBB506_41
; %bb.37:
	v_cmp_eq_f64_e32 vcc, 0, v[1:2]
	v_mul_f64 v[3:4], v[3:4], v[7:8]
	s_and_saveexec_b64 s[0:1], vcc
	s_xor_b64 s[0:1], exec, s[0:1]
	s_cbranch_execz .LBB506_39
; %bb.38:
	v_mad_u64_u32 v[0:1], s[2:3], s6, 27, v[0:1]
	v_mov_b32_e32 v1, 0
	v_mov_b32_e32 v2, s13
	v_lshlrev_b64 v[0:1], 3, v[0:1]
	v_add_co_u32_e32 v0, vcc, s12, v0
	v_addc_co_u32_e32 v1, vcc, v2, v1, vcc
	global_store_dwordx2 v[0:1], v[3:4], off
                                        ; implicit-def: $vgpr0
                                        ; implicit-def: $vgpr1_vgpr2
                                        ; implicit-def: $vgpr3_vgpr4
.LBB506_39:
	s_andn2_saveexec_b64 s[0:1], s[0:1]
	s_cbranch_execz .LBB506_41
; %bb.40:
	v_mad_u64_u32 v[5:6], s[0:1], s6, 27, v[0:1]
	v_mov_b32_e32 v6, 0
	v_mov_b32_e32 v0, s13
	v_lshlrev_b64 v[5:6], 3, v[5:6]
	v_add_co_u32_e32 v5, vcc, s12, v5
	v_addc_co_u32_e32 v6, vcc, v0, v6, vcc
	global_load_dwordx2 v[7:8], v[5:6], off
	s_waitcnt vmcnt(0)
	v_fma_f64 v[0:1], v[1:2], v[7:8], v[3:4]
	global_store_dwordx2 v[5:6], v[0:1], off
.LBB506_41:
	s_endpgm
	.section	.rodata,"a",@progbits
	.p2align	6, 0x0
	.amdhsa_kernel _ZN9rocsparseL20bsrxmvn_17_32_kernelILj27EdlifddEEvT2_20rocsparse_direction_NS_24const_host_device_scalarIT0_EES1_PKS1_PKT1_SA_S7_PKT3_PKT4_S5_PT5_21rocsparse_index_base_b
		.amdhsa_group_segment_fixed_size 5832
		.amdhsa_private_segment_fixed_size 0
		.amdhsa_kernarg_size 96
		.amdhsa_user_sgpr_count 6
		.amdhsa_user_sgpr_private_segment_buffer 1
		.amdhsa_user_sgpr_dispatch_ptr 0
		.amdhsa_user_sgpr_queue_ptr 0
		.amdhsa_user_sgpr_kernarg_segment_ptr 1
		.amdhsa_user_sgpr_dispatch_id 0
		.amdhsa_user_sgpr_flat_scratch_init 0
		.amdhsa_user_sgpr_private_segment_size 0
		.amdhsa_uses_dynamic_stack 0
		.amdhsa_system_sgpr_private_segment_wavefront_offset 0
		.amdhsa_system_sgpr_workgroup_id_x 1
		.amdhsa_system_sgpr_workgroup_id_y 0
		.amdhsa_system_sgpr_workgroup_id_z 0
		.amdhsa_system_sgpr_workgroup_info 0
		.amdhsa_system_vgpr_workitem_id 0
		.amdhsa_next_free_vgpr 25
		.amdhsa_next_free_sgpr 61
		.amdhsa_reserve_vcc 1
		.amdhsa_reserve_flat_scratch 0
		.amdhsa_float_round_mode_32 0
		.amdhsa_float_round_mode_16_64 0
		.amdhsa_float_denorm_mode_32 3
		.amdhsa_float_denorm_mode_16_64 3
		.amdhsa_dx10_clamp 1
		.amdhsa_ieee_mode 1
		.amdhsa_fp16_overflow 0
		.amdhsa_exception_fp_ieee_invalid_op 0
		.amdhsa_exception_fp_denorm_src 0
		.amdhsa_exception_fp_ieee_div_zero 0
		.amdhsa_exception_fp_ieee_overflow 0
		.amdhsa_exception_fp_ieee_underflow 0
		.amdhsa_exception_fp_ieee_inexact 0
		.amdhsa_exception_int_div_zero 0
	.end_amdhsa_kernel
	.section	.text._ZN9rocsparseL20bsrxmvn_17_32_kernelILj27EdlifddEEvT2_20rocsparse_direction_NS_24const_host_device_scalarIT0_EES1_PKS1_PKT1_SA_S7_PKT3_PKT4_S5_PT5_21rocsparse_index_base_b,"axG",@progbits,_ZN9rocsparseL20bsrxmvn_17_32_kernelILj27EdlifddEEvT2_20rocsparse_direction_NS_24const_host_device_scalarIT0_EES1_PKS1_PKT1_SA_S7_PKT3_PKT4_S5_PT5_21rocsparse_index_base_b,comdat
.Lfunc_end506:
	.size	_ZN9rocsparseL20bsrxmvn_17_32_kernelILj27EdlifddEEvT2_20rocsparse_direction_NS_24const_host_device_scalarIT0_EES1_PKS1_PKT1_SA_S7_PKT3_PKT4_S5_PT5_21rocsparse_index_base_b, .Lfunc_end506-_ZN9rocsparseL20bsrxmvn_17_32_kernelILj27EdlifddEEvT2_20rocsparse_direction_NS_24const_host_device_scalarIT0_EES1_PKS1_PKT1_SA_S7_PKT3_PKT4_S5_PT5_21rocsparse_index_base_b
                                        ; -- End function
	.set _ZN9rocsparseL20bsrxmvn_17_32_kernelILj27EdlifddEEvT2_20rocsparse_direction_NS_24const_host_device_scalarIT0_EES1_PKS1_PKT1_SA_S7_PKT3_PKT4_S5_PT5_21rocsparse_index_base_b.num_vgpr, 20
	.set _ZN9rocsparseL20bsrxmvn_17_32_kernelILj27EdlifddEEvT2_20rocsparse_direction_NS_24const_host_device_scalarIT0_EES1_PKS1_PKT1_SA_S7_PKT3_PKT4_S5_PT5_21rocsparse_index_base_b.num_agpr, 0
	.set _ZN9rocsparseL20bsrxmvn_17_32_kernelILj27EdlifddEEvT2_20rocsparse_direction_NS_24const_host_device_scalarIT0_EES1_PKS1_PKT1_SA_S7_PKT3_PKT4_S5_PT5_21rocsparse_index_base_b.numbered_sgpr, 22
	.set _ZN9rocsparseL20bsrxmvn_17_32_kernelILj27EdlifddEEvT2_20rocsparse_direction_NS_24const_host_device_scalarIT0_EES1_PKS1_PKT1_SA_S7_PKT3_PKT4_S5_PT5_21rocsparse_index_base_b.num_named_barrier, 0
	.set _ZN9rocsparseL20bsrxmvn_17_32_kernelILj27EdlifddEEvT2_20rocsparse_direction_NS_24const_host_device_scalarIT0_EES1_PKS1_PKT1_SA_S7_PKT3_PKT4_S5_PT5_21rocsparse_index_base_b.private_seg_size, 0
	.set _ZN9rocsparseL20bsrxmvn_17_32_kernelILj27EdlifddEEvT2_20rocsparse_direction_NS_24const_host_device_scalarIT0_EES1_PKS1_PKT1_SA_S7_PKT3_PKT4_S5_PT5_21rocsparse_index_base_b.uses_vcc, 1
	.set _ZN9rocsparseL20bsrxmvn_17_32_kernelILj27EdlifddEEvT2_20rocsparse_direction_NS_24const_host_device_scalarIT0_EES1_PKS1_PKT1_SA_S7_PKT3_PKT4_S5_PT5_21rocsparse_index_base_b.uses_flat_scratch, 0
	.set _ZN9rocsparseL20bsrxmvn_17_32_kernelILj27EdlifddEEvT2_20rocsparse_direction_NS_24const_host_device_scalarIT0_EES1_PKS1_PKT1_SA_S7_PKT3_PKT4_S5_PT5_21rocsparse_index_base_b.has_dyn_sized_stack, 0
	.set _ZN9rocsparseL20bsrxmvn_17_32_kernelILj27EdlifddEEvT2_20rocsparse_direction_NS_24const_host_device_scalarIT0_EES1_PKS1_PKT1_SA_S7_PKT3_PKT4_S5_PT5_21rocsparse_index_base_b.has_recursion, 0
	.set _ZN9rocsparseL20bsrxmvn_17_32_kernelILj27EdlifddEEvT2_20rocsparse_direction_NS_24const_host_device_scalarIT0_EES1_PKS1_PKT1_SA_S7_PKT3_PKT4_S5_PT5_21rocsparse_index_base_b.has_indirect_call, 0
	.section	.AMDGPU.csdata,"",@progbits
; Kernel info:
; codeLenInByte = 1420
; TotalNumSgprs: 26
; NumVgprs: 20
; ScratchSize: 0
; MemoryBound: 0
; FloatMode: 240
; IeeeMode: 1
; LDSByteSize: 5832 bytes/workgroup (compile time only)
; SGPRBlocks: 8
; VGPRBlocks: 6
; NumSGPRsForWavesPerEU: 65
; NumVGPRsForWavesPerEU: 25
; Occupancy: 9
; WaveLimiterHint : 1
; COMPUTE_PGM_RSRC2:SCRATCH_EN: 0
; COMPUTE_PGM_RSRC2:USER_SGPR: 6
; COMPUTE_PGM_RSRC2:TRAP_HANDLER: 0
; COMPUTE_PGM_RSRC2:TGID_X_EN: 1
; COMPUTE_PGM_RSRC2:TGID_Y_EN: 0
; COMPUTE_PGM_RSRC2:TGID_Z_EN: 0
; COMPUTE_PGM_RSRC2:TIDIG_COMP_CNT: 0
	.section	.text._ZN9rocsparseL20bsrxmvn_17_32_kernelILj28EdlifddEEvT2_20rocsparse_direction_NS_24const_host_device_scalarIT0_EES1_PKS1_PKT1_SA_S7_PKT3_PKT4_S5_PT5_21rocsparse_index_base_b,"axG",@progbits,_ZN9rocsparseL20bsrxmvn_17_32_kernelILj28EdlifddEEvT2_20rocsparse_direction_NS_24const_host_device_scalarIT0_EES1_PKS1_PKT1_SA_S7_PKT3_PKT4_S5_PT5_21rocsparse_index_base_b,comdat
	.globl	_ZN9rocsparseL20bsrxmvn_17_32_kernelILj28EdlifddEEvT2_20rocsparse_direction_NS_24const_host_device_scalarIT0_EES1_PKS1_PKT1_SA_S7_PKT3_PKT4_S5_PT5_21rocsparse_index_base_b ; -- Begin function _ZN9rocsparseL20bsrxmvn_17_32_kernelILj28EdlifddEEvT2_20rocsparse_direction_NS_24const_host_device_scalarIT0_EES1_PKS1_PKT1_SA_S7_PKT3_PKT4_S5_PT5_21rocsparse_index_base_b
	.p2align	8
	.type	_ZN9rocsparseL20bsrxmvn_17_32_kernelILj28EdlifddEEvT2_20rocsparse_direction_NS_24const_host_device_scalarIT0_EES1_PKS1_PKT1_SA_S7_PKT3_PKT4_S5_PT5_21rocsparse_index_base_b,@function
_ZN9rocsparseL20bsrxmvn_17_32_kernelILj28EdlifddEEvT2_20rocsparse_direction_NS_24const_host_device_scalarIT0_EES1_PKS1_PKT1_SA_S7_PKT3_PKT4_S5_PT5_21rocsparse_index_base_b: ; @_ZN9rocsparseL20bsrxmvn_17_32_kernelILj28EdlifddEEvT2_20rocsparse_direction_NS_24const_host_device_scalarIT0_EES1_PKS1_PKT1_SA_S7_PKT3_PKT4_S5_PT5_21rocsparse_index_base_b
; %bb.0:
	s_load_dwordx2 s[14:15], s[4:5], 0x58
	s_load_dwordx2 s[8:9], s[4:5], 0x8
	;; [unrolled: 1-line block ×3, first 2 shown]
	s_waitcnt lgkmcnt(0)
	s_bitcmp1_b32 s15, 0
	s_cselect_b64 s[10:11], -1, 0
	v_mov_b32_e32 v3, s8
	s_xor_b64 s[2:3], s[10:11], -1
	s_and_b64 vcc, exec, s[10:11]
	v_mov_b32_e32 v4, s9
	s_cbranch_vccnz .LBB507_2
; %bb.1:
	v_mov_b32_e32 v1, s8
	v_mov_b32_e32 v2, s9
	flat_load_dwordx2 v[3:4], v[1:2]
.LBB507_2:
	v_mov_b32_e32 v2, s1
	s_andn2_b64 vcc, exec, s[2:3]
	v_mov_b32_e32 v1, s0
	s_cbranch_vccnz .LBB507_4
; %bb.3:
	v_mov_b32_e32 v2, s1
	v_mov_b32_e32 v1, s0
	flat_load_dwordx2 v[1:2], v[1:2]
.LBB507_4:
	s_waitcnt vmcnt(0) lgkmcnt(0)
	v_cmp_neq_f64_e32 vcc, 0, v[3:4]
	v_cmp_neq_f64_e64 s[0:1], 1.0, v[1:2]
	s_or_b64 s[0:1], vcc, s[0:1]
	s_and_saveexec_b64 s[2:3], s[0:1]
	s_cbranch_execz .LBB507_41
; %bb.5:
	s_load_dwordx4 s[0:3], s[4:5], 0x18
	s_load_dwordx2 s[8:9], s[4:5], 0x28
	s_waitcnt lgkmcnt(0)
	s_cmp_eq_u64 s[0:1], 0
	s_cbranch_scc1 .LBB507_7
; %bb.6:
	s_ashr_i32 s7, s6, 31
	s_lshl_b64 s[6:7], s[6:7], 2
	s_add_u32 s0, s0, s6
	s_addc_u32 s1, s1, s7
	s_load_dword s0, s[0:1], 0x0
	s_waitcnt lgkmcnt(0)
	s_sub_i32 s6, s0, s14
.LBB507_7:
	s_load_dword s7, s[4:5], 0x4
	s_load_dwordx2 s[12:13], s[4:5], 0x50
	v_mul_u32_u24_e32 v7, 0x925, v0
	v_mov_b32_e32 v5, 28
	v_mul_lo_u16_sdwa v5, v7, v5 dst_sel:DWORD dst_unused:UNUSED_PAD src0_sel:WORD_1 src1_sel:DWORD
	s_waitcnt lgkmcnt(0)
	s_cmp_eq_u32 s7, 1
	s_cselect_b64 s[0:1], -1, 0
	s_cmp_lg_u32 s7, 1
	s_cselect_b64 s[16:17], -1, 0
	s_ashr_i32 s7, s6, 31
	s_lshl_b64 s[10:11], s[6:7], 3
	s_add_u32 s2, s2, s10
	s_addc_u32 s3, s3, s11
	s_add_u32 s7, s2, 8
	s_addc_u32 s15, s3, 0
	;; [unrolled: 2-line block ×3, first 2 shown]
	s_cmp_eq_u64 s[8:9], 0
	s_cselect_b32 s9, s15, s11
	s_cselect_b32 s8, s7, s10
	s_load_dwordx2 s[18:19], s[8:9], 0x0
	s_load_dwordx2 s[20:21], s[2:3], 0x0
	v_sub_u16_e32 v14, v0, v5
	s_waitcnt lgkmcnt(0)
	v_mov_b32_e32 v5, s18
	v_mov_b32_e32 v6, s19
	v_cmp_ge_i64_e32 vcc, s[20:21], v[5:6]
	v_mov_b32_e32 v5, 0
	v_mov_b32_e32 v6, 0
	s_cbranch_vccnz .LBB507_12
; %bb.8:
	s_load_dwordx4 s[8:11], s[4:5], 0x30
	s_load_dwordx2 s[2:3], s[4:5], 0x40
	s_sub_u32 s4, s18, s14
	s_mov_b32 s7, 0xffff
	s_subb_u32 s5, s19, 0
	s_movk_i32 s15, 0x310
	v_and_b32_sdwa v5, s7, v7 dst_sel:DWORD dst_unused:UNUSED_PAD src0_sel:DWORD src1_sel:WORD_1
	v_subrev_u32_e32 v6, 28, v5
	v_cmp_gt_u32_e32 vcc, s15, v0
	s_sub_u32 s18, s20, s14
	v_cndmask_b32_e32 v5, v6, v5, vcc
	s_subb_u32 s19, s21, 0
	v_cndmask_b32_e64 v7, v14, v5, s[0:1]
	s_mul_i32 s0, s19, 0xc40
	s_mul_hi_u32 s1, s18, 0xc40
	s_add_i32 s1, s1, s0
	s_mul_i32 s0, s18, 0xc40
	s_waitcnt lgkmcnt(0)
	s_add_u32 s0, s10, s0
	s_addc_u32 s1, s11, s1
	v_lshlrev_b32_e32 v5, 2, v0
	v_mov_b32_e32 v6, s1
	v_add_co_u32_e32 v8, vcc, s0, v5
	v_addc_co_u32_e32 v9, vcc, 0, v6, vcc
	s_movk_i32 s0, 0x30f
	v_cmp_lt_u32_e32 vcc, s0, v0
	v_cndmask_b32_e64 v15, 0, 1, vcc
	v_mov_b32_e32 v5, s21
	v_add_co_u32_e32 v6, vcc, s20, v15
	v_addc_co_u32_e32 v10, vcc, 0, v5, vcc
	v_subrev_co_u32_e32 v5, vcc, s14, v6
	v_subbrev_co_u32_e32 v6, vcc, 0, v10, vcc
	v_lshlrev_b64 v[5:6], 2, v[5:6]
	v_mov_b32_e32 v11, s9
	v_add_co_u32_e32 v10, vcc, s8, v5
	v_addc_co_u32_e32 v11, vcc, v11, v6, vcc
	v_mov_b32_e32 v5, 0
	v_mov_b32_e32 v13, s5
	;; [unrolled: 1-line block ×4, first 2 shown]
	s_branch .LBB507_10
.LBB507_9:                              ;   in Loop: Header=BB507_10 Depth=1
	s_or_b64 exec, exec, s[0:1]
	s_add_u32 s18, s18, 1
	s_addc_u32 s19, s19, 0
	v_cmp_lt_i64_e32 vcc, s[18:19], v[12:13]
	v_add_co_u32_e64 v10, s[0:1], 4, v10
	v_addc_co_u32_e64 v11, s[0:1], 0, v11, s[0:1]
	s_cbranch_vccz .LBB507_12
.LBB507_10:                             ; =>This Inner Loop Header: Depth=1
	v_mov_b32_e32 v17, s19
	v_add_co_u32_e32 v16, vcc, s18, v15
	v_addc_co_u32_e32 v17, vcc, 0, v17, vcc
	v_cmp_gt_i64_e32 vcc, s[4:5], v[16:17]
	s_and_saveexec_b64 s[0:1], vcc
	s_cbranch_execz .LBB507_9
; %bb.11:                               ;   in Loop: Header=BB507_10 Depth=1
	global_load_dword v16, v[10:11], off
	global_load_dword v18, v[8:9], off
	v_mov_b32_e32 v19, s3
	s_waitcnt vmcnt(1)
	v_subrev_u32_e32 v16, s14, v16
	v_mad_u64_u32 v[16:17], s[8:9], v16, 28, v[7:8]
	v_ashrrev_i32_e32 v17, 31, v16
	v_lshlrev_b64 v[16:17], 3, v[16:17]
	v_add_co_u32_e32 v16, vcc, s2, v16
	v_addc_co_u32_e32 v17, vcc, v19, v17, vcc
	global_load_dwordx2 v[16:17], v[16:17], off
	s_waitcnt vmcnt(1)
	v_cvt_f64_f32_e32 v[18:19], v18
	v_add_co_u32_e32 v8, vcc, 0xc40, v8
	v_addc_co_u32_e32 v9, vcc, 0, v9, vcc
	s_waitcnt vmcnt(0)
	v_fma_f64 v[5:6], v[18:19], v[16:17], v[5:6]
	s_branch .LBB507_9
.LBB507_12:
	v_lshlrev_b32_e32 v9, 3, v0
	s_and_b64 vcc, exec, s[16:17]
	ds_write_b64 v9, v[5:6]
	s_waitcnt lgkmcnt(0)
	s_barrier
	s_cbranch_vccz .LBB507_24
; %bb.13:
	v_cmp_gt_u16_e32 vcc, 12, v14
	s_and_saveexec_b64 s[0:1], vcc
	s_cbranch_execz .LBB507_15
; %bb.14:
	ds_read2_b64 v[10:13], v9 offset1:16
	s_waitcnt lgkmcnt(0)
	v_add_f64 v[7:8], v[12:13], v[10:11]
	ds_write_b64 v9, v[7:8]
.LBB507_15:
	s_or_b64 exec, exec, s[0:1]
	v_cmp_gt_u16_e32 vcc, 8, v14
	s_waitcnt lgkmcnt(0)
	s_barrier
	s_and_saveexec_b64 s[0:1], vcc
	s_cbranch_execz .LBB507_17
; %bb.16:
	ds_read2_b64 v[10:13], v9 offset1:8
	s_waitcnt lgkmcnt(0)
	v_add_f64 v[7:8], v[12:13], v[10:11]
	ds_write_b64 v9, v[7:8]
.LBB507_17:
	s_or_b64 exec, exec, s[0:1]
	v_cmp_gt_u16_e32 vcc, 4, v14
	s_waitcnt lgkmcnt(0)
	s_barrier
	;; [unrolled: 12-line block ×3, first 2 shown]
	s_and_saveexec_b64 s[0:1], vcc
	s_cbranch_execz .LBB507_21
; %bb.20:
	ds_read2_b64 v[10:13], v9 offset1:2
	s_waitcnt lgkmcnt(0)
	v_add_f64 v[7:8], v[12:13], v[10:11]
	ds_write_b64 v9, v[7:8]
.LBB507_21:
	s_or_b64 exec, exec, s[0:1]
	v_mov_b32_e32 v8, v6
	v_cmp_gt_u32_e32 vcc, 28, v0
	v_mov_b32_e32 v7, v5
	s_waitcnt lgkmcnt(0)
	s_barrier
	s_and_saveexec_b64 s[0:1], vcc
	s_cbranch_execz .LBB507_23
; %bb.22:
	s_movk_i32 s2, 0xd8
	v_mad_u32_u24 v7, v0, s2, v9
	ds_read_b128 v[10:13], v7
	s_waitcnt lgkmcnt(0)
	v_add_f64 v[7:8], v[10:11], v[12:13]
.LBB507_23:
	s_or_b64 exec, exec, s[0:1]
	s_branch .LBB507_36
.LBB507_24:
                                        ; implicit-def: $vgpr7_vgpr8
	s_cbranch_execz .LBB507_36
; %bb.25:
	s_movk_i32 s0, 0x150
	v_cmp_gt_u32_e32 vcc, s0, v0
	s_and_saveexec_b64 s[0:1], vcc
	s_cbranch_execz .LBB507_27
; %bb.26:
	ds_read2st64_b64 v[10:13], v9 offset1:7
	s_waitcnt lgkmcnt(0)
	v_add_f64 v[7:8], v[12:13], v[10:11]
	ds_write_b64 v9, v[7:8]
.LBB507_27:
	s_or_b64 exec, exec, s[0:1]
	s_movk_i32 s0, 0xe0
	v_cmp_gt_u32_e32 vcc, s0, v0
	s_waitcnt lgkmcnt(0)
	s_barrier
	s_and_saveexec_b64 s[0:1], vcc
	s_cbranch_execz .LBB507_29
; %bb.28:
	ds_read2_b64 v[10:13], v9 offset1:224
	s_waitcnt lgkmcnt(0)
	v_add_f64 v[7:8], v[12:13], v[10:11]
	ds_write_b64 v9, v[7:8]
.LBB507_29:
	s_or_b64 exec, exec, s[0:1]
	s_movk_i32 s0, 0x70
	v_cmp_gt_u32_e32 vcc, s0, v0
	s_waitcnt lgkmcnt(0)
	s_barrier
	s_and_saveexec_b64 s[0:1], vcc
	s_cbranch_execz .LBB507_31
; %bb.30:
	ds_read2_b64 v[10:13], v9 offset1:112
	s_waitcnt lgkmcnt(0)
	v_add_f64 v[7:8], v[12:13], v[10:11]
	ds_write_b64 v9, v[7:8]
.LBB507_31:
	s_or_b64 exec, exec, s[0:1]
	v_cmp_gt_u32_e32 vcc, 56, v0
	s_waitcnt lgkmcnt(0)
	s_barrier
	s_and_saveexec_b64 s[0:1], vcc
	s_cbranch_execz .LBB507_33
; %bb.32:
	ds_read2_b64 v[10:13], v9 offset1:56
	s_waitcnt lgkmcnt(0)
	v_add_f64 v[7:8], v[12:13], v[10:11]
	ds_write_b64 v9, v[7:8]
.LBB507_33:
	s_or_b64 exec, exec, s[0:1]
	v_cmp_gt_u32_e32 vcc, 28, v0
	s_waitcnt lgkmcnt(0)
	s_and_saveexec_b64 s[0:1], vcc
	s_cbranch_execz .LBB507_35
; %bb.34:
	ds_read2_b64 v[5:8], v9 offset1:28
	s_waitcnt lgkmcnt(0)
	v_add_f64 v[5:6], v[5:6], v[7:8]
.LBB507_35:
	s_or_b64 exec, exec, s[0:1]
	v_mov_b32_e32 v8, v6
	v_mov_b32_e32 v7, v5
.LBB507_36:
	v_cmp_gt_u32_e32 vcc, 28, v0
	s_and_b64 exec, exec, vcc
	s_cbranch_execz .LBB507_41
; %bb.37:
	v_cmp_eq_f64_e32 vcc, 0, v[1:2]
	v_mul_f64 v[3:4], v[3:4], v[7:8]
	s_and_saveexec_b64 s[0:1], vcc
	s_xor_b64 s[0:1], exec, s[0:1]
	s_cbranch_execz .LBB507_39
; %bb.38:
	v_mad_u64_u32 v[0:1], s[2:3], s6, 28, v[0:1]
	v_mov_b32_e32 v1, 0
	v_mov_b32_e32 v2, s13
	v_lshlrev_b64 v[0:1], 3, v[0:1]
	v_add_co_u32_e32 v0, vcc, s12, v0
	v_addc_co_u32_e32 v1, vcc, v2, v1, vcc
	global_store_dwordx2 v[0:1], v[3:4], off
                                        ; implicit-def: $vgpr0
                                        ; implicit-def: $vgpr1_vgpr2
                                        ; implicit-def: $vgpr3_vgpr4
.LBB507_39:
	s_andn2_saveexec_b64 s[0:1], s[0:1]
	s_cbranch_execz .LBB507_41
; %bb.40:
	v_mad_u64_u32 v[5:6], s[0:1], s6, 28, v[0:1]
	v_mov_b32_e32 v6, 0
	v_mov_b32_e32 v0, s13
	v_lshlrev_b64 v[5:6], 3, v[5:6]
	v_add_co_u32_e32 v5, vcc, s12, v5
	v_addc_co_u32_e32 v6, vcc, v0, v6, vcc
	global_load_dwordx2 v[7:8], v[5:6], off
	s_waitcnt vmcnt(0)
	v_fma_f64 v[0:1], v[1:2], v[7:8], v[3:4]
	global_store_dwordx2 v[5:6], v[0:1], off
.LBB507_41:
	s_endpgm
	.section	.rodata,"a",@progbits
	.p2align	6, 0x0
	.amdhsa_kernel _ZN9rocsparseL20bsrxmvn_17_32_kernelILj28EdlifddEEvT2_20rocsparse_direction_NS_24const_host_device_scalarIT0_EES1_PKS1_PKT1_SA_S7_PKT3_PKT4_S5_PT5_21rocsparse_index_base_b
		.amdhsa_group_segment_fixed_size 6272
		.amdhsa_private_segment_fixed_size 0
		.amdhsa_kernarg_size 96
		.amdhsa_user_sgpr_count 6
		.amdhsa_user_sgpr_private_segment_buffer 1
		.amdhsa_user_sgpr_dispatch_ptr 0
		.amdhsa_user_sgpr_queue_ptr 0
		.amdhsa_user_sgpr_kernarg_segment_ptr 1
		.amdhsa_user_sgpr_dispatch_id 0
		.amdhsa_user_sgpr_flat_scratch_init 0
		.amdhsa_user_sgpr_private_segment_size 0
		.amdhsa_uses_dynamic_stack 0
		.amdhsa_system_sgpr_private_segment_wavefront_offset 0
		.amdhsa_system_sgpr_workgroup_id_x 1
		.amdhsa_system_sgpr_workgroup_id_y 0
		.amdhsa_system_sgpr_workgroup_id_z 0
		.amdhsa_system_sgpr_workgroup_info 0
		.amdhsa_system_vgpr_workitem_id 0
		.amdhsa_next_free_vgpr 20
		.amdhsa_next_free_sgpr 22
		.amdhsa_reserve_vcc 1
		.amdhsa_reserve_flat_scratch 0
		.amdhsa_float_round_mode_32 0
		.amdhsa_float_round_mode_16_64 0
		.amdhsa_float_denorm_mode_32 3
		.amdhsa_float_denorm_mode_16_64 3
		.amdhsa_dx10_clamp 1
		.amdhsa_ieee_mode 1
		.amdhsa_fp16_overflow 0
		.amdhsa_exception_fp_ieee_invalid_op 0
		.amdhsa_exception_fp_denorm_src 0
		.amdhsa_exception_fp_ieee_div_zero 0
		.amdhsa_exception_fp_ieee_overflow 0
		.amdhsa_exception_fp_ieee_underflow 0
		.amdhsa_exception_fp_ieee_inexact 0
		.amdhsa_exception_int_div_zero 0
	.end_amdhsa_kernel
	.section	.text._ZN9rocsparseL20bsrxmvn_17_32_kernelILj28EdlifddEEvT2_20rocsparse_direction_NS_24const_host_device_scalarIT0_EES1_PKS1_PKT1_SA_S7_PKT3_PKT4_S5_PT5_21rocsparse_index_base_b,"axG",@progbits,_ZN9rocsparseL20bsrxmvn_17_32_kernelILj28EdlifddEEvT2_20rocsparse_direction_NS_24const_host_device_scalarIT0_EES1_PKS1_PKT1_SA_S7_PKT3_PKT4_S5_PT5_21rocsparse_index_base_b,comdat
.Lfunc_end507:
	.size	_ZN9rocsparseL20bsrxmvn_17_32_kernelILj28EdlifddEEvT2_20rocsparse_direction_NS_24const_host_device_scalarIT0_EES1_PKS1_PKT1_SA_S7_PKT3_PKT4_S5_PT5_21rocsparse_index_base_b, .Lfunc_end507-_ZN9rocsparseL20bsrxmvn_17_32_kernelILj28EdlifddEEvT2_20rocsparse_direction_NS_24const_host_device_scalarIT0_EES1_PKS1_PKT1_SA_S7_PKT3_PKT4_S5_PT5_21rocsparse_index_base_b
                                        ; -- End function
	.set _ZN9rocsparseL20bsrxmvn_17_32_kernelILj28EdlifddEEvT2_20rocsparse_direction_NS_24const_host_device_scalarIT0_EES1_PKS1_PKT1_SA_S7_PKT3_PKT4_S5_PT5_21rocsparse_index_base_b.num_vgpr, 20
	.set _ZN9rocsparseL20bsrxmvn_17_32_kernelILj28EdlifddEEvT2_20rocsparse_direction_NS_24const_host_device_scalarIT0_EES1_PKS1_PKT1_SA_S7_PKT3_PKT4_S5_PT5_21rocsparse_index_base_b.num_agpr, 0
	.set _ZN9rocsparseL20bsrxmvn_17_32_kernelILj28EdlifddEEvT2_20rocsparse_direction_NS_24const_host_device_scalarIT0_EES1_PKS1_PKT1_SA_S7_PKT3_PKT4_S5_PT5_21rocsparse_index_base_b.numbered_sgpr, 22
	.set _ZN9rocsparseL20bsrxmvn_17_32_kernelILj28EdlifddEEvT2_20rocsparse_direction_NS_24const_host_device_scalarIT0_EES1_PKS1_PKT1_SA_S7_PKT3_PKT4_S5_PT5_21rocsparse_index_base_b.num_named_barrier, 0
	.set _ZN9rocsparseL20bsrxmvn_17_32_kernelILj28EdlifddEEvT2_20rocsparse_direction_NS_24const_host_device_scalarIT0_EES1_PKS1_PKT1_SA_S7_PKT3_PKT4_S5_PT5_21rocsparse_index_base_b.private_seg_size, 0
	.set _ZN9rocsparseL20bsrxmvn_17_32_kernelILj28EdlifddEEvT2_20rocsparse_direction_NS_24const_host_device_scalarIT0_EES1_PKS1_PKT1_SA_S7_PKT3_PKT4_S5_PT5_21rocsparse_index_base_b.uses_vcc, 1
	.set _ZN9rocsparseL20bsrxmvn_17_32_kernelILj28EdlifddEEvT2_20rocsparse_direction_NS_24const_host_device_scalarIT0_EES1_PKS1_PKT1_SA_S7_PKT3_PKT4_S5_PT5_21rocsparse_index_base_b.uses_flat_scratch, 0
	.set _ZN9rocsparseL20bsrxmvn_17_32_kernelILj28EdlifddEEvT2_20rocsparse_direction_NS_24const_host_device_scalarIT0_EES1_PKS1_PKT1_SA_S7_PKT3_PKT4_S5_PT5_21rocsparse_index_base_b.has_dyn_sized_stack, 0
	.set _ZN9rocsparseL20bsrxmvn_17_32_kernelILj28EdlifddEEvT2_20rocsparse_direction_NS_24const_host_device_scalarIT0_EES1_PKS1_PKT1_SA_S7_PKT3_PKT4_S5_PT5_21rocsparse_index_base_b.has_recursion, 0
	.set _ZN9rocsparseL20bsrxmvn_17_32_kernelILj28EdlifddEEvT2_20rocsparse_direction_NS_24const_host_device_scalarIT0_EES1_PKS1_PKT1_SA_S7_PKT3_PKT4_S5_PT5_21rocsparse_index_base_b.has_indirect_call, 0
	.section	.AMDGPU.csdata,"",@progbits
; Kernel info:
; codeLenInByte = 1412
; TotalNumSgprs: 26
; NumVgprs: 20
; ScratchSize: 0
; MemoryBound: 0
; FloatMode: 240
; IeeeMode: 1
; LDSByteSize: 6272 bytes/workgroup (compile time only)
; SGPRBlocks: 3
; VGPRBlocks: 4
; NumSGPRsForWavesPerEU: 26
; NumVGPRsForWavesPerEU: 20
; Occupancy: 10
; WaveLimiterHint : 1
; COMPUTE_PGM_RSRC2:SCRATCH_EN: 0
; COMPUTE_PGM_RSRC2:USER_SGPR: 6
; COMPUTE_PGM_RSRC2:TRAP_HANDLER: 0
; COMPUTE_PGM_RSRC2:TGID_X_EN: 1
; COMPUTE_PGM_RSRC2:TGID_Y_EN: 0
; COMPUTE_PGM_RSRC2:TGID_Z_EN: 0
; COMPUTE_PGM_RSRC2:TIDIG_COMP_CNT: 0
	.section	.text._ZN9rocsparseL20bsrxmvn_17_32_kernelILj29EdlifddEEvT2_20rocsparse_direction_NS_24const_host_device_scalarIT0_EES1_PKS1_PKT1_SA_S7_PKT3_PKT4_S5_PT5_21rocsparse_index_base_b,"axG",@progbits,_ZN9rocsparseL20bsrxmvn_17_32_kernelILj29EdlifddEEvT2_20rocsparse_direction_NS_24const_host_device_scalarIT0_EES1_PKS1_PKT1_SA_S7_PKT3_PKT4_S5_PT5_21rocsparse_index_base_b,comdat
	.globl	_ZN9rocsparseL20bsrxmvn_17_32_kernelILj29EdlifddEEvT2_20rocsparse_direction_NS_24const_host_device_scalarIT0_EES1_PKS1_PKT1_SA_S7_PKT3_PKT4_S5_PT5_21rocsparse_index_base_b ; -- Begin function _ZN9rocsparseL20bsrxmvn_17_32_kernelILj29EdlifddEEvT2_20rocsparse_direction_NS_24const_host_device_scalarIT0_EES1_PKS1_PKT1_SA_S7_PKT3_PKT4_S5_PT5_21rocsparse_index_base_b
	.p2align	8
	.type	_ZN9rocsparseL20bsrxmvn_17_32_kernelILj29EdlifddEEvT2_20rocsparse_direction_NS_24const_host_device_scalarIT0_EES1_PKS1_PKT1_SA_S7_PKT3_PKT4_S5_PT5_21rocsparse_index_base_b,@function
_ZN9rocsparseL20bsrxmvn_17_32_kernelILj29EdlifddEEvT2_20rocsparse_direction_NS_24const_host_device_scalarIT0_EES1_PKS1_PKT1_SA_S7_PKT3_PKT4_S5_PT5_21rocsparse_index_base_b: ; @_ZN9rocsparseL20bsrxmvn_17_32_kernelILj29EdlifddEEvT2_20rocsparse_direction_NS_24const_host_device_scalarIT0_EES1_PKS1_PKT1_SA_S7_PKT3_PKT4_S5_PT5_21rocsparse_index_base_b
; %bb.0:
	s_load_dwordx2 s[14:15], s[4:5], 0x58
	s_load_dwordx2 s[8:9], s[4:5], 0x8
	;; [unrolled: 1-line block ×3, first 2 shown]
	s_waitcnt lgkmcnt(0)
	s_bitcmp1_b32 s15, 0
	s_cselect_b64 s[10:11], -1, 0
	v_mov_b32_e32 v3, s8
	s_xor_b64 s[2:3], s[10:11], -1
	s_and_b64 vcc, exec, s[10:11]
	v_mov_b32_e32 v4, s9
	s_cbranch_vccnz .LBB508_2
; %bb.1:
	v_mov_b32_e32 v1, s8
	v_mov_b32_e32 v2, s9
	flat_load_dwordx2 v[3:4], v[1:2]
.LBB508_2:
	v_mov_b32_e32 v2, s1
	s_andn2_b64 vcc, exec, s[2:3]
	v_mov_b32_e32 v1, s0
	s_cbranch_vccnz .LBB508_4
; %bb.3:
	v_mov_b32_e32 v2, s1
	v_mov_b32_e32 v1, s0
	flat_load_dwordx2 v[1:2], v[1:2]
.LBB508_4:
	s_waitcnt vmcnt(0) lgkmcnt(0)
	v_cmp_neq_f64_e32 vcc, 0, v[3:4]
	v_cmp_neq_f64_e64 s[0:1], 1.0, v[1:2]
	s_or_b64 s[0:1], vcc, s[0:1]
	s_and_saveexec_b64 s[2:3], s[0:1]
	s_cbranch_execz .LBB508_41
; %bb.5:
	s_load_dwordx4 s[0:3], s[4:5], 0x18
	s_load_dwordx2 s[8:9], s[4:5], 0x28
	s_waitcnt lgkmcnt(0)
	s_cmp_eq_u64 s[0:1], 0
	s_cbranch_scc1 .LBB508_7
; %bb.6:
	s_ashr_i32 s7, s6, 31
	s_lshl_b64 s[6:7], s[6:7], 2
	s_add_u32 s0, s0, s6
	s_addc_u32 s1, s1, s7
	s_load_dword s0, s[0:1], 0x0
	s_waitcnt lgkmcnt(0)
	s_sub_i32 s6, s0, s14
.LBB508_7:
	s_load_dword s7, s[4:5], 0x4
	s_load_dwordx2 s[12:13], s[4:5], 0x50
	v_mul_u32_u24_e32 v7, 0x8d4, v0
	v_mov_b32_e32 v5, 29
	v_mul_lo_u16_sdwa v5, v7, v5 dst_sel:DWORD dst_unused:UNUSED_PAD src0_sel:WORD_1 src1_sel:DWORD
	s_waitcnt lgkmcnt(0)
	s_cmp_eq_u32 s7, 1
	s_cselect_b64 s[0:1], -1, 0
	s_cmp_lg_u32 s7, 1
	s_cselect_b64 s[16:17], -1, 0
	s_ashr_i32 s7, s6, 31
	s_lshl_b64 s[10:11], s[6:7], 3
	s_add_u32 s2, s2, s10
	s_addc_u32 s3, s3, s11
	s_add_u32 s7, s2, 8
	s_addc_u32 s15, s3, 0
	;; [unrolled: 2-line block ×3, first 2 shown]
	s_cmp_eq_u64 s[8:9], 0
	s_cselect_b32 s9, s15, s11
	s_cselect_b32 s8, s7, s10
	s_load_dwordx2 s[18:19], s[8:9], 0x0
	s_load_dwordx2 s[20:21], s[2:3], 0x0
	v_sub_u16_e32 v14, v0, v5
	s_waitcnt lgkmcnt(0)
	v_mov_b32_e32 v5, s18
	v_mov_b32_e32 v6, s19
	v_cmp_ge_i64_e32 vcc, s[20:21], v[5:6]
	v_mov_b32_e32 v5, 0
	v_mov_b32_e32 v6, 0
	s_cbranch_vccnz .LBB508_12
; %bb.8:
	s_load_dwordx4 s[8:11], s[4:5], 0x30
	s_load_dwordx2 s[2:3], s[4:5], 0x40
	s_sub_u32 s4, s18, s14
	s_mov_b32 s7, 0xffff
	s_subb_u32 s5, s19, 0
	s_movk_i32 s15, 0x349
	v_and_b32_sdwa v5, s7, v7 dst_sel:DWORD dst_unused:UNUSED_PAD src0_sel:DWORD src1_sel:WORD_1
	v_subrev_u32_e32 v6, 29, v5
	v_cmp_gt_u32_e32 vcc, s15, v0
	s_sub_u32 s18, s20, s14
	v_cndmask_b32_e32 v5, v6, v5, vcc
	s_subb_u32 s19, s21, 0
	v_cndmask_b32_e64 v7, v14, v5, s[0:1]
	s_mul_i32 s0, s19, 0xd24
	s_mul_hi_u32 s1, s18, 0xd24
	s_add_i32 s1, s1, s0
	s_mul_i32 s0, s18, 0xd24
	s_waitcnt lgkmcnt(0)
	s_add_u32 s0, s10, s0
	s_addc_u32 s1, s11, s1
	v_lshlrev_b32_e32 v5, 2, v0
	v_mov_b32_e32 v6, s1
	v_add_co_u32_e32 v8, vcc, s0, v5
	v_addc_co_u32_e32 v9, vcc, 0, v6, vcc
	s_movk_i32 s0, 0x348
	v_cmp_lt_u32_e32 vcc, s0, v0
	v_cndmask_b32_e64 v15, 0, 1, vcc
	v_mov_b32_e32 v5, s21
	v_add_co_u32_e32 v6, vcc, s20, v15
	v_addc_co_u32_e32 v10, vcc, 0, v5, vcc
	v_subrev_co_u32_e32 v5, vcc, s14, v6
	v_subbrev_co_u32_e32 v6, vcc, 0, v10, vcc
	v_lshlrev_b64 v[5:6], 2, v[5:6]
	v_mov_b32_e32 v11, s9
	v_add_co_u32_e32 v10, vcc, s8, v5
	v_addc_co_u32_e32 v11, vcc, v11, v6, vcc
	v_mov_b32_e32 v5, 0
	v_mov_b32_e32 v13, s5
	;; [unrolled: 1-line block ×4, first 2 shown]
	s_branch .LBB508_10
.LBB508_9:                              ;   in Loop: Header=BB508_10 Depth=1
	s_or_b64 exec, exec, s[0:1]
	s_add_u32 s18, s18, 1
	s_addc_u32 s19, s19, 0
	v_cmp_lt_i64_e32 vcc, s[18:19], v[12:13]
	v_add_co_u32_e64 v10, s[0:1], 4, v10
	v_addc_co_u32_e64 v11, s[0:1], 0, v11, s[0:1]
	s_cbranch_vccz .LBB508_12
.LBB508_10:                             ; =>This Inner Loop Header: Depth=1
	v_mov_b32_e32 v17, s19
	v_add_co_u32_e32 v16, vcc, s18, v15
	v_addc_co_u32_e32 v17, vcc, 0, v17, vcc
	v_cmp_gt_i64_e32 vcc, s[4:5], v[16:17]
	s_and_saveexec_b64 s[0:1], vcc
	s_cbranch_execz .LBB508_9
; %bb.11:                               ;   in Loop: Header=BB508_10 Depth=1
	global_load_dword v16, v[10:11], off
	global_load_dword v18, v[8:9], off
	v_mov_b32_e32 v19, s3
	s_waitcnt vmcnt(1)
	v_subrev_u32_e32 v16, s14, v16
	v_mad_u64_u32 v[16:17], s[8:9], v16, 29, v[7:8]
	v_ashrrev_i32_e32 v17, 31, v16
	v_lshlrev_b64 v[16:17], 3, v[16:17]
	v_add_co_u32_e32 v16, vcc, s2, v16
	v_addc_co_u32_e32 v17, vcc, v19, v17, vcc
	global_load_dwordx2 v[16:17], v[16:17], off
	s_waitcnt vmcnt(1)
	v_cvt_f64_f32_e32 v[18:19], v18
	v_add_co_u32_e32 v8, vcc, 0xd24, v8
	v_addc_co_u32_e32 v9, vcc, 0, v9, vcc
	s_waitcnt vmcnt(0)
	v_fma_f64 v[5:6], v[18:19], v[16:17], v[5:6]
	s_branch .LBB508_9
.LBB508_12:
	v_lshlrev_b32_e32 v9, 3, v0
	s_and_b64 vcc, exec, s[16:17]
	ds_write_b64 v9, v[5:6]
	s_waitcnt lgkmcnt(0)
	s_barrier
	s_cbranch_vccz .LBB508_24
; %bb.13:
	v_cmp_gt_u16_e32 vcc, 13, v14
	s_and_saveexec_b64 s[0:1], vcc
	s_cbranch_execz .LBB508_15
; %bb.14:
	ds_read2_b64 v[10:13], v9 offset1:16
	s_waitcnt lgkmcnt(0)
	v_add_f64 v[7:8], v[12:13], v[10:11]
	ds_write_b64 v9, v[7:8]
.LBB508_15:
	s_or_b64 exec, exec, s[0:1]
	v_cmp_gt_u16_e32 vcc, 8, v14
	s_waitcnt lgkmcnt(0)
	s_barrier
	s_and_saveexec_b64 s[0:1], vcc
	s_cbranch_execz .LBB508_17
; %bb.16:
	ds_read2_b64 v[10:13], v9 offset1:8
	s_waitcnt lgkmcnt(0)
	v_add_f64 v[7:8], v[12:13], v[10:11]
	ds_write_b64 v9, v[7:8]
.LBB508_17:
	s_or_b64 exec, exec, s[0:1]
	v_cmp_gt_u16_e32 vcc, 4, v14
	s_waitcnt lgkmcnt(0)
	s_barrier
	s_and_saveexec_b64 s[0:1], vcc
	s_cbranch_execz .LBB508_19
; %bb.18:
	ds_read2_b64 v[10:13], v9 offset1:4
	s_waitcnt lgkmcnt(0)
	v_add_f64 v[7:8], v[12:13], v[10:11]
	ds_write_b64 v9, v[7:8]
.LBB508_19:
	s_or_b64 exec, exec, s[0:1]
	v_cmp_gt_u16_e32 vcc, 2, v14
	s_waitcnt lgkmcnt(0)
	s_barrier
	s_and_saveexec_b64 s[0:1], vcc
	s_cbranch_execz .LBB508_21
; %bb.20:
	ds_read2_b64 v[10:13], v9 offset1:2
	s_waitcnt lgkmcnt(0)
	v_add_f64 v[7:8], v[12:13], v[10:11]
	ds_write_b64 v9, v[7:8]
.LBB508_21:
	s_or_b64 exec, exec, s[0:1]
	v_mov_b32_e32 v8, v6
	v_cmp_gt_u32_e32 vcc, 29, v0
	v_mov_b32_e32 v7, v5
	s_waitcnt lgkmcnt(0)
	s_barrier
	s_and_saveexec_b64 s[0:1], vcc
	s_cbranch_execz .LBB508_23
; %bb.22:
	s_movk_i32 s2, 0xe0
	v_mad_u32_u24 v7, v0, s2, v9
	ds_read2_b64 v[10:13], v7 offset1:1
	s_waitcnt lgkmcnt(0)
	v_add_f64 v[7:8], v[10:11], v[12:13]
.LBB508_23:
	s_or_b64 exec, exec, s[0:1]
	s_branch .LBB508_36
.LBB508_24:
                                        ; implicit-def: $vgpr7_vgpr8
	s_cbranch_execz .LBB508_36
; %bb.25:
	s_movk_i32 s0, 0x179
	v_cmp_gt_u32_e32 vcc, s0, v0
	s_and_saveexec_b64 s[0:1], vcc
	s_cbranch_execz .LBB508_27
; %bb.26:
	ds_read_b64 v[7:8], v9 offset:3712
	ds_read_b64 v[10:11], v9
	s_waitcnt lgkmcnt(0)
	v_add_f64 v[7:8], v[7:8], v[10:11]
	ds_write_b64 v9, v[7:8]
.LBB508_27:
	s_or_b64 exec, exec, s[0:1]
	s_movk_i32 s0, 0xe8
	v_cmp_gt_u32_e32 vcc, s0, v0
	s_waitcnt lgkmcnt(0)
	s_barrier
	s_and_saveexec_b64 s[0:1], vcc
	s_cbranch_execz .LBB508_29
; %bb.28:
	ds_read2_b64 v[10:13], v9 offset1:232
	s_waitcnt lgkmcnt(0)
	v_add_f64 v[7:8], v[12:13], v[10:11]
	ds_write_b64 v9, v[7:8]
.LBB508_29:
	s_or_b64 exec, exec, s[0:1]
	s_movk_i32 s0, 0x74
	v_cmp_gt_u32_e32 vcc, s0, v0
	s_waitcnt lgkmcnt(0)
	s_barrier
	s_and_saveexec_b64 s[0:1], vcc
	s_cbranch_execz .LBB508_31
; %bb.30:
	ds_read2_b64 v[10:13], v9 offset1:116
	s_waitcnt lgkmcnt(0)
	v_add_f64 v[7:8], v[12:13], v[10:11]
	ds_write_b64 v9, v[7:8]
.LBB508_31:
	s_or_b64 exec, exec, s[0:1]
	v_cmp_gt_u32_e32 vcc, 58, v0
	s_waitcnt lgkmcnt(0)
	s_barrier
	s_and_saveexec_b64 s[0:1], vcc
	s_cbranch_execz .LBB508_33
; %bb.32:
	ds_read2_b64 v[10:13], v9 offset1:58
	s_waitcnt lgkmcnt(0)
	v_add_f64 v[7:8], v[12:13], v[10:11]
	ds_write_b64 v9, v[7:8]
.LBB508_33:
	s_or_b64 exec, exec, s[0:1]
	v_cmp_gt_u32_e32 vcc, 29, v0
	s_waitcnt lgkmcnt(0)
	s_and_saveexec_b64 s[0:1], vcc
	s_cbranch_execz .LBB508_35
; %bb.34:
	ds_read2_b64 v[5:8], v9 offset1:29
	s_waitcnt lgkmcnt(0)
	v_add_f64 v[5:6], v[5:6], v[7:8]
.LBB508_35:
	s_or_b64 exec, exec, s[0:1]
	v_mov_b32_e32 v8, v6
	v_mov_b32_e32 v7, v5
.LBB508_36:
	v_cmp_gt_u32_e32 vcc, 29, v0
	s_and_b64 exec, exec, vcc
	s_cbranch_execz .LBB508_41
; %bb.37:
	v_cmp_eq_f64_e32 vcc, 0, v[1:2]
	v_mul_f64 v[3:4], v[3:4], v[7:8]
	s_and_saveexec_b64 s[0:1], vcc
	s_xor_b64 s[0:1], exec, s[0:1]
	s_cbranch_execz .LBB508_39
; %bb.38:
	v_mad_u64_u32 v[0:1], s[2:3], s6, 29, v[0:1]
	v_mov_b32_e32 v1, 0
	v_mov_b32_e32 v2, s13
	v_lshlrev_b64 v[0:1], 3, v[0:1]
	v_add_co_u32_e32 v0, vcc, s12, v0
	v_addc_co_u32_e32 v1, vcc, v2, v1, vcc
	global_store_dwordx2 v[0:1], v[3:4], off
                                        ; implicit-def: $vgpr0
                                        ; implicit-def: $vgpr1_vgpr2
                                        ; implicit-def: $vgpr3_vgpr4
.LBB508_39:
	s_andn2_saveexec_b64 s[0:1], s[0:1]
	s_cbranch_execz .LBB508_41
; %bb.40:
	v_mad_u64_u32 v[5:6], s[0:1], s6, 29, v[0:1]
	v_mov_b32_e32 v6, 0
	v_mov_b32_e32 v0, s13
	v_lshlrev_b64 v[5:6], 3, v[5:6]
	v_add_co_u32_e32 v5, vcc, s12, v5
	v_addc_co_u32_e32 v6, vcc, v0, v6, vcc
	global_load_dwordx2 v[7:8], v[5:6], off
	s_waitcnt vmcnt(0)
	v_fma_f64 v[0:1], v[1:2], v[7:8], v[3:4]
	global_store_dwordx2 v[5:6], v[0:1], off
.LBB508_41:
	s_endpgm
	.section	.rodata,"a",@progbits
	.p2align	6, 0x0
	.amdhsa_kernel _ZN9rocsparseL20bsrxmvn_17_32_kernelILj29EdlifddEEvT2_20rocsparse_direction_NS_24const_host_device_scalarIT0_EES1_PKS1_PKT1_SA_S7_PKT3_PKT4_S5_PT5_21rocsparse_index_base_b
		.amdhsa_group_segment_fixed_size 6728
		.amdhsa_private_segment_fixed_size 0
		.amdhsa_kernarg_size 96
		.amdhsa_user_sgpr_count 6
		.amdhsa_user_sgpr_private_segment_buffer 1
		.amdhsa_user_sgpr_dispatch_ptr 0
		.amdhsa_user_sgpr_queue_ptr 0
		.amdhsa_user_sgpr_kernarg_segment_ptr 1
		.amdhsa_user_sgpr_dispatch_id 0
		.amdhsa_user_sgpr_flat_scratch_init 0
		.amdhsa_user_sgpr_private_segment_size 0
		.amdhsa_uses_dynamic_stack 0
		.amdhsa_system_sgpr_private_segment_wavefront_offset 0
		.amdhsa_system_sgpr_workgroup_id_x 1
		.amdhsa_system_sgpr_workgroup_id_y 0
		.amdhsa_system_sgpr_workgroup_id_z 0
		.amdhsa_system_sgpr_workgroup_info 0
		.amdhsa_system_vgpr_workitem_id 0
		.amdhsa_next_free_vgpr 33
		.amdhsa_next_free_sgpr 77
		.amdhsa_reserve_vcc 1
		.amdhsa_reserve_flat_scratch 0
		.amdhsa_float_round_mode_32 0
		.amdhsa_float_round_mode_16_64 0
		.amdhsa_float_denorm_mode_32 3
		.amdhsa_float_denorm_mode_16_64 3
		.amdhsa_dx10_clamp 1
		.amdhsa_ieee_mode 1
		.amdhsa_fp16_overflow 0
		.amdhsa_exception_fp_ieee_invalid_op 0
		.amdhsa_exception_fp_denorm_src 0
		.amdhsa_exception_fp_ieee_div_zero 0
		.amdhsa_exception_fp_ieee_overflow 0
		.amdhsa_exception_fp_ieee_underflow 0
		.amdhsa_exception_fp_ieee_inexact 0
		.amdhsa_exception_int_div_zero 0
	.end_amdhsa_kernel
	.section	.text._ZN9rocsparseL20bsrxmvn_17_32_kernelILj29EdlifddEEvT2_20rocsparse_direction_NS_24const_host_device_scalarIT0_EES1_PKS1_PKT1_SA_S7_PKT3_PKT4_S5_PT5_21rocsparse_index_base_b,"axG",@progbits,_ZN9rocsparseL20bsrxmvn_17_32_kernelILj29EdlifddEEvT2_20rocsparse_direction_NS_24const_host_device_scalarIT0_EES1_PKS1_PKT1_SA_S7_PKT3_PKT4_S5_PT5_21rocsparse_index_base_b,comdat
.Lfunc_end508:
	.size	_ZN9rocsparseL20bsrxmvn_17_32_kernelILj29EdlifddEEvT2_20rocsparse_direction_NS_24const_host_device_scalarIT0_EES1_PKS1_PKT1_SA_S7_PKT3_PKT4_S5_PT5_21rocsparse_index_base_b, .Lfunc_end508-_ZN9rocsparseL20bsrxmvn_17_32_kernelILj29EdlifddEEvT2_20rocsparse_direction_NS_24const_host_device_scalarIT0_EES1_PKS1_PKT1_SA_S7_PKT3_PKT4_S5_PT5_21rocsparse_index_base_b
                                        ; -- End function
	.set _ZN9rocsparseL20bsrxmvn_17_32_kernelILj29EdlifddEEvT2_20rocsparse_direction_NS_24const_host_device_scalarIT0_EES1_PKS1_PKT1_SA_S7_PKT3_PKT4_S5_PT5_21rocsparse_index_base_b.num_vgpr, 20
	.set _ZN9rocsparseL20bsrxmvn_17_32_kernelILj29EdlifddEEvT2_20rocsparse_direction_NS_24const_host_device_scalarIT0_EES1_PKS1_PKT1_SA_S7_PKT3_PKT4_S5_PT5_21rocsparse_index_base_b.num_agpr, 0
	.set _ZN9rocsparseL20bsrxmvn_17_32_kernelILj29EdlifddEEvT2_20rocsparse_direction_NS_24const_host_device_scalarIT0_EES1_PKS1_PKT1_SA_S7_PKT3_PKT4_S5_PT5_21rocsparse_index_base_b.numbered_sgpr, 22
	.set _ZN9rocsparseL20bsrxmvn_17_32_kernelILj29EdlifddEEvT2_20rocsparse_direction_NS_24const_host_device_scalarIT0_EES1_PKS1_PKT1_SA_S7_PKT3_PKT4_S5_PT5_21rocsparse_index_base_b.num_named_barrier, 0
	.set _ZN9rocsparseL20bsrxmvn_17_32_kernelILj29EdlifddEEvT2_20rocsparse_direction_NS_24const_host_device_scalarIT0_EES1_PKS1_PKT1_SA_S7_PKT3_PKT4_S5_PT5_21rocsparse_index_base_b.private_seg_size, 0
	.set _ZN9rocsparseL20bsrxmvn_17_32_kernelILj29EdlifddEEvT2_20rocsparse_direction_NS_24const_host_device_scalarIT0_EES1_PKS1_PKT1_SA_S7_PKT3_PKT4_S5_PT5_21rocsparse_index_base_b.uses_vcc, 1
	.set _ZN9rocsparseL20bsrxmvn_17_32_kernelILj29EdlifddEEvT2_20rocsparse_direction_NS_24const_host_device_scalarIT0_EES1_PKS1_PKT1_SA_S7_PKT3_PKT4_S5_PT5_21rocsparse_index_base_b.uses_flat_scratch, 0
	.set _ZN9rocsparseL20bsrxmvn_17_32_kernelILj29EdlifddEEvT2_20rocsparse_direction_NS_24const_host_device_scalarIT0_EES1_PKS1_PKT1_SA_S7_PKT3_PKT4_S5_PT5_21rocsparse_index_base_b.has_dyn_sized_stack, 0
	.set _ZN9rocsparseL20bsrxmvn_17_32_kernelILj29EdlifddEEvT2_20rocsparse_direction_NS_24const_host_device_scalarIT0_EES1_PKS1_PKT1_SA_S7_PKT3_PKT4_S5_PT5_21rocsparse_index_base_b.has_recursion, 0
	.set _ZN9rocsparseL20bsrxmvn_17_32_kernelILj29EdlifddEEvT2_20rocsparse_direction_NS_24const_host_device_scalarIT0_EES1_PKS1_PKT1_SA_S7_PKT3_PKT4_S5_PT5_21rocsparse_index_base_b.has_indirect_call, 0
	.section	.AMDGPU.csdata,"",@progbits
; Kernel info:
; codeLenInByte = 1420
; TotalNumSgprs: 26
; NumVgprs: 20
; ScratchSize: 0
; MemoryBound: 0
; FloatMode: 240
; IeeeMode: 1
; LDSByteSize: 6728 bytes/workgroup (compile time only)
; SGPRBlocks: 10
; VGPRBlocks: 8
; NumSGPRsForWavesPerEU: 81
; NumVGPRsForWavesPerEU: 33
; Occupancy: 7
; WaveLimiterHint : 1
; COMPUTE_PGM_RSRC2:SCRATCH_EN: 0
; COMPUTE_PGM_RSRC2:USER_SGPR: 6
; COMPUTE_PGM_RSRC2:TRAP_HANDLER: 0
; COMPUTE_PGM_RSRC2:TGID_X_EN: 1
; COMPUTE_PGM_RSRC2:TGID_Y_EN: 0
; COMPUTE_PGM_RSRC2:TGID_Z_EN: 0
; COMPUTE_PGM_RSRC2:TIDIG_COMP_CNT: 0
	.section	.text._ZN9rocsparseL20bsrxmvn_17_32_kernelILj30EdlifddEEvT2_20rocsparse_direction_NS_24const_host_device_scalarIT0_EES1_PKS1_PKT1_SA_S7_PKT3_PKT4_S5_PT5_21rocsparse_index_base_b,"axG",@progbits,_ZN9rocsparseL20bsrxmvn_17_32_kernelILj30EdlifddEEvT2_20rocsparse_direction_NS_24const_host_device_scalarIT0_EES1_PKS1_PKT1_SA_S7_PKT3_PKT4_S5_PT5_21rocsparse_index_base_b,comdat
	.globl	_ZN9rocsparseL20bsrxmvn_17_32_kernelILj30EdlifddEEvT2_20rocsparse_direction_NS_24const_host_device_scalarIT0_EES1_PKS1_PKT1_SA_S7_PKT3_PKT4_S5_PT5_21rocsparse_index_base_b ; -- Begin function _ZN9rocsparseL20bsrxmvn_17_32_kernelILj30EdlifddEEvT2_20rocsparse_direction_NS_24const_host_device_scalarIT0_EES1_PKS1_PKT1_SA_S7_PKT3_PKT4_S5_PT5_21rocsparse_index_base_b
	.p2align	8
	.type	_ZN9rocsparseL20bsrxmvn_17_32_kernelILj30EdlifddEEvT2_20rocsparse_direction_NS_24const_host_device_scalarIT0_EES1_PKS1_PKT1_SA_S7_PKT3_PKT4_S5_PT5_21rocsparse_index_base_b,@function
_ZN9rocsparseL20bsrxmvn_17_32_kernelILj30EdlifddEEvT2_20rocsparse_direction_NS_24const_host_device_scalarIT0_EES1_PKS1_PKT1_SA_S7_PKT3_PKT4_S5_PT5_21rocsparse_index_base_b: ; @_ZN9rocsparseL20bsrxmvn_17_32_kernelILj30EdlifddEEvT2_20rocsparse_direction_NS_24const_host_device_scalarIT0_EES1_PKS1_PKT1_SA_S7_PKT3_PKT4_S5_PT5_21rocsparse_index_base_b
; %bb.0:
	s_load_dwordx2 s[14:15], s[4:5], 0x58
	s_load_dwordx2 s[8:9], s[4:5], 0x8
	;; [unrolled: 1-line block ×3, first 2 shown]
	s_waitcnt lgkmcnt(0)
	s_bitcmp1_b32 s15, 0
	s_cselect_b64 s[10:11], -1, 0
	v_mov_b32_e32 v3, s8
	s_xor_b64 s[2:3], s[10:11], -1
	s_and_b64 vcc, exec, s[10:11]
	v_mov_b32_e32 v4, s9
	s_cbranch_vccnz .LBB509_2
; %bb.1:
	v_mov_b32_e32 v1, s8
	v_mov_b32_e32 v2, s9
	flat_load_dwordx2 v[3:4], v[1:2]
.LBB509_2:
	v_mov_b32_e32 v2, s1
	s_andn2_b64 vcc, exec, s[2:3]
	v_mov_b32_e32 v1, s0
	s_cbranch_vccnz .LBB509_4
; %bb.3:
	v_mov_b32_e32 v2, s1
	v_mov_b32_e32 v1, s0
	flat_load_dwordx2 v[1:2], v[1:2]
.LBB509_4:
	s_waitcnt vmcnt(0) lgkmcnt(0)
	v_cmp_neq_f64_e32 vcc, 0, v[3:4]
	v_cmp_neq_f64_e64 s[0:1], 1.0, v[1:2]
	s_or_b64 s[0:1], vcc, s[0:1]
	s_and_saveexec_b64 s[2:3], s[0:1]
	s_cbranch_execz .LBB509_41
; %bb.5:
	s_load_dwordx4 s[0:3], s[4:5], 0x18
	s_load_dwordx2 s[8:9], s[4:5], 0x28
	s_waitcnt lgkmcnt(0)
	s_cmp_eq_u64 s[0:1], 0
	s_cbranch_scc1 .LBB509_7
; %bb.6:
	s_ashr_i32 s7, s6, 31
	s_lshl_b64 s[6:7], s[6:7], 2
	s_add_u32 s0, s0, s6
	s_addc_u32 s1, s1, s7
	s_load_dword s0, s[0:1], 0x0
	s_waitcnt lgkmcnt(0)
	s_sub_i32 s6, s0, s14
.LBB509_7:
	s_load_dword s7, s[4:5], 0x4
	s_load_dwordx2 s[12:13], s[4:5], 0x50
	v_mul_u32_u24_e32 v7, 0x889, v0
	v_mov_b32_e32 v5, 30
	v_mul_lo_u16_sdwa v5, v7, v5 dst_sel:DWORD dst_unused:UNUSED_PAD src0_sel:WORD_1 src1_sel:DWORD
	s_waitcnt lgkmcnt(0)
	s_cmp_eq_u32 s7, 1
	s_cselect_b64 s[0:1], -1, 0
	s_cmp_lg_u32 s7, 1
	s_cselect_b64 s[16:17], -1, 0
	s_ashr_i32 s7, s6, 31
	s_lshl_b64 s[10:11], s[6:7], 3
	s_add_u32 s2, s2, s10
	s_addc_u32 s3, s3, s11
	s_add_u32 s7, s2, 8
	s_addc_u32 s15, s3, 0
	;; [unrolled: 2-line block ×3, first 2 shown]
	s_cmp_eq_u64 s[8:9], 0
	s_cselect_b32 s9, s15, s11
	s_cselect_b32 s8, s7, s10
	s_load_dwordx2 s[18:19], s[8:9], 0x0
	s_load_dwordx2 s[20:21], s[2:3], 0x0
	v_sub_u16_e32 v14, v0, v5
	s_waitcnt lgkmcnt(0)
	v_mov_b32_e32 v5, s18
	v_mov_b32_e32 v6, s19
	v_cmp_ge_i64_e32 vcc, s[20:21], v[5:6]
	v_mov_b32_e32 v5, 0
	v_mov_b32_e32 v6, 0
	s_cbranch_vccnz .LBB509_12
; %bb.8:
	s_load_dwordx4 s[8:11], s[4:5], 0x30
	s_load_dwordx2 s[2:3], s[4:5], 0x40
	s_sub_u32 s4, s18, s14
	s_mov_b32 s7, 0xffff
	s_subb_u32 s5, s19, 0
	s_movk_i32 s15, 0x384
	v_and_b32_sdwa v5, s7, v7 dst_sel:DWORD dst_unused:UNUSED_PAD src0_sel:DWORD src1_sel:WORD_1
	v_subrev_u32_e32 v6, 30, v5
	v_cmp_gt_u32_e32 vcc, s15, v0
	s_sub_u32 s18, s20, s14
	v_cndmask_b32_e32 v5, v6, v5, vcc
	s_subb_u32 s19, s21, 0
	v_cndmask_b32_e64 v7, v14, v5, s[0:1]
	s_mul_i32 s0, s19, 0xe10
	s_mul_hi_u32 s1, s18, 0xe10
	s_add_i32 s1, s1, s0
	s_mul_i32 s0, s18, 0xe10
	s_waitcnt lgkmcnt(0)
	s_add_u32 s0, s10, s0
	s_addc_u32 s1, s11, s1
	v_lshlrev_b32_e32 v5, 2, v0
	v_mov_b32_e32 v6, s1
	v_add_co_u32_e32 v8, vcc, s0, v5
	v_addc_co_u32_e32 v9, vcc, 0, v6, vcc
	s_movk_i32 s0, 0x383
	v_cmp_lt_u32_e32 vcc, s0, v0
	v_cndmask_b32_e64 v15, 0, 1, vcc
	v_mov_b32_e32 v5, s21
	v_add_co_u32_e32 v6, vcc, s20, v15
	v_addc_co_u32_e32 v10, vcc, 0, v5, vcc
	v_subrev_co_u32_e32 v5, vcc, s14, v6
	v_subbrev_co_u32_e32 v6, vcc, 0, v10, vcc
	v_lshlrev_b64 v[5:6], 2, v[5:6]
	v_mov_b32_e32 v11, s9
	v_add_co_u32_e32 v10, vcc, s8, v5
	v_addc_co_u32_e32 v11, vcc, v11, v6, vcc
	v_mov_b32_e32 v5, 0
	v_mov_b32_e32 v13, s5
	;; [unrolled: 1-line block ×4, first 2 shown]
	s_branch .LBB509_10
.LBB509_9:                              ;   in Loop: Header=BB509_10 Depth=1
	s_or_b64 exec, exec, s[0:1]
	s_add_u32 s18, s18, 1
	s_addc_u32 s19, s19, 0
	v_cmp_lt_i64_e32 vcc, s[18:19], v[12:13]
	v_add_co_u32_e64 v10, s[0:1], 4, v10
	v_addc_co_u32_e64 v11, s[0:1], 0, v11, s[0:1]
	s_cbranch_vccz .LBB509_12
.LBB509_10:                             ; =>This Inner Loop Header: Depth=1
	v_mov_b32_e32 v17, s19
	v_add_co_u32_e32 v16, vcc, s18, v15
	v_addc_co_u32_e32 v17, vcc, 0, v17, vcc
	v_cmp_gt_i64_e32 vcc, s[4:5], v[16:17]
	s_and_saveexec_b64 s[0:1], vcc
	s_cbranch_execz .LBB509_9
; %bb.11:                               ;   in Loop: Header=BB509_10 Depth=1
	global_load_dword v16, v[10:11], off
	global_load_dword v18, v[8:9], off
	v_mov_b32_e32 v19, s3
	s_waitcnt vmcnt(1)
	v_subrev_u32_e32 v16, s14, v16
	v_mad_u64_u32 v[16:17], s[8:9], v16, 30, v[7:8]
	v_ashrrev_i32_e32 v17, 31, v16
	v_lshlrev_b64 v[16:17], 3, v[16:17]
	v_add_co_u32_e32 v16, vcc, s2, v16
	v_addc_co_u32_e32 v17, vcc, v19, v17, vcc
	global_load_dwordx2 v[16:17], v[16:17], off
	s_waitcnt vmcnt(1)
	v_cvt_f64_f32_e32 v[18:19], v18
	v_add_co_u32_e32 v8, vcc, 0xe10, v8
	v_addc_co_u32_e32 v9, vcc, 0, v9, vcc
	s_waitcnt vmcnt(0)
	v_fma_f64 v[5:6], v[18:19], v[16:17], v[5:6]
	s_branch .LBB509_9
.LBB509_12:
	v_lshlrev_b32_e32 v9, 3, v0
	s_and_b64 vcc, exec, s[16:17]
	ds_write_b64 v9, v[5:6]
	s_waitcnt lgkmcnt(0)
	s_barrier
	s_cbranch_vccz .LBB509_24
; %bb.13:
	v_cmp_gt_u16_e32 vcc, 14, v14
	s_and_saveexec_b64 s[0:1], vcc
	s_cbranch_execz .LBB509_15
; %bb.14:
	ds_read2_b64 v[10:13], v9 offset1:16
	s_waitcnt lgkmcnt(0)
	v_add_f64 v[7:8], v[12:13], v[10:11]
	ds_write_b64 v9, v[7:8]
.LBB509_15:
	s_or_b64 exec, exec, s[0:1]
	v_cmp_gt_u16_e32 vcc, 8, v14
	s_waitcnt lgkmcnt(0)
	s_barrier
	s_and_saveexec_b64 s[0:1], vcc
	s_cbranch_execz .LBB509_17
; %bb.16:
	ds_read2_b64 v[10:13], v9 offset1:8
	s_waitcnt lgkmcnt(0)
	v_add_f64 v[7:8], v[12:13], v[10:11]
	ds_write_b64 v9, v[7:8]
.LBB509_17:
	s_or_b64 exec, exec, s[0:1]
	v_cmp_gt_u16_e32 vcc, 4, v14
	s_waitcnt lgkmcnt(0)
	s_barrier
	;; [unrolled: 12-line block ×3, first 2 shown]
	s_and_saveexec_b64 s[0:1], vcc
	s_cbranch_execz .LBB509_21
; %bb.20:
	ds_read2_b64 v[10:13], v9 offset1:2
	s_waitcnt lgkmcnt(0)
	v_add_f64 v[7:8], v[12:13], v[10:11]
	ds_write_b64 v9, v[7:8]
.LBB509_21:
	s_or_b64 exec, exec, s[0:1]
	v_mov_b32_e32 v8, v6
	v_cmp_gt_u32_e32 vcc, 30, v0
	v_mov_b32_e32 v7, v5
	s_waitcnt lgkmcnt(0)
	s_barrier
	s_and_saveexec_b64 s[0:1], vcc
	s_cbranch_execz .LBB509_23
; %bb.22:
	s_movk_i32 s2, 0xe8
	v_mad_u32_u24 v7, v0, s2, v9
	ds_read_b128 v[10:13], v7
	s_waitcnt lgkmcnt(0)
	v_add_f64 v[7:8], v[10:11], v[12:13]
.LBB509_23:
	s_or_b64 exec, exec, s[0:1]
	s_branch .LBB509_36
.LBB509_24:
                                        ; implicit-def: $vgpr7_vgpr8
	s_cbranch_execz .LBB509_36
; %bb.25:
	s_movk_i32 s0, 0x1a4
	v_cmp_gt_u32_e32 vcc, s0, v0
	s_and_saveexec_b64 s[0:1], vcc
	s_cbranch_execz .LBB509_27
; %bb.26:
	ds_read_b64 v[7:8], v9 offset:3840
	ds_read_b64 v[10:11], v9
	s_waitcnt lgkmcnt(0)
	v_add_f64 v[7:8], v[7:8], v[10:11]
	ds_write_b64 v9, v[7:8]
.LBB509_27:
	s_or_b64 exec, exec, s[0:1]
	s_movk_i32 s0, 0xf0
	v_cmp_gt_u32_e32 vcc, s0, v0
	s_waitcnt lgkmcnt(0)
	s_barrier
	s_and_saveexec_b64 s[0:1], vcc
	s_cbranch_execz .LBB509_29
; %bb.28:
	ds_read2_b64 v[10:13], v9 offset1:240
	s_waitcnt lgkmcnt(0)
	v_add_f64 v[7:8], v[12:13], v[10:11]
	ds_write_b64 v9, v[7:8]
.LBB509_29:
	s_or_b64 exec, exec, s[0:1]
	s_movk_i32 s0, 0x78
	v_cmp_gt_u32_e32 vcc, s0, v0
	s_waitcnt lgkmcnt(0)
	s_barrier
	s_and_saveexec_b64 s[0:1], vcc
	s_cbranch_execz .LBB509_31
; %bb.30:
	ds_read2_b64 v[10:13], v9 offset1:120
	s_waitcnt lgkmcnt(0)
	v_add_f64 v[7:8], v[12:13], v[10:11]
	ds_write_b64 v9, v[7:8]
.LBB509_31:
	s_or_b64 exec, exec, s[0:1]
	v_cmp_gt_u32_e32 vcc, 60, v0
	s_waitcnt lgkmcnt(0)
	s_barrier
	s_and_saveexec_b64 s[0:1], vcc
	s_cbranch_execz .LBB509_33
; %bb.32:
	ds_read2_b64 v[10:13], v9 offset1:60
	s_waitcnt lgkmcnt(0)
	v_add_f64 v[7:8], v[12:13], v[10:11]
	ds_write_b64 v9, v[7:8]
.LBB509_33:
	s_or_b64 exec, exec, s[0:1]
	v_cmp_gt_u32_e32 vcc, 30, v0
	s_waitcnt lgkmcnt(0)
	s_and_saveexec_b64 s[0:1], vcc
	s_cbranch_execz .LBB509_35
; %bb.34:
	ds_read2_b64 v[5:8], v9 offset1:30
	s_waitcnt lgkmcnt(0)
	v_add_f64 v[5:6], v[5:6], v[7:8]
.LBB509_35:
	s_or_b64 exec, exec, s[0:1]
	v_mov_b32_e32 v8, v6
	v_mov_b32_e32 v7, v5
.LBB509_36:
	v_cmp_gt_u32_e32 vcc, 30, v0
	s_and_b64 exec, exec, vcc
	s_cbranch_execz .LBB509_41
; %bb.37:
	v_cmp_eq_f64_e32 vcc, 0, v[1:2]
	v_mul_f64 v[3:4], v[3:4], v[7:8]
	s_and_saveexec_b64 s[0:1], vcc
	s_xor_b64 s[0:1], exec, s[0:1]
	s_cbranch_execz .LBB509_39
; %bb.38:
	v_mad_u64_u32 v[0:1], s[2:3], s6, 30, v[0:1]
	v_mov_b32_e32 v1, 0
	v_mov_b32_e32 v2, s13
	v_lshlrev_b64 v[0:1], 3, v[0:1]
	v_add_co_u32_e32 v0, vcc, s12, v0
	v_addc_co_u32_e32 v1, vcc, v2, v1, vcc
	global_store_dwordx2 v[0:1], v[3:4], off
                                        ; implicit-def: $vgpr0
                                        ; implicit-def: $vgpr1_vgpr2
                                        ; implicit-def: $vgpr3_vgpr4
.LBB509_39:
	s_andn2_saveexec_b64 s[0:1], s[0:1]
	s_cbranch_execz .LBB509_41
; %bb.40:
	v_mad_u64_u32 v[5:6], s[0:1], s6, 30, v[0:1]
	v_mov_b32_e32 v6, 0
	v_mov_b32_e32 v0, s13
	v_lshlrev_b64 v[5:6], 3, v[5:6]
	v_add_co_u32_e32 v5, vcc, s12, v5
	v_addc_co_u32_e32 v6, vcc, v0, v6, vcc
	global_load_dwordx2 v[7:8], v[5:6], off
	s_waitcnt vmcnt(0)
	v_fma_f64 v[0:1], v[1:2], v[7:8], v[3:4]
	global_store_dwordx2 v[5:6], v[0:1], off
.LBB509_41:
	s_endpgm
	.section	.rodata,"a",@progbits
	.p2align	6, 0x0
	.amdhsa_kernel _ZN9rocsparseL20bsrxmvn_17_32_kernelILj30EdlifddEEvT2_20rocsparse_direction_NS_24const_host_device_scalarIT0_EES1_PKS1_PKT1_SA_S7_PKT3_PKT4_S5_PT5_21rocsparse_index_base_b
		.amdhsa_group_segment_fixed_size 7200
		.amdhsa_private_segment_fixed_size 0
		.amdhsa_kernarg_size 96
		.amdhsa_user_sgpr_count 6
		.amdhsa_user_sgpr_private_segment_buffer 1
		.amdhsa_user_sgpr_dispatch_ptr 0
		.amdhsa_user_sgpr_queue_ptr 0
		.amdhsa_user_sgpr_kernarg_segment_ptr 1
		.amdhsa_user_sgpr_dispatch_id 0
		.amdhsa_user_sgpr_flat_scratch_init 0
		.amdhsa_user_sgpr_private_segment_size 0
		.amdhsa_uses_dynamic_stack 0
		.amdhsa_system_sgpr_private_segment_wavefront_offset 0
		.amdhsa_system_sgpr_workgroup_id_x 1
		.amdhsa_system_sgpr_workgroup_id_y 0
		.amdhsa_system_sgpr_workgroup_id_z 0
		.amdhsa_system_sgpr_workgroup_info 0
		.amdhsa_system_vgpr_workitem_id 0
		.amdhsa_next_free_vgpr 29
		.amdhsa_next_free_sgpr 61
		.amdhsa_reserve_vcc 1
		.amdhsa_reserve_flat_scratch 0
		.amdhsa_float_round_mode_32 0
		.amdhsa_float_round_mode_16_64 0
		.amdhsa_float_denorm_mode_32 3
		.amdhsa_float_denorm_mode_16_64 3
		.amdhsa_dx10_clamp 1
		.amdhsa_ieee_mode 1
		.amdhsa_fp16_overflow 0
		.amdhsa_exception_fp_ieee_invalid_op 0
		.amdhsa_exception_fp_denorm_src 0
		.amdhsa_exception_fp_ieee_div_zero 0
		.amdhsa_exception_fp_ieee_overflow 0
		.amdhsa_exception_fp_ieee_underflow 0
		.amdhsa_exception_fp_ieee_inexact 0
		.amdhsa_exception_int_div_zero 0
	.end_amdhsa_kernel
	.section	.text._ZN9rocsparseL20bsrxmvn_17_32_kernelILj30EdlifddEEvT2_20rocsparse_direction_NS_24const_host_device_scalarIT0_EES1_PKS1_PKT1_SA_S7_PKT3_PKT4_S5_PT5_21rocsparse_index_base_b,"axG",@progbits,_ZN9rocsparseL20bsrxmvn_17_32_kernelILj30EdlifddEEvT2_20rocsparse_direction_NS_24const_host_device_scalarIT0_EES1_PKS1_PKT1_SA_S7_PKT3_PKT4_S5_PT5_21rocsparse_index_base_b,comdat
.Lfunc_end509:
	.size	_ZN9rocsparseL20bsrxmvn_17_32_kernelILj30EdlifddEEvT2_20rocsparse_direction_NS_24const_host_device_scalarIT0_EES1_PKS1_PKT1_SA_S7_PKT3_PKT4_S5_PT5_21rocsparse_index_base_b, .Lfunc_end509-_ZN9rocsparseL20bsrxmvn_17_32_kernelILj30EdlifddEEvT2_20rocsparse_direction_NS_24const_host_device_scalarIT0_EES1_PKS1_PKT1_SA_S7_PKT3_PKT4_S5_PT5_21rocsparse_index_base_b
                                        ; -- End function
	.set _ZN9rocsparseL20bsrxmvn_17_32_kernelILj30EdlifddEEvT2_20rocsparse_direction_NS_24const_host_device_scalarIT0_EES1_PKS1_PKT1_SA_S7_PKT3_PKT4_S5_PT5_21rocsparse_index_base_b.num_vgpr, 20
	.set _ZN9rocsparseL20bsrxmvn_17_32_kernelILj30EdlifddEEvT2_20rocsparse_direction_NS_24const_host_device_scalarIT0_EES1_PKS1_PKT1_SA_S7_PKT3_PKT4_S5_PT5_21rocsparse_index_base_b.num_agpr, 0
	.set _ZN9rocsparseL20bsrxmvn_17_32_kernelILj30EdlifddEEvT2_20rocsparse_direction_NS_24const_host_device_scalarIT0_EES1_PKS1_PKT1_SA_S7_PKT3_PKT4_S5_PT5_21rocsparse_index_base_b.numbered_sgpr, 22
	.set _ZN9rocsparseL20bsrxmvn_17_32_kernelILj30EdlifddEEvT2_20rocsparse_direction_NS_24const_host_device_scalarIT0_EES1_PKS1_PKT1_SA_S7_PKT3_PKT4_S5_PT5_21rocsparse_index_base_b.num_named_barrier, 0
	.set _ZN9rocsparseL20bsrxmvn_17_32_kernelILj30EdlifddEEvT2_20rocsparse_direction_NS_24const_host_device_scalarIT0_EES1_PKS1_PKT1_SA_S7_PKT3_PKT4_S5_PT5_21rocsparse_index_base_b.private_seg_size, 0
	.set _ZN9rocsparseL20bsrxmvn_17_32_kernelILj30EdlifddEEvT2_20rocsparse_direction_NS_24const_host_device_scalarIT0_EES1_PKS1_PKT1_SA_S7_PKT3_PKT4_S5_PT5_21rocsparse_index_base_b.uses_vcc, 1
	.set _ZN9rocsparseL20bsrxmvn_17_32_kernelILj30EdlifddEEvT2_20rocsparse_direction_NS_24const_host_device_scalarIT0_EES1_PKS1_PKT1_SA_S7_PKT3_PKT4_S5_PT5_21rocsparse_index_base_b.uses_flat_scratch, 0
	.set _ZN9rocsparseL20bsrxmvn_17_32_kernelILj30EdlifddEEvT2_20rocsparse_direction_NS_24const_host_device_scalarIT0_EES1_PKS1_PKT1_SA_S7_PKT3_PKT4_S5_PT5_21rocsparse_index_base_b.has_dyn_sized_stack, 0
	.set _ZN9rocsparseL20bsrxmvn_17_32_kernelILj30EdlifddEEvT2_20rocsparse_direction_NS_24const_host_device_scalarIT0_EES1_PKS1_PKT1_SA_S7_PKT3_PKT4_S5_PT5_21rocsparse_index_base_b.has_recursion, 0
	.set _ZN9rocsparseL20bsrxmvn_17_32_kernelILj30EdlifddEEvT2_20rocsparse_direction_NS_24const_host_device_scalarIT0_EES1_PKS1_PKT1_SA_S7_PKT3_PKT4_S5_PT5_21rocsparse_index_base_b.has_indirect_call, 0
	.section	.AMDGPU.csdata,"",@progbits
; Kernel info:
; codeLenInByte = 1420
; TotalNumSgprs: 26
; NumVgprs: 20
; ScratchSize: 0
; MemoryBound: 0
; FloatMode: 240
; IeeeMode: 1
; LDSByteSize: 7200 bytes/workgroup (compile time only)
; SGPRBlocks: 8
; VGPRBlocks: 7
; NumSGPRsForWavesPerEU: 65
; NumVGPRsForWavesPerEU: 29
; Occupancy: 8
; WaveLimiterHint : 1
; COMPUTE_PGM_RSRC2:SCRATCH_EN: 0
; COMPUTE_PGM_RSRC2:USER_SGPR: 6
; COMPUTE_PGM_RSRC2:TRAP_HANDLER: 0
; COMPUTE_PGM_RSRC2:TGID_X_EN: 1
; COMPUTE_PGM_RSRC2:TGID_Y_EN: 0
; COMPUTE_PGM_RSRC2:TGID_Z_EN: 0
; COMPUTE_PGM_RSRC2:TIDIG_COMP_CNT: 0
	.section	.text._ZN9rocsparseL20bsrxmvn_17_32_kernelILj31EdlifddEEvT2_20rocsparse_direction_NS_24const_host_device_scalarIT0_EES1_PKS1_PKT1_SA_S7_PKT3_PKT4_S5_PT5_21rocsparse_index_base_b,"axG",@progbits,_ZN9rocsparseL20bsrxmvn_17_32_kernelILj31EdlifddEEvT2_20rocsparse_direction_NS_24const_host_device_scalarIT0_EES1_PKS1_PKT1_SA_S7_PKT3_PKT4_S5_PT5_21rocsparse_index_base_b,comdat
	.globl	_ZN9rocsparseL20bsrxmvn_17_32_kernelILj31EdlifddEEvT2_20rocsparse_direction_NS_24const_host_device_scalarIT0_EES1_PKS1_PKT1_SA_S7_PKT3_PKT4_S5_PT5_21rocsparse_index_base_b ; -- Begin function _ZN9rocsparseL20bsrxmvn_17_32_kernelILj31EdlifddEEvT2_20rocsparse_direction_NS_24const_host_device_scalarIT0_EES1_PKS1_PKT1_SA_S7_PKT3_PKT4_S5_PT5_21rocsparse_index_base_b
	.p2align	8
	.type	_ZN9rocsparseL20bsrxmvn_17_32_kernelILj31EdlifddEEvT2_20rocsparse_direction_NS_24const_host_device_scalarIT0_EES1_PKS1_PKT1_SA_S7_PKT3_PKT4_S5_PT5_21rocsparse_index_base_b,@function
_ZN9rocsparseL20bsrxmvn_17_32_kernelILj31EdlifddEEvT2_20rocsparse_direction_NS_24const_host_device_scalarIT0_EES1_PKS1_PKT1_SA_S7_PKT3_PKT4_S5_PT5_21rocsparse_index_base_b: ; @_ZN9rocsparseL20bsrxmvn_17_32_kernelILj31EdlifddEEvT2_20rocsparse_direction_NS_24const_host_device_scalarIT0_EES1_PKS1_PKT1_SA_S7_PKT3_PKT4_S5_PT5_21rocsparse_index_base_b
; %bb.0:
	s_load_dwordx2 s[14:15], s[4:5], 0x58
	s_load_dwordx2 s[8:9], s[4:5], 0x8
	;; [unrolled: 1-line block ×3, first 2 shown]
	s_waitcnt lgkmcnt(0)
	s_bitcmp1_b32 s15, 0
	s_cselect_b64 s[10:11], -1, 0
	v_mov_b32_e32 v3, s8
	s_xor_b64 s[2:3], s[10:11], -1
	s_and_b64 vcc, exec, s[10:11]
	v_mov_b32_e32 v4, s9
	s_cbranch_vccnz .LBB510_2
; %bb.1:
	v_mov_b32_e32 v1, s8
	v_mov_b32_e32 v2, s9
	flat_load_dwordx2 v[3:4], v[1:2]
.LBB510_2:
	v_mov_b32_e32 v2, s1
	s_andn2_b64 vcc, exec, s[2:3]
	v_mov_b32_e32 v1, s0
	s_cbranch_vccnz .LBB510_4
; %bb.3:
	v_mov_b32_e32 v2, s1
	v_mov_b32_e32 v1, s0
	flat_load_dwordx2 v[1:2], v[1:2]
.LBB510_4:
	s_waitcnt vmcnt(0) lgkmcnt(0)
	v_cmp_neq_f64_e32 vcc, 0, v[3:4]
	v_cmp_neq_f64_e64 s[0:1], 1.0, v[1:2]
	s_or_b64 s[0:1], vcc, s[0:1]
	s_and_saveexec_b64 s[2:3], s[0:1]
	s_cbranch_execz .LBB510_41
; %bb.5:
	s_load_dwordx4 s[0:3], s[4:5], 0x18
	s_load_dwordx2 s[8:9], s[4:5], 0x28
	s_waitcnt lgkmcnt(0)
	s_cmp_eq_u64 s[0:1], 0
	s_cbranch_scc1 .LBB510_7
; %bb.6:
	s_ashr_i32 s7, s6, 31
	s_lshl_b64 s[6:7], s[6:7], 2
	s_add_u32 s0, s0, s6
	s_addc_u32 s1, s1, s7
	s_load_dword s0, s[0:1], 0x0
	s_waitcnt lgkmcnt(0)
	s_sub_i32 s6, s0, s14
.LBB510_7:
	s_load_dword s7, s[4:5], 0x4
	s_load_dwordx2 s[12:13], s[4:5], 0x50
	v_mul_u32_u24_e32 v7, 0x843, v0
	v_mov_b32_e32 v5, 31
	v_mul_lo_u16_sdwa v5, v7, v5 dst_sel:DWORD dst_unused:UNUSED_PAD src0_sel:WORD_1 src1_sel:DWORD
	s_waitcnt lgkmcnt(0)
	s_cmp_eq_u32 s7, 1
	s_cselect_b64 s[0:1], -1, 0
	s_cmp_lg_u32 s7, 1
	s_cselect_b64 s[16:17], -1, 0
	s_ashr_i32 s7, s6, 31
	s_lshl_b64 s[10:11], s[6:7], 3
	s_add_u32 s2, s2, s10
	s_addc_u32 s3, s3, s11
	s_add_u32 s7, s2, 8
	s_addc_u32 s15, s3, 0
	;; [unrolled: 2-line block ×3, first 2 shown]
	s_cmp_eq_u64 s[8:9], 0
	s_cselect_b32 s9, s15, s11
	s_cselect_b32 s8, s7, s10
	s_load_dwordx2 s[18:19], s[8:9], 0x0
	s_load_dwordx2 s[20:21], s[2:3], 0x0
	v_sub_u16_e32 v14, v0, v5
	s_waitcnt lgkmcnt(0)
	v_mov_b32_e32 v5, s18
	v_mov_b32_e32 v6, s19
	v_cmp_ge_i64_e32 vcc, s[20:21], v[5:6]
	v_mov_b32_e32 v5, 0
	v_mov_b32_e32 v6, 0
	s_cbranch_vccnz .LBB510_12
; %bb.8:
	s_load_dwordx4 s[8:11], s[4:5], 0x30
	s_load_dwordx2 s[2:3], s[4:5], 0x40
	s_sub_u32 s4, s18, s14
	s_mov_b32 s7, 0xffff
	s_subb_u32 s5, s19, 0
	s_movk_i32 s15, 0x3c1
	v_and_b32_sdwa v5, s7, v7 dst_sel:DWORD dst_unused:UNUSED_PAD src0_sel:DWORD src1_sel:WORD_1
	v_subrev_u32_e32 v6, 31, v5
	v_cmp_gt_u32_e32 vcc, s15, v0
	s_sub_u32 s18, s20, s14
	v_cndmask_b32_e32 v5, v6, v5, vcc
	s_subb_u32 s19, s21, 0
	v_cndmask_b32_e64 v7, v14, v5, s[0:1]
	s_mul_i32 s0, s19, 0xf04
	s_mul_hi_u32 s1, s18, 0xf04
	s_add_i32 s1, s1, s0
	s_mul_i32 s0, s18, 0xf04
	s_waitcnt lgkmcnt(0)
	s_add_u32 s0, s10, s0
	s_addc_u32 s1, s11, s1
	v_lshlrev_b32_e32 v5, 2, v0
	v_mov_b32_e32 v6, s1
	v_add_co_u32_e32 v8, vcc, s0, v5
	v_addc_co_u32_e32 v9, vcc, 0, v6, vcc
	s_movk_i32 s0, 0x3c0
	v_cmp_lt_u32_e32 vcc, s0, v0
	v_cndmask_b32_e64 v15, 0, 1, vcc
	v_mov_b32_e32 v5, s21
	v_add_co_u32_e32 v6, vcc, s20, v15
	v_addc_co_u32_e32 v10, vcc, 0, v5, vcc
	v_subrev_co_u32_e32 v5, vcc, s14, v6
	v_subbrev_co_u32_e32 v6, vcc, 0, v10, vcc
	v_lshlrev_b64 v[5:6], 2, v[5:6]
	v_mov_b32_e32 v11, s9
	v_add_co_u32_e32 v10, vcc, s8, v5
	v_addc_co_u32_e32 v11, vcc, v11, v6, vcc
	v_mov_b32_e32 v5, 0
	v_mov_b32_e32 v13, s5
	;; [unrolled: 1-line block ×4, first 2 shown]
	s_branch .LBB510_10
.LBB510_9:                              ;   in Loop: Header=BB510_10 Depth=1
	s_or_b64 exec, exec, s[0:1]
	s_add_u32 s18, s18, 1
	s_addc_u32 s19, s19, 0
	v_cmp_lt_i64_e32 vcc, s[18:19], v[12:13]
	v_add_co_u32_e64 v10, s[0:1], 4, v10
	v_addc_co_u32_e64 v11, s[0:1], 0, v11, s[0:1]
	s_cbranch_vccz .LBB510_12
.LBB510_10:                             ; =>This Inner Loop Header: Depth=1
	v_mov_b32_e32 v17, s19
	v_add_co_u32_e32 v16, vcc, s18, v15
	v_addc_co_u32_e32 v17, vcc, 0, v17, vcc
	v_cmp_gt_i64_e32 vcc, s[4:5], v[16:17]
	s_and_saveexec_b64 s[0:1], vcc
	s_cbranch_execz .LBB510_9
; %bb.11:                               ;   in Loop: Header=BB510_10 Depth=1
	global_load_dword v16, v[10:11], off
	global_load_dword v18, v[8:9], off
	v_mov_b32_e32 v19, s3
	s_waitcnt vmcnt(1)
	v_subrev_u32_e32 v16, s14, v16
	v_mad_u64_u32 v[16:17], s[8:9], v16, 31, v[7:8]
	v_ashrrev_i32_e32 v17, 31, v16
	v_lshlrev_b64 v[16:17], 3, v[16:17]
	v_add_co_u32_e32 v16, vcc, s2, v16
	v_addc_co_u32_e32 v17, vcc, v19, v17, vcc
	global_load_dwordx2 v[16:17], v[16:17], off
	s_waitcnt vmcnt(1)
	v_cvt_f64_f32_e32 v[18:19], v18
	v_add_co_u32_e32 v8, vcc, 0xf04, v8
	v_addc_co_u32_e32 v9, vcc, 0, v9, vcc
	s_waitcnt vmcnt(0)
	v_fma_f64 v[5:6], v[18:19], v[16:17], v[5:6]
	s_branch .LBB510_9
.LBB510_12:
	v_lshlrev_b32_e32 v9, 3, v0
	s_and_b64 vcc, exec, s[16:17]
	ds_write_b64 v9, v[5:6]
	s_waitcnt lgkmcnt(0)
	s_barrier
	s_cbranch_vccz .LBB510_24
; %bb.13:
	v_cmp_gt_u16_e32 vcc, 15, v14
	s_and_saveexec_b64 s[0:1], vcc
	s_cbranch_execz .LBB510_15
; %bb.14:
	ds_read2_b64 v[10:13], v9 offset1:16
	s_waitcnt lgkmcnt(0)
	v_add_f64 v[7:8], v[12:13], v[10:11]
	ds_write_b64 v9, v[7:8]
.LBB510_15:
	s_or_b64 exec, exec, s[0:1]
	v_cmp_gt_u16_e32 vcc, 8, v14
	s_waitcnt lgkmcnt(0)
	s_barrier
	s_and_saveexec_b64 s[0:1], vcc
	s_cbranch_execz .LBB510_17
; %bb.16:
	ds_read2_b64 v[10:13], v9 offset1:8
	s_waitcnt lgkmcnt(0)
	v_add_f64 v[7:8], v[12:13], v[10:11]
	ds_write_b64 v9, v[7:8]
.LBB510_17:
	s_or_b64 exec, exec, s[0:1]
	v_cmp_gt_u16_e32 vcc, 4, v14
	s_waitcnt lgkmcnt(0)
	s_barrier
	;; [unrolled: 12-line block ×3, first 2 shown]
	s_and_saveexec_b64 s[0:1], vcc
	s_cbranch_execz .LBB510_21
; %bb.20:
	ds_read2_b64 v[10:13], v9 offset1:2
	s_waitcnt lgkmcnt(0)
	v_add_f64 v[7:8], v[12:13], v[10:11]
	ds_write_b64 v9, v[7:8]
.LBB510_21:
	s_or_b64 exec, exec, s[0:1]
	v_mov_b32_e32 v8, v6
	v_cmp_gt_u32_e32 vcc, 31, v0
	v_mov_b32_e32 v7, v5
	s_waitcnt lgkmcnt(0)
	s_barrier
	s_and_saveexec_b64 s[0:1], vcc
	s_cbranch_execz .LBB510_23
; %bb.22:
	s_movk_i32 s2, 0xf0
	v_mad_u32_u24 v7, v0, s2, v9
	ds_read2_b64 v[10:13], v7 offset1:1
	s_waitcnt lgkmcnt(0)
	v_add_f64 v[7:8], v[10:11], v[12:13]
.LBB510_23:
	s_or_b64 exec, exec, s[0:1]
	s_branch .LBB510_36
.LBB510_24:
                                        ; implicit-def: $vgpr7_vgpr8
	s_cbranch_execz .LBB510_36
; %bb.25:
	s_movk_i32 s0, 0x1d1
	v_cmp_gt_u32_e32 vcc, s0, v0
	s_and_saveexec_b64 s[0:1], vcc
	s_cbranch_execz .LBB510_27
; %bb.26:
	ds_read_b64 v[7:8], v9 offset:3968
	ds_read_b64 v[10:11], v9
	s_waitcnt lgkmcnt(0)
	v_add_f64 v[7:8], v[7:8], v[10:11]
	ds_write_b64 v9, v[7:8]
.LBB510_27:
	s_or_b64 exec, exec, s[0:1]
	s_movk_i32 s0, 0xf8
	v_cmp_gt_u32_e32 vcc, s0, v0
	s_waitcnt lgkmcnt(0)
	s_barrier
	s_and_saveexec_b64 s[0:1], vcc
	s_cbranch_execz .LBB510_29
; %bb.28:
	ds_read2_b64 v[10:13], v9 offset1:248
	s_waitcnt lgkmcnt(0)
	v_add_f64 v[7:8], v[12:13], v[10:11]
	ds_write_b64 v9, v[7:8]
.LBB510_29:
	s_or_b64 exec, exec, s[0:1]
	s_movk_i32 s0, 0x7c
	v_cmp_gt_u32_e32 vcc, s0, v0
	s_waitcnt lgkmcnt(0)
	s_barrier
	s_and_saveexec_b64 s[0:1], vcc
	s_cbranch_execz .LBB510_31
; %bb.30:
	ds_read2_b64 v[10:13], v9 offset1:124
	s_waitcnt lgkmcnt(0)
	v_add_f64 v[7:8], v[12:13], v[10:11]
	ds_write_b64 v9, v[7:8]
.LBB510_31:
	s_or_b64 exec, exec, s[0:1]
	v_cmp_gt_u32_e32 vcc, 62, v0
	s_waitcnt lgkmcnt(0)
	s_barrier
	s_and_saveexec_b64 s[0:1], vcc
	s_cbranch_execz .LBB510_33
; %bb.32:
	ds_read2_b64 v[10:13], v9 offset1:62
	s_waitcnt lgkmcnt(0)
	v_add_f64 v[7:8], v[12:13], v[10:11]
	ds_write_b64 v9, v[7:8]
.LBB510_33:
	s_or_b64 exec, exec, s[0:1]
	v_cmp_gt_u32_e32 vcc, 31, v0
	s_waitcnt lgkmcnt(0)
	s_and_saveexec_b64 s[0:1], vcc
	s_cbranch_execz .LBB510_35
; %bb.34:
	ds_read2_b64 v[5:8], v9 offset1:31
	s_waitcnt lgkmcnt(0)
	v_add_f64 v[5:6], v[5:6], v[7:8]
.LBB510_35:
	s_or_b64 exec, exec, s[0:1]
	v_mov_b32_e32 v8, v6
	v_mov_b32_e32 v7, v5
.LBB510_36:
	v_cmp_gt_u32_e32 vcc, 31, v0
	s_and_b64 exec, exec, vcc
	s_cbranch_execz .LBB510_41
; %bb.37:
	v_cmp_eq_f64_e32 vcc, 0, v[1:2]
	v_mul_f64 v[3:4], v[3:4], v[7:8]
	s_and_saveexec_b64 s[0:1], vcc
	s_xor_b64 s[0:1], exec, s[0:1]
	s_cbranch_execz .LBB510_39
; %bb.38:
	v_mad_u64_u32 v[0:1], s[2:3], s6, 31, v[0:1]
	v_mov_b32_e32 v1, 0
	v_mov_b32_e32 v2, s13
	v_lshlrev_b64 v[0:1], 3, v[0:1]
	v_add_co_u32_e32 v0, vcc, s12, v0
	v_addc_co_u32_e32 v1, vcc, v2, v1, vcc
	global_store_dwordx2 v[0:1], v[3:4], off
                                        ; implicit-def: $vgpr0
                                        ; implicit-def: $vgpr1_vgpr2
                                        ; implicit-def: $vgpr3_vgpr4
.LBB510_39:
	s_andn2_saveexec_b64 s[0:1], s[0:1]
	s_cbranch_execz .LBB510_41
; %bb.40:
	v_mad_u64_u32 v[5:6], s[0:1], s6, 31, v[0:1]
	v_mov_b32_e32 v6, 0
	v_mov_b32_e32 v0, s13
	v_lshlrev_b64 v[5:6], 3, v[5:6]
	v_add_co_u32_e32 v5, vcc, s12, v5
	v_addc_co_u32_e32 v6, vcc, v0, v6, vcc
	global_load_dwordx2 v[7:8], v[5:6], off
	s_waitcnt vmcnt(0)
	v_fma_f64 v[0:1], v[1:2], v[7:8], v[3:4]
	global_store_dwordx2 v[5:6], v[0:1], off
.LBB510_41:
	s_endpgm
	.section	.rodata,"a",@progbits
	.p2align	6, 0x0
	.amdhsa_kernel _ZN9rocsparseL20bsrxmvn_17_32_kernelILj31EdlifddEEvT2_20rocsparse_direction_NS_24const_host_device_scalarIT0_EES1_PKS1_PKT1_SA_S7_PKT3_PKT4_S5_PT5_21rocsparse_index_base_b
		.amdhsa_group_segment_fixed_size 7688
		.amdhsa_private_segment_fixed_size 0
		.amdhsa_kernarg_size 96
		.amdhsa_user_sgpr_count 6
		.amdhsa_user_sgpr_private_segment_buffer 1
		.amdhsa_user_sgpr_dispatch_ptr 0
		.amdhsa_user_sgpr_queue_ptr 0
		.amdhsa_user_sgpr_kernarg_segment_ptr 1
		.amdhsa_user_sgpr_dispatch_id 0
		.amdhsa_user_sgpr_flat_scratch_init 0
		.amdhsa_user_sgpr_private_segment_size 0
		.amdhsa_uses_dynamic_stack 0
		.amdhsa_system_sgpr_private_segment_wavefront_offset 0
		.amdhsa_system_sgpr_workgroup_id_x 1
		.amdhsa_system_sgpr_workgroup_id_y 0
		.amdhsa_system_sgpr_workgroup_id_z 0
		.amdhsa_system_sgpr_workgroup_info 0
		.amdhsa_system_vgpr_workitem_id 0
		.amdhsa_next_free_vgpr 29
		.amdhsa_next_free_sgpr 61
		.amdhsa_reserve_vcc 1
		.amdhsa_reserve_flat_scratch 0
		.amdhsa_float_round_mode_32 0
		.amdhsa_float_round_mode_16_64 0
		.amdhsa_float_denorm_mode_32 3
		.amdhsa_float_denorm_mode_16_64 3
		.amdhsa_dx10_clamp 1
		.amdhsa_ieee_mode 1
		.amdhsa_fp16_overflow 0
		.amdhsa_exception_fp_ieee_invalid_op 0
		.amdhsa_exception_fp_denorm_src 0
		.amdhsa_exception_fp_ieee_div_zero 0
		.amdhsa_exception_fp_ieee_overflow 0
		.amdhsa_exception_fp_ieee_underflow 0
		.amdhsa_exception_fp_ieee_inexact 0
		.amdhsa_exception_int_div_zero 0
	.end_amdhsa_kernel
	.section	.text._ZN9rocsparseL20bsrxmvn_17_32_kernelILj31EdlifddEEvT2_20rocsparse_direction_NS_24const_host_device_scalarIT0_EES1_PKS1_PKT1_SA_S7_PKT3_PKT4_S5_PT5_21rocsparse_index_base_b,"axG",@progbits,_ZN9rocsparseL20bsrxmvn_17_32_kernelILj31EdlifddEEvT2_20rocsparse_direction_NS_24const_host_device_scalarIT0_EES1_PKS1_PKT1_SA_S7_PKT3_PKT4_S5_PT5_21rocsparse_index_base_b,comdat
.Lfunc_end510:
	.size	_ZN9rocsparseL20bsrxmvn_17_32_kernelILj31EdlifddEEvT2_20rocsparse_direction_NS_24const_host_device_scalarIT0_EES1_PKS1_PKT1_SA_S7_PKT3_PKT4_S5_PT5_21rocsparse_index_base_b, .Lfunc_end510-_ZN9rocsparseL20bsrxmvn_17_32_kernelILj31EdlifddEEvT2_20rocsparse_direction_NS_24const_host_device_scalarIT0_EES1_PKS1_PKT1_SA_S7_PKT3_PKT4_S5_PT5_21rocsparse_index_base_b
                                        ; -- End function
	.set _ZN9rocsparseL20bsrxmvn_17_32_kernelILj31EdlifddEEvT2_20rocsparse_direction_NS_24const_host_device_scalarIT0_EES1_PKS1_PKT1_SA_S7_PKT3_PKT4_S5_PT5_21rocsparse_index_base_b.num_vgpr, 20
	.set _ZN9rocsparseL20bsrxmvn_17_32_kernelILj31EdlifddEEvT2_20rocsparse_direction_NS_24const_host_device_scalarIT0_EES1_PKS1_PKT1_SA_S7_PKT3_PKT4_S5_PT5_21rocsparse_index_base_b.num_agpr, 0
	.set _ZN9rocsparseL20bsrxmvn_17_32_kernelILj31EdlifddEEvT2_20rocsparse_direction_NS_24const_host_device_scalarIT0_EES1_PKS1_PKT1_SA_S7_PKT3_PKT4_S5_PT5_21rocsparse_index_base_b.numbered_sgpr, 22
	.set _ZN9rocsparseL20bsrxmvn_17_32_kernelILj31EdlifddEEvT2_20rocsparse_direction_NS_24const_host_device_scalarIT0_EES1_PKS1_PKT1_SA_S7_PKT3_PKT4_S5_PT5_21rocsparse_index_base_b.num_named_barrier, 0
	.set _ZN9rocsparseL20bsrxmvn_17_32_kernelILj31EdlifddEEvT2_20rocsparse_direction_NS_24const_host_device_scalarIT0_EES1_PKS1_PKT1_SA_S7_PKT3_PKT4_S5_PT5_21rocsparse_index_base_b.private_seg_size, 0
	.set _ZN9rocsparseL20bsrxmvn_17_32_kernelILj31EdlifddEEvT2_20rocsparse_direction_NS_24const_host_device_scalarIT0_EES1_PKS1_PKT1_SA_S7_PKT3_PKT4_S5_PT5_21rocsparse_index_base_b.uses_vcc, 1
	.set _ZN9rocsparseL20bsrxmvn_17_32_kernelILj31EdlifddEEvT2_20rocsparse_direction_NS_24const_host_device_scalarIT0_EES1_PKS1_PKT1_SA_S7_PKT3_PKT4_S5_PT5_21rocsparse_index_base_b.uses_flat_scratch, 0
	.set _ZN9rocsparseL20bsrxmvn_17_32_kernelILj31EdlifddEEvT2_20rocsparse_direction_NS_24const_host_device_scalarIT0_EES1_PKS1_PKT1_SA_S7_PKT3_PKT4_S5_PT5_21rocsparse_index_base_b.has_dyn_sized_stack, 0
	.set _ZN9rocsparseL20bsrxmvn_17_32_kernelILj31EdlifddEEvT2_20rocsparse_direction_NS_24const_host_device_scalarIT0_EES1_PKS1_PKT1_SA_S7_PKT3_PKT4_S5_PT5_21rocsparse_index_base_b.has_recursion, 0
	.set _ZN9rocsparseL20bsrxmvn_17_32_kernelILj31EdlifddEEvT2_20rocsparse_direction_NS_24const_host_device_scalarIT0_EES1_PKS1_PKT1_SA_S7_PKT3_PKT4_S5_PT5_21rocsparse_index_base_b.has_indirect_call, 0
	.section	.AMDGPU.csdata,"",@progbits
; Kernel info:
; codeLenInByte = 1420
; TotalNumSgprs: 26
; NumVgprs: 20
; ScratchSize: 0
; MemoryBound: 0
; FloatMode: 240
; IeeeMode: 1
; LDSByteSize: 7688 bytes/workgroup (compile time only)
; SGPRBlocks: 8
; VGPRBlocks: 7
; NumSGPRsForWavesPerEU: 65
; NumVGPRsForWavesPerEU: 29
; Occupancy: 8
; WaveLimiterHint : 1
; COMPUTE_PGM_RSRC2:SCRATCH_EN: 0
; COMPUTE_PGM_RSRC2:USER_SGPR: 6
; COMPUTE_PGM_RSRC2:TRAP_HANDLER: 0
; COMPUTE_PGM_RSRC2:TGID_X_EN: 1
; COMPUTE_PGM_RSRC2:TGID_Y_EN: 0
; COMPUTE_PGM_RSRC2:TGID_Z_EN: 0
; COMPUTE_PGM_RSRC2:TIDIG_COMP_CNT: 0
	.section	.text._ZN9rocsparseL20bsrxmvn_17_32_kernelILj32EdlifddEEvT2_20rocsparse_direction_NS_24const_host_device_scalarIT0_EES1_PKS1_PKT1_SA_S7_PKT3_PKT4_S5_PT5_21rocsparse_index_base_b,"axG",@progbits,_ZN9rocsparseL20bsrxmvn_17_32_kernelILj32EdlifddEEvT2_20rocsparse_direction_NS_24const_host_device_scalarIT0_EES1_PKS1_PKT1_SA_S7_PKT3_PKT4_S5_PT5_21rocsparse_index_base_b,comdat
	.globl	_ZN9rocsparseL20bsrxmvn_17_32_kernelILj32EdlifddEEvT2_20rocsparse_direction_NS_24const_host_device_scalarIT0_EES1_PKS1_PKT1_SA_S7_PKT3_PKT4_S5_PT5_21rocsparse_index_base_b ; -- Begin function _ZN9rocsparseL20bsrxmvn_17_32_kernelILj32EdlifddEEvT2_20rocsparse_direction_NS_24const_host_device_scalarIT0_EES1_PKS1_PKT1_SA_S7_PKT3_PKT4_S5_PT5_21rocsparse_index_base_b
	.p2align	8
	.type	_ZN9rocsparseL20bsrxmvn_17_32_kernelILj32EdlifddEEvT2_20rocsparse_direction_NS_24const_host_device_scalarIT0_EES1_PKS1_PKT1_SA_S7_PKT3_PKT4_S5_PT5_21rocsparse_index_base_b,@function
_ZN9rocsparseL20bsrxmvn_17_32_kernelILj32EdlifddEEvT2_20rocsparse_direction_NS_24const_host_device_scalarIT0_EES1_PKS1_PKT1_SA_S7_PKT3_PKT4_S5_PT5_21rocsparse_index_base_b: ; @_ZN9rocsparseL20bsrxmvn_17_32_kernelILj32EdlifddEEvT2_20rocsparse_direction_NS_24const_host_device_scalarIT0_EES1_PKS1_PKT1_SA_S7_PKT3_PKT4_S5_PT5_21rocsparse_index_base_b
; %bb.0:
	s_load_dwordx2 s[8:9], s[4:5], 0x58
	s_load_dwordx2 s[10:11], s[4:5], 0x8
	;; [unrolled: 1-line block ×3, first 2 shown]
	s_waitcnt lgkmcnt(0)
	s_bitcmp1_b32 s9, 0
	s_cselect_b64 s[12:13], -1, 0
	v_mov_b32_e32 v3, s10
	s_xor_b64 s[2:3], s[12:13], -1
	s_and_b64 vcc, exec, s[12:13]
	v_mov_b32_e32 v4, s11
	s_cbranch_vccnz .LBB511_2
; %bb.1:
	v_mov_b32_e32 v1, s10
	v_mov_b32_e32 v2, s11
	flat_load_dwordx2 v[3:4], v[1:2]
.LBB511_2:
	v_mov_b32_e32 v2, s1
	s_andn2_b64 vcc, exec, s[2:3]
	v_mov_b32_e32 v1, s0
	s_cbranch_vccnz .LBB511_4
; %bb.3:
	v_mov_b32_e32 v2, s1
	v_mov_b32_e32 v1, s0
	flat_load_dwordx2 v[1:2], v[1:2]
.LBB511_4:
	s_waitcnt vmcnt(0) lgkmcnt(0)
	v_cmp_neq_f64_e32 vcc, 0, v[3:4]
	v_cmp_neq_f64_e64 s[0:1], 1.0, v[1:2]
	s_or_b64 s[0:1], vcc, s[0:1]
	s_and_saveexec_b64 s[2:3], s[0:1]
	s_cbranch_execz .LBB511_39
; %bb.5:
	s_load_dwordx4 s[0:3], s[4:5], 0x18
	s_load_dwordx2 s[12:13], s[4:5], 0x28
	s_waitcnt lgkmcnt(0)
	s_cmp_eq_u64 s[0:1], 0
	s_cbranch_scc1 .LBB511_7
; %bb.6:
	s_ashr_i32 s7, s6, 31
	s_lshl_b64 s[6:7], s[6:7], 2
	s_add_u32 s0, s0, s6
	s_addc_u32 s1, s1, s7
	s_load_dword s0, s[0:1], 0x0
	s_waitcnt lgkmcnt(0)
	s_sub_i32 s6, s0, s8
.LBB511_7:
	s_load_dword s7, s[4:5], 0x4
	v_and_b32_e32 v11, 31, v0
	s_waitcnt lgkmcnt(0)
	s_cmp_eq_u32 s7, 1
	s_cselect_b64 s[0:1], -1, 0
	s_cmp_lg_u32 s7, 1
	s_cselect_b64 s[10:11], -1, 0
	s_ashr_i32 s7, s6, 31
	s_lshl_b64 s[14:15], s[6:7], 3
	s_add_u32 s18, s2, s14
	s_addc_u32 s19, s3, s15
	s_add_u32 s2, s18, 8
	s_addc_u32 s3, s19, 0
	;; [unrolled: 2-line block ×3, first 2 shown]
	s_cmp_eq_u64 s[12:13], 0
	s_cselect_b32 s13, s3, s9
	s_cselect_b32 s12, s2, s7
	s_load_dwordx2 s[16:17], s[12:13], 0x0
	s_load_dwordx2 s[14:15], s[18:19], 0x0
	;; [unrolled: 1-line block ×3, first 2 shown]
	s_waitcnt lgkmcnt(0)
	v_mov_b32_e32 v5, s16
	v_mov_b32_e32 v6, s17
	v_cmp_ge_i64_e32 vcc, s[14:15], v[5:6]
	v_mov_b32_e32 v5, 0
	v_mov_b32_e32 v6, 0
	s_cbranch_vccnz .LBB511_10
; %bb.8:
	s_sub_u32 s16, s16, s8
	s_load_dwordx4 s[20:23], s[4:5], 0x30
	s_load_dwordx2 s[12:13], s[4:5], 0x40
	s_subb_u32 s17, s17, 0
	v_lshrrev_b32_e32 v5, 5, v0
	v_cndmask_b32_e64 v12, v11, v5, s[0:1]
	s_sub_u32 s0, s14, s8
	s_subb_u32 s1, s15, 0
	s_lshl_b64 s[4:5], s[0:1], 12
	s_waitcnt lgkmcnt(0)
	s_add_u32 s4, s22, s4
	s_mov_b32 s9, 0
	s_addc_u32 s5, s23, s5
	v_lshlrev_b32_e32 v5, 2, v0
	v_mov_b32_e32 v6, s5
	v_add_co_u32_e32 v7, vcc, s4, v5
	s_lshl_b64 s[4:5], s[14:15], 2
	s_lshl_b64 s[14:15], s[8:9], 2
	s_sub_u32 s4, s4, s14
	s_subb_u32 s5, s5, s15
	v_addc_co_u32_e32 v8, vcc, 0, v6, vcc
	s_add_u32 s4, s20, s4
	v_mov_b32_e32 v5, 0
	v_mov_b32_e32 v9, s16
	s_addc_u32 s5, s21, s5
	v_mov_b32_e32 v6, 0
	v_mov_b32_e32 v13, s13
	;; [unrolled: 1-line block ×3, first 2 shown]
.LBB511_9:                              ; =>This Inner Loop Header: Depth=1
	s_load_dword s7, s[4:5], 0x0
	global_load_dword v16, v[7:8], off
	s_waitcnt lgkmcnt(0)
	s_sub_i32 s7, s7, s8
	v_lshl_or_b32 v14, s7, 5, v12
	v_ashrrev_i32_e32 v15, 31, v14
	v_lshlrev_b64 v[14:15], 3, v[14:15]
	s_add_u32 s0, s0, 1
	v_add_co_u32_e32 v14, vcc, s12, v14
	v_addc_co_u32_e32 v15, vcc, v13, v15, vcc
	global_load_dwordx2 v[14:15], v[14:15], off
	v_add_co_u32_e32 v7, vcc, 0x1000, v7
	v_addc_co_u32_e32 v8, vcc, 0, v8, vcc
	s_addc_u32 s1, s1, 0
	v_cmp_lt_i64_e32 vcc, s[0:1], v[9:10]
	s_add_u32 s4, s4, 4
	s_addc_u32 s5, s5, 0
	s_and_b64 vcc, exec, vcc
	s_waitcnt vmcnt(1)
	v_cvt_f64_f32_e32 v[16:17], v16
	s_waitcnt vmcnt(0)
	v_fma_f64 v[5:6], v[16:17], v[14:15], v[5:6]
	s_cbranch_vccnz .LBB511_9
.LBB511_10:
	v_lshlrev_b32_e32 v9, 3, v0
	s_and_b64 vcc, exec, s[10:11]
	ds_write_b64 v9, v[5:6]
	s_waitcnt lgkmcnt(0)
	s_barrier
	s_cbranch_vccz .LBB511_22
; %bb.11:
	v_cmp_gt_u32_e32 vcc, 16, v11
	s_and_saveexec_b64 s[0:1], vcc
	s_cbranch_execz .LBB511_13
; %bb.12:
	ds_read2_b64 v[12:15], v9 offset1:16
	s_waitcnt lgkmcnt(0)
	v_add_f64 v[7:8], v[14:15], v[12:13]
	ds_write_b64 v9, v[7:8]
.LBB511_13:
	s_or_b64 exec, exec, s[0:1]
	v_cmp_gt_u32_e32 vcc, 8, v11
	s_waitcnt lgkmcnt(0)
	s_barrier
	s_and_saveexec_b64 s[0:1], vcc
	s_cbranch_execz .LBB511_15
; %bb.14:
	ds_read2_b64 v[12:15], v9 offset1:8
	s_waitcnt lgkmcnt(0)
	v_add_f64 v[7:8], v[14:15], v[12:13]
	ds_write_b64 v9, v[7:8]
.LBB511_15:
	s_or_b64 exec, exec, s[0:1]
	v_cmp_gt_u32_e32 vcc, 4, v11
	s_waitcnt lgkmcnt(0)
	s_barrier
	;; [unrolled: 12-line block ×3, first 2 shown]
	s_and_saveexec_b64 s[0:1], vcc
	s_cbranch_execz .LBB511_19
; %bb.18:
	ds_read2_b64 v[10:13], v9 offset1:2
	s_waitcnt lgkmcnt(0)
	v_add_f64 v[7:8], v[12:13], v[10:11]
	ds_write_b64 v9, v[7:8]
.LBB511_19:
	s_or_b64 exec, exec, s[0:1]
	v_mov_b32_e32 v8, v6
	v_cmp_gt_u32_e32 vcc, 32, v0
	v_mov_b32_e32 v7, v5
	s_waitcnt lgkmcnt(0)
	s_barrier
	s_and_saveexec_b64 s[0:1], vcc
	s_cbranch_execz .LBB511_21
; %bb.20:
	s_movk_i32 s4, 0xf8
	v_mad_u32_u24 v7, v0, s4, v9
	ds_read_b128 v[10:13], v7
	s_waitcnt lgkmcnt(0)
	v_add_f64 v[7:8], v[10:11], v[12:13]
.LBB511_21:
	s_or_b64 exec, exec, s[0:1]
	s_branch .LBB511_34
.LBB511_22:
                                        ; implicit-def: $vgpr7_vgpr8
	s_cbranch_execz .LBB511_34
; %bb.23:
	s_movk_i32 s0, 0x200
	v_cmp_gt_u32_e32 vcc, s0, v0
	s_and_saveexec_b64 s[0:1], vcc
	s_cbranch_execz .LBB511_25
; %bb.24:
	ds_read2st64_b64 v[10:13], v9 offset1:8
	s_waitcnt lgkmcnt(0)
	v_add_f64 v[7:8], v[12:13], v[10:11]
	ds_write_b64 v9, v[7:8]
.LBB511_25:
	s_or_b64 exec, exec, s[0:1]
	s_movk_i32 s0, 0x100
	v_cmp_gt_u32_e32 vcc, s0, v0
	s_waitcnt lgkmcnt(0)
	s_barrier
	s_and_saveexec_b64 s[0:1], vcc
	s_cbranch_execz .LBB511_27
; %bb.26:
	ds_read2st64_b64 v[10:13], v9 offset1:4
	s_waitcnt lgkmcnt(0)
	v_add_f64 v[7:8], v[12:13], v[10:11]
	ds_write_b64 v9, v[7:8]
.LBB511_27:
	s_or_b64 exec, exec, s[0:1]
	s_movk_i32 s0, 0x80
	v_cmp_gt_u32_e32 vcc, s0, v0
	s_waitcnt lgkmcnt(0)
	s_barrier
	s_and_saveexec_b64 s[0:1], vcc
	s_cbranch_execz .LBB511_29
; %bb.28:
	ds_read2st64_b64 v[10:13], v9 offset1:2
	s_waitcnt lgkmcnt(0)
	v_add_f64 v[7:8], v[12:13], v[10:11]
	ds_write_b64 v9, v[7:8]
.LBB511_29:
	s_or_b64 exec, exec, s[0:1]
	v_cmp_gt_u32_e32 vcc, 64, v0
	s_waitcnt lgkmcnt(0)
	s_barrier
	s_and_saveexec_b64 s[0:1], vcc
	s_cbranch_execz .LBB511_31
; %bb.30:
	ds_read2st64_b64 v[10:13], v9 offset1:1
	s_waitcnt lgkmcnt(0)
	v_add_f64 v[7:8], v[12:13], v[10:11]
	ds_write_b64 v9, v[7:8]
.LBB511_31:
	s_or_b64 exec, exec, s[0:1]
	v_cmp_gt_u32_e32 vcc, 32, v0
	s_waitcnt lgkmcnt(0)
	s_and_saveexec_b64 s[0:1], vcc
	s_cbranch_execz .LBB511_33
; %bb.32:
	ds_read2_b64 v[5:8], v9 offset1:32
	s_waitcnt lgkmcnt(0)
	v_add_f64 v[5:6], v[5:6], v[7:8]
.LBB511_33:
	s_or_b64 exec, exec, s[0:1]
	v_mov_b32_e32 v8, v6
	v_mov_b32_e32 v7, v5
.LBB511_34:
	v_cmp_gt_u32_e32 vcc, 32, v0
	s_and_b64 exec, exec, vcc
	s_cbranch_execz .LBB511_39
; %bb.35:
	v_cmp_eq_f64_e32 vcc, 0, v[1:2]
	v_mul_f64 v[3:4], v[3:4], v[7:8]
	v_lshl_or_b32 v5, s6, 5, v0
	s_and_saveexec_b64 s[0:1], vcc
	s_xor_b64 s[0:1], exec, s[0:1]
	s_cbranch_execz .LBB511_37
; %bb.36:
	v_mov_b32_e32 v6, 0
	v_lshlrev_b64 v[0:1], 3, v[5:6]
	v_mov_b32_e32 v2, s3
	v_add_co_u32_e32 v0, vcc, s2, v0
	v_addc_co_u32_e32 v1, vcc, v2, v1, vcc
	global_store_dwordx2 v[0:1], v[3:4], off
                                        ; implicit-def: $vgpr5
                                        ; implicit-def: $vgpr1_vgpr2
                                        ; implicit-def: $vgpr3_vgpr4
.LBB511_37:
	s_andn2_saveexec_b64 s[0:1], s[0:1]
	s_cbranch_execz .LBB511_39
; %bb.38:
	v_mov_b32_e32 v6, 0
	v_lshlrev_b64 v[5:6], 3, v[5:6]
	v_mov_b32_e32 v0, s3
	v_add_co_u32_e32 v5, vcc, s2, v5
	v_addc_co_u32_e32 v6, vcc, v0, v6, vcc
	global_load_dwordx2 v[7:8], v[5:6], off
	s_waitcnt vmcnt(0)
	v_fma_f64 v[0:1], v[1:2], v[7:8], v[3:4]
	global_store_dwordx2 v[5:6], v[0:1], off
.LBB511_39:
	s_endpgm
	.section	.rodata,"a",@progbits
	.p2align	6, 0x0
	.amdhsa_kernel _ZN9rocsparseL20bsrxmvn_17_32_kernelILj32EdlifddEEvT2_20rocsparse_direction_NS_24const_host_device_scalarIT0_EES1_PKS1_PKT1_SA_S7_PKT3_PKT4_S5_PT5_21rocsparse_index_base_b
		.amdhsa_group_segment_fixed_size 8192
		.amdhsa_private_segment_fixed_size 0
		.amdhsa_kernarg_size 96
		.amdhsa_user_sgpr_count 6
		.amdhsa_user_sgpr_private_segment_buffer 1
		.amdhsa_user_sgpr_dispatch_ptr 0
		.amdhsa_user_sgpr_queue_ptr 0
		.amdhsa_user_sgpr_kernarg_segment_ptr 1
		.amdhsa_user_sgpr_dispatch_id 0
		.amdhsa_user_sgpr_flat_scratch_init 0
		.amdhsa_user_sgpr_private_segment_size 0
		.amdhsa_uses_dynamic_stack 0
		.amdhsa_system_sgpr_private_segment_wavefront_offset 0
		.amdhsa_system_sgpr_workgroup_id_x 1
		.amdhsa_system_sgpr_workgroup_id_y 0
		.amdhsa_system_sgpr_workgroup_id_z 0
		.amdhsa_system_sgpr_workgroup_info 0
		.amdhsa_system_vgpr_workitem_id 0
		.amdhsa_next_free_vgpr 29
		.amdhsa_next_free_sgpr 61
		.amdhsa_reserve_vcc 1
		.amdhsa_reserve_flat_scratch 0
		.amdhsa_float_round_mode_32 0
		.amdhsa_float_round_mode_16_64 0
		.amdhsa_float_denorm_mode_32 3
		.amdhsa_float_denorm_mode_16_64 3
		.amdhsa_dx10_clamp 1
		.amdhsa_ieee_mode 1
		.amdhsa_fp16_overflow 0
		.amdhsa_exception_fp_ieee_invalid_op 0
		.amdhsa_exception_fp_denorm_src 0
		.amdhsa_exception_fp_ieee_div_zero 0
		.amdhsa_exception_fp_ieee_overflow 0
		.amdhsa_exception_fp_ieee_underflow 0
		.amdhsa_exception_fp_ieee_inexact 0
		.amdhsa_exception_int_div_zero 0
	.end_amdhsa_kernel
	.section	.text._ZN9rocsparseL20bsrxmvn_17_32_kernelILj32EdlifddEEvT2_20rocsparse_direction_NS_24const_host_device_scalarIT0_EES1_PKS1_PKT1_SA_S7_PKT3_PKT4_S5_PT5_21rocsparse_index_base_b,"axG",@progbits,_ZN9rocsparseL20bsrxmvn_17_32_kernelILj32EdlifddEEvT2_20rocsparse_direction_NS_24const_host_device_scalarIT0_EES1_PKS1_PKT1_SA_S7_PKT3_PKT4_S5_PT5_21rocsparse_index_base_b,comdat
.Lfunc_end511:
	.size	_ZN9rocsparseL20bsrxmvn_17_32_kernelILj32EdlifddEEvT2_20rocsparse_direction_NS_24const_host_device_scalarIT0_EES1_PKS1_PKT1_SA_S7_PKT3_PKT4_S5_PT5_21rocsparse_index_base_b, .Lfunc_end511-_ZN9rocsparseL20bsrxmvn_17_32_kernelILj32EdlifddEEvT2_20rocsparse_direction_NS_24const_host_device_scalarIT0_EES1_PKS1_PKT1_SA_S7_PKT3_PKT4_S5_PT5_21rocsparse_index_base_b
                                        ; -- End function
	.set _ZN9rocsparseL20bsrxmvn_17_32_kernelILj32EdlifddEEvT2_20rocsparse_direction_NS_24const_host_device_scalarIT0_EES1_PKS1_PKT1_SA_S7_PKT3_PKT4_S5_PT5_21rocsparse_index_base_b.num_vgpr, 18
	.set _ZN9rocsparseL20bsrxmvn_17_32_kernelILj32EdlifddEEvT2_20rocsparse_direction_NS_24const_host_device_scalarIT0_EES1_PKS1_PKT1_SA_S7_PKT3_PKT4_S5_PT5_21rocsparse_index_base_b.num_agpr, 0
	.set _ZN9rocsparseL20bsrxmvn_17_32_kernelILj32EdlifddEEvT2_20rocsparse_direction_NS_24const_host_device_scalarIT0_EES1_PKS1_PKT1_SA_S7_PKT3_PKT4_S5_PT5_21rocsparse_index_base_b.numbered_sgpr, 24
	.set _ZN9rocsparseL20bsrxmvn_17_32_kernelILj32EdlifddEEvT2_20rocsparse_direction_NS_24const_host_device_scalarIT0_EES1_PKS1_PKT1_SA_S7_PKT3_PKT4_S5_PT5_21rocsparse_index_base_b.num_named_barrier, 0
	.set _ZN9rocsparseL20bsrxmvn_17_32_kernelILj32EdlifddEEvT2_20rocsparse_direction_NS_24const_host_device_scalarIT0_EES1_PKS1_PKT1_SA_S7_PKT3_PKT4_S5_PT5_21rocsparse_index_base_b.private_seg_size, 0
	.set _ZN9rocsparseL20bsrxmvn_17_32_kernelILj32EdlifddEEvT2_20rocsparse_direction_NS_24const_host_device_scalarIT0_EES1_PKS1_PKT1_SA_S7_PKT3_PKT4_S5_PT5_21rocsparse_index_base_b.uses_vcc, 1
	.set _ZN9rocsparseL20bsrxmvn_17_32_kernelILj32EdlifddEEvT2_20rocsparse_direction_NS_24const_host_device_scalarIT0_EES1_PKS1_PKT1_SA_S7_PKT3_PKT4_S5_PT5_21rocsparse_index_base_b.uses_flat_scratch, 0
	.set _ZN9rocsparseL20bsrxmvn_17_32_kernelILj32EdlifddEEvT2_20rocsparse_direction_NS_24const_host_device_scalarIT0_EES1_PKS1_PKT1_SA_S7_PKT3_PKT4_S5_PT5_21rocsparse_index_base_b.has_dyn_sized_stack, 0
	.set _ZN9rocsparseL20bsrxmvn_17_32_kernelILj32EdlifddEEvT2_20rocsparse_direction_NS_24const_host_device_scalarIT0_EES1_PKS1_PKT1_SA_S7_PKT3_PKT4_S5_PT5_21rocsparse_index_base_b.has_recursion, 0
	.set _ZN9rocsparseL20bsrxmvn_17_32_kernelILj32EdlifddEEvT2_20rocsparse_direction_NS_24const_host_device_scalarIT0_EES1_PKS1_PKT1_SA_S7_PKT3_PKT4_S5_PT5_21rocsparse_index_base_b.has_indirect_call, 0
	.section	.AMDGPU.csdata,"",@progbits
; Kernel info:
; codeLenInByte = 1264
; TotalNumSgprs: 28
; NumVgprs: 18
; ScratchSize: 0
; MemoryBound: 0
; FloatMode: 240
; IeeeMode: 1
; LDSByteSize: 8192 bytes/workgroup (compile time only)
; SGPRBlocks: 8
; VGPRBlocks: 7
; NumSGPRsForWavesPerEU: 65
; NumVGPRsForWavesPerEU: 29
; Occupancy: 8
; WaveLimiterHint : 1
; COMPUTE_PGM_RSRC2:SCRATCH_EN: 0
; COMPUTE_PGM_RSRC2:USER_SGPR: 6
; COMPUTE_PGM_RSRC2:TRAP_HANDLER: 0
; COMPUTE_PGM_RSRC2:TGID_X_EN: 1
; COMPUTE_PGM_RSRC2:TGID_Y_EN: 0
; COMPUTE_PGM_RSRC2:TGID_Z_EN: 0
; COMPUTE_PGM_RSRC2:TIDIG_COMP_CNT: 0
	.section	.text._ZN9rocsparseL20bsrxmvn_17_32_kernelILj17EdllfddEEvT2_20rocsparse_direction_NS_24const_host_device_scalarIT0_EES1_PKS1_PKT1_SA_S7_PKT3_PKT4_S5_PT5_21rocsparse_index_base_b,"axG",@progbits,_ZN9rocsparseL20bsrxmvn_17_32_kernelILj17EdllfddEEvT2_20rocsparse_direction_NS_24const_host_device_scalarIT0_EES1_PKS1_PKT1_SA_S7_PKT3_PKT4_S5_PT5_21rocsparse_index_base_b,comdat
	.globl	_ZN9rocsparseL20bsrxmvn_17_32_kernelILj17EdllfddEEvT2_20rocsparse_direction_NS_24const_host_device_scalarIT0_EES1_PKS1_PKT1_SA_S7_PKT3_PKT4_S5_PT5_21rocsparse_index_base_b ; -- Begin function _ZN9rocsparseL20bsrxmvn_17_32_kernelILj17EdllfddEEvT2_20rocsparse_direction_NS_24const_host_device_scalarIT0_EES1_PKS1_PKT1_SA_S7_PKT3_PKT4_S5_PT5_21rocsparse_index_base_b
	.p2align	8
	.type	_ZN9rocsparseL20bsrxmvn_17_32_kernelILj17EdllfddEEvT2_20rocsparse_direction_NS_24const_host_device_scalarIT0_EES1_PKS1_PKT1_SA_S7_PKT3_PKT4_S5_PT5_21rocsparse_index_base_b,@function
_ZN9rocsparseL20bsrxmvn_17_32_kernelILj17EdllfddEEvT2_20rocsparse_direction_NS_24const_host_device_scalarIT0_EES1_PKS1_PKT1_SA_S7_PKT3_PKT4_S5_PT5_21rocsparse_index_base_b: ; @_ZN9rocsparseL20bsrxmvn_17_32_kernelILj17EdllfddEEvT2_20rocsparse_direction_NS_24const_host_device_scalarIT0_EES1_PKS1_PKT1_SA_S7_PKT3_PKT4_S5_PT5_21rocsparse_index_base_b
; %bb.0:
	s_load_dwordx2 s[14:15], s[4:5], 0x60
	s_load_dwordx2 s[8:9], s[4:5], 0x10
	s_load_dwordx2 s[0:1], s[4:5], 0x50
	s_waitcnt lgkmcnt(0)
	s_bitcmp1_b32 s15, 0
	s_cselect_b64 s[10:11], -1, 0
	v_mov_b32_e32 v3, s8
	s_xor_b64 s[2:3], s[10:11], -1
	s_and_b64 vcc, exec, s[10:11]
	v_mov_b32_e32 v4, s9
	s_cbranch_vccnz .LBB512_2
; %bb.1:
	v_mov_b32_e32 v1, s8
	v_mov_b32_e32 v2, s9
	flat_load_dwordx2 v[3:4], v[1:2]
.LBB512_2:
	v_mov_b32_e32 v2, s1
	s_andn2_b64 vcc, exec, s[2:3]
	v_mov_b32_e32 v1, s0
	s_cbranch_vccnz .LBB512_4
; %bb.3:
	v_mov_b32_e32 v2, s1
	v_mov_b32_e32 v1, s0
	flat_load_dwordx2 v[1:2], v[1:2]
.LBB512_4:
	s_waitcnt vmcnt(0) lgkmcnt(0)
	v_cmp_neq_f64_e32 vcc, 0, v[3:4]
	v_cmp_neq_f64_e64 s[0:1], 1.0, v[1:2]
	s_or_b64 s[0:1], vcc, s[0:1]
	s_and_saveexec_b64 s[2:3], s[0:1]
	s_cbranch_execz .LBB512_41
; %bb.5:
	s_load_dwordx4 s[0:3], s[4:5], 0x20
	s_load_dwordx2 s[8:9], s[4:5], 0x30
	s_mov_b32 s7, 0
	s_waitcnt lgkmcnt(0)
	s_cmp_eq_u64 s[0:1], 0
	s_cbranch_scc1 .LBB512_7
; %bb.6:
	s_lshl_b64 s[6:7], s[6:7], 3
	s_add_u32 s0, s0, s6
	s_addc_u32 s1, s1, s7
	s_load_dwordx2 s[0:1], s[0:1], 0x0
	s_waitcnt lgkmcnt(0)
	s_sub_u32 s6, s0, s14
	s_subb_u32 s7, s1, 0
.LBB512_7:
	s_load_dword s10, s[4:5], 0x8
	s_load_dwordx2 s[12:13], s[4:5], 0x58
	v_mul_u32_u24_e32 v7, 0xf10, v0
	v_mov_b32_e32 v5, 17
	v_mul_lo_u16_sdwa v5, v7, v5 dst_sel:DWORD dst_unused:UNUSED_PAD src0_sel:WORD_1 src1_sel:DWORD
	s_waitcnt lgkmcnt(0)
	s_cmp_eq_u32 s10, 1
	s_cselect_b64 s[0:1], -1, 0
	s_cmp_lg_u32 s10, 1
	s_cselect_b64 s[16:17], -1, 0
	s_lshl_b64 s[10:11], s[6:7], 3
	s_add_u32 s20, s2, s10
	s_addc_u32 s21, s3, s11
	s_add_u32 s2, s20, 8
	s_addc_u32 s3, s21, 0
	;; [unrolled: 2-line block ×3, first 2 shown]
	s_cmp_eq_u64 s[8:9], 0
	s_cselect_b32 s9, s3, s11
	s_cselect_b32 s8, s2, s10
	s_load_dwordx2 s[2:3], s[8:9], 0x0
	s_load_dwordx2 s[18:19], s[20:21], 0x0
	v_sub_u16_e32 v13, v0, v5
	s_waitcnt lgkmcnt(0)
	v_mov_b32_e32 v6, s3
	v_mov_b32_e32 v5, s2
	v_cmp_ge_i64_e32 vcc, s[18:19], v[5:6]
	v_mov_b32_e32 v5, 0
	v_mov_b32_e32 v6, 0
	s_cbranch_vccnz .LBB512_12
; %bb.8:
	v_mov_b32_e32 v5, 31
	v_mul_lo_u16_sdwa v5, v7, v5 dst_sel:DWORD dst_unused:UNUSED_PAD src0_sel:WORD_1 src1_sel:DWORD
	v_lshrrev_b16_e32 v5, 9, v5
	s_load_dwordx4 s[8:11], s[4:5], 0x38
	s_load_dwordx2 s[20:21], s[4:5], 0x48
	v_mul_lo_u16_e32 v5, 17, v5
	s_sub_u32 s2, s2, s14
	v_sub_u16_sdwa v5, v7, v5 dst_sel:DWORD dst_unused:UNUSED_PAD src0_sel:WORD_1 src1_sel:DWORD
	s_subb_u32 s3, s3, 0
	v_and_b32_e32 v5, 0xff, v5
	s_sub_u32 s4, s18, s14
	v_cndmask_b32_e64 v5, v13, v5, s[0:1]
	s_subb_u32 s5, s19, 0
	v_lshlrev_b32_e32 v5, 3, v5
	s_mul_i32 s0, s5, 0x484
	s_mul_hi_u32 s1, s4, 0x484
	s_waitcnt lgkmcnt(0)
	v_mov_b32_e32 v6, s21
	v_add_co_u32_e32 v7, vcc, s20, v5
	s_add_i32 s1, s1, s0
	s_mul_i32 s0, s4, 0x484
	v_addc_co_u32_e32 v8, vcc, 0, v6, vcc
	s_add_u32 s0, s10, s0
	v_lshlrev_b32_e32 v5, 2, v0
	s_addc_u32 s1, s11, s1
	v_add_co_u32_e32 v9, vcc, s0, v5
	s_movk_i32 s0, 0xe3
	v_mov_b32_e32 v6, s1
	v_mul_u32_u24_sdwa v5, v0, s0 dst_sel:DWORD dst_unused:UNUSED_PAD src0_sel:WORD_0 src1_sel:DWORD
	v_addc_co_u32_e32 v10, vcc, 0, v6, vcc
	v_lshrrev_b32_e32 v14, 16, v5
	v_mov_b32_e32 v5, s19
	v_add_co_u32_e32 v6, vcc, s18, v14
	v_addc_co_u32_e32 v11, vcc, 0, v5, vcc
	v_subrev_co_u32_e32 v5, vcc, s14, v6
	v_subbrev_co_u32_e32 v6, vcc, 0, v11, vcc
	v_lshlrev_b64 v[5:6], 3, v[5:6]
	v_mov_b32_e32 v12, s9
	v_add_co_u32_e32 v11, vcc, s8, v5
	v_addc_co_u32_e32 v12, vcc, v12, v6, vcc
	v_mov_b32_e32 v5, 0
	v_mov_b32_e32 v6, 0
	s_movk_i32 s8, 0x88
	s_branch .LBB512_10
.LBB512_9:                              ;   in Loop: Header=BB512_10 Depth=1
	s_or_b64 exec, exec, s[0:1]
	s_add_u32 s4, s4, 1
	v_mov_b32_e32 v16, s3
	s_addc_u32 s5, s5, 0
	v_mov_b32_e32 v15, s2
	v_cmp_lt_i64_e32 vcc, s[4:5], v[15:16]
	v_add_co_u32_e64 v11, s[0:1], 8, v11
	v_addc_co_u32_e64 v12, s[0:1], 0, v12, s[0:1]
	s_cbranch_vccz .LBB512_12
.LBB512_10:                             ; =>This Inner Loop Header: Depth=1
	v_mov_b32_e32 v16, s5
	v_add_co_u32_e32 v15, vcc, s4, v14
	v_addc_co_u32_e32 v16, vcc, 0, v16, vcc
	v_cmp_gt_i64_e32 vcc, s[2:3], v[15:16]
	s_and_saveexec_b64 s[0:1], vcc
	s_cbranch_execz .LBB512_9
; %bb.11:                               ;   in Loop: Header=BB512_10 Depth=1
	global_load_dwordx2 v[15:16], v[11:12], off
	s_waitcnt vmcnt(0)
	v_subrev_co_u32_e32 v15, vcc, s14, v15
	v_subbrev_co_u32_e32 v17, vcc, 0, v16, vcc
	v_mad_u64_u32 v[15:16], s[10:11], v15, s8, v[7:8]
	v_mad_u64_u32 v[16:17], s[10:11], v17, s8, v[16:17]
	global_load_dword v17, v[9:10], off
	s_nop 0
	global_load_dwordx2 v[15:16], v[15:16], off
	v_add_co_u32_e32 v9, vcc, 0x484, v9
	v_addc_co_u32_e32 v10, vcc, 0, v10, vcc
	s_waitcnt vmcnt(1)
	v_cvt_f64_f32_e32 v[17:18], v17
	s_waitcnt vmcnt(0)
	v_fma_f64 v[5:6], v[17:18], v[15:16], v[5:6]
	s_branch .LBB512_9
.LBB512_12:
	v_lshlrev_b32_e32 v9, 3, v0
	s_and_b64 vcc, exec, s[16:17]
	ds_write_b64 v9, v[5:6]
	s_waitcnt lgkmcnt(0)
	s_barrier
	s_cbranch_vccz .LBB512_24
; %bb.13:
	v_cmp_eq_u16_e32 vcc, 0, v13
	s_and_saveexec_b64 s[0:1], vcc
	s_cbranch_execz .LBB512_15
; %bb.14:
	ds_read2_b64 v[14:17], v9 offset1:16
	s_waitcnt lgkmcnt(0)
	v_add_f64 v[7:8], v[16:17], v[14:15]
	ds_write_b64 v9, v[7:8]
.LBB512_15:
	s_or_b64 exec, exec, s[0:1]
	v_cmp_gt_u16_e32 vcc, 8, v13
	s_waitcnt lgkmcnt(0)
	s_barrier
	s_and_saveexec_b64 s[0:1], vcc
	s_cbranch_execz .LBB512_17
; %bb.16:
	ds_read2_b64 v[14:17], v9 offset1:8
	s_waitcnt lgkmcnt(0)
	v_add_f64 v[7:8], v[16:17], v[14:15]
	ds_write_b64 v9, v[7:8]
.LBB512_17:
	s_or_b64 exec, exec, s[0:1]
	v_cmp_gt_u16_e32 vcc, 4, v13
	s_waitcnt lgkmcnt(0)
	s_barrier
	;; [unrolled: 12-line block ×3, first 2 shown]
	s_and_saveexec_b64 s[0:1], vcc
	s_cbranch_execz .LBB512_21
; %bb.20:
	ds_read2_b64 v[10:13], v9 offset1:2
	s_waitcnt lgkmcnt(0)
	v_add_f64 v[7:8], v[12:13], v[10:11]
	ds_write_b64 v9, v[7:8]
.LBB512_21:
	s_or_b64 exec, exec, s[0:1]
	v_mov_b32_e32 v8, v6
	v_cmp_gt_u32_e32 vcc, 17, v0
	v_mov_b32_e32 v7, v5
	s_waitcnt lgkmcnt(0)
	s_barrier
	s_and_saveexec_b64 s[0:1], vcc
	s_cbranch_execz .LBB512_23
; %bb.22:
	v_lshl_add_u32 v7, v0, 7, v9
	ds_read2_b64 v[10:13], v7 offset1:1
	s_waitcnt lgkmcnt(0)
	v_add_f64 v[7:8], v[10:11], v[12:13]
.LBB512_23:
	s_or_b64 exec, exec, s[0:1]
	v_cmp_gt_u32_e64 s[0:1], 17, v0
	s_branch .LBB512_36
.LBB512_24:
                                        ; implicit-def: $vgpr7_vgpr8
	v_cmp_gt_u32_e64 s[0:1], 17, v0
	s_cbranch_execz .LBB512_36
; %bb.25:
	s_and_saveexec_b64 s[2:3], s[0:1]
	s_cbranch_execz .LBB512_27
; %bb.26:
	ds_read_b64 v[7:8], v9 offset:2176
	ds_read_b64 v[10:11], v9
	s_waitcnt lgkmcnt(0)
	v_add_f64 v[7:8], v[7:8], v[10:11]
	ds_write_b64 v9, v[7:8]
.LBB512_27:
	s_or_b64 exec, exec, s[2:3]
	s_movk_i32 s2, 0x88
	v_cmp_gt_u32_e32 vcc, s2, v0
	s_waitcnt lgkmcnt(0)
	s_barrier
	s_and_saveexec_b64 s[2:3], vcc
	s_cbranch_execz .LBB512_29
; %bb.28:
	ds_read2_b64 v[10:13], v9 offset1:136
	s_waitcnt lgkmcnt(0)
	v_add_f64 v[7:8], v[12:13], v[10:11]
	ds_write_b64 v9, v[7:8]
.LBB512_29:
	s_or_b64 exec, exec, s[2:3]
	s_movk_i32 s2, 0x44
	v_cmp_gt_u32_e32 vcc, s2, v0
	s_waitcnt lgkmcnt(0)
	s_barrier
	s_and_saveexec_b64 s[2:3], vcc
	s_cbranch_execz .LBB512_31
; %bb.30:
	ds_read2_b64 v[10:13], v9 offset1:68
	s_waitcnt lgkmcnt(0)
	v_add_f64 v[7:8], v[12:13], v[10:11]
	ds_write_b64 v9, v[7:8]
.LBB512_31:
	s_or_b64 exec, exec, s[2:3]
	v_cmp_gt_u32_e32 vcc, 34, v0
	s_waitcnt lgkmcnt(0)
	s_barrier
	s_and_saveexec_b64 s[2:3], vcc
	s_cbranch_execz .LBB512_33
; %bb.32:
	ds_read2_b64 v[10:13], v9 offset1:34
	s_waitcnt lgkmcnt(0)
	v_add_f64 v[7:8], v[12:13], v[10:11]
	ds_write_b64 v9, v[7:8]
.LBB512_33:
	s_or_b64 exec, exec, s[2:3]
	s_waitcnt lgkmcnt(0)
	s_and_saveexec_b64 s[2:3], s[0:1]
	s_cbranch_execz .LBB512_35
; %bb.34:
	ds_read2_b64 v[5:8], v9 offset1:17
	s_waitcnt lgkmcnt(0)
	v_add_f64 v[5:6], v[5:6], v[7:8]
.LBB512_35:
	s_or_b64 exec, exec, s[2:3]
	v_mov_b32_e32 v8, v6
	v_mov_b32_e32 v7, v5
.LBB512_36:
	v_cmp_gt_u32_e32 vcc, 17, v0
	s_and_b64 exec, exec, vcc
	s_cbranch_execz .LBB512_41
; %bb.37:
	v_cmp_eq_f64_e32 vcc, 0, v[1:2]
	v_mul_f64 v[3:4], v[3:4], v[7:8]
	s_mul_i32 s2, s7, 0x88
	s_mul_hi_u32 s3, s6, 0x88
	s_mul_i32 s4, s6, 0x88
	s_and_saveexec_b64 s[0:1], vcc
	s_xor_b64 s[0:1], exec, s[0:1]
	s_cbranch_execz .LBB512_39
; %bb.38:
	s_add_i32 s5, s3, s2
	s_add_u32 s6, s12, s4
	s_addc_u32 s7, s13, s5
	global_store_dwordx2 v9, v[3:4], s[6:7]
                                        ; implicit-def: $vgpr9
                                        ; implicit-def: $vgpr1_vgpr2
                                        ; implicit-def: $vgpr3_vgpr4
.LBB512_39:
	s_andn2_saveexec_b64 s[0:1], s[0:1]
	s_cbranch_execz .LBB512_41
; %bb.40:
	s_add_i32 s3, s3, s2
	s_add_u32 s0, s12, s4
	s_addc_u32 s1, s13, s3
	global_load_dwordx2 v[5:6], v9, s[0:1]
	s_waitcnt vmcnt(0)
	v_fma_f64 v[0:1], v[1:2], v[5:6], v[3:4]
	global_store_dwordx2 v9, v[0:1], s[0:1]
.LBB512_41:
	s_endpgm
	.section	.rodata,"a",@progbits
	.p2align	6, 0x0
	.amdhsa_kernel _ZN9rocsparseL20bsrxmvn_17_32_kernelILj17EdllfddEEvT2_20rocsparse_direction_NS_24const_host_device_scalarIT0_EES1_PKS1_PKT1_SA_S7_PKT3_PKT4_S5_PT5_21rocsparse_index_base_b
		.amdhsa_group_segment_fixed_size 2312
		.amdhsa_private_segment_fixed_size 0
		.amdhsa_kernarg_size 104
		.amdhsa_user_sgpr_count 6
		.amdhsa_user_sgpr_private_segment_buffer 1
		.amdhsa_user_sgpr_dispatch_ptr 0
		.amdhsa_user_sgpr_queue_ptr 0
		.amdhsa_user_sgpr_kernarg_segment_ptr 1
		.amdhsa_user_sgpr_dispatch_id 0
		.amdhsa_user_sgpr_flat_scratch_init 0
		.amdhsa_user_sgpr_private_segment_size 0
		.amdhsa_uses_dynamic_stack 0
		.amdhsa_system_sgpr_private_segment_wavefront_offset 0
		.amdhsa_system_sgpr_workgroup_id_x 1
		.amdhsa_system_sgpr_workgroup_id_y 0
		.amdhsa_system_sgpr_workgroup_id_z 0
		.amdhsa_system_sgpr_workgroup_info 0
		.amdhsa_system_vgpr_workitem_id 0
		.amdhsa_next_free_vgpr 19
		.amdhsa_next_free_sgpr 22
		.amdhsa_reserve_vcc 1
		.amdhsa_reserve_flat_scratch 0
		.amdhsa_float_round_mode_32 0
		.amdhsa_float_round_mode_16_64 0
		.amdhsa_float_denorm_mode_32 3
		.amdhsa_float_denorm_mode_16_64 3
		.amdhsa_dx10_clamp 1
		.amdhsa_ieee_mode 1
		.amdhsa_fp16_overflow 0
		.amdhsa_exception_fp_ieee_invalid_op 0
		.amdhsa_exception_fp_denorm_src 0
		.amdhsa_exception_fp_ieee_div_zero 0
		.amdhsa_exception_fp_ieee_overflow 0
		.amdhsa_exception_fp_ieee_underflow 0
		.amdhsa_exception_fp_ieee_inexact 0
		.amdhsa_exception_int_div_zero 0
	.end_amdhsa_kernel
	.section	.text._ZN9rocsparseL20bsrxmvn_17_32_kernelILj17EdllfddEEvT2_20rocsparse_direction_NS_24const_host_device_scalarIT0_EES1_PKS1_PKT1_SA_S7_PKT3_PKT4_S5_PT5_21rocsparse_index_base_b,"axG",@progbits,_ZN9rocsparseL20bsrxmvn_17_32_kernelILj17EdllfddEEvT2_20rocsparse_direction_NS_24const_host_device_scalarIT0_EES1_PKS1_PKT1_SA_S7_PKT3_PKT4_S5_PT5_21rocsparse_index_base_b,comdat
.Lfunc_end512:
	.size	_ZN9rocsparseL20bsrxmvn_17_32_kernelILj17EdllfddEEvT2_20rocsparse_direction_NS_24const_host_device_scalarIT0_EES1_PKS1_PKT1_SA_S7_PKT3_PKT4_S5_PT5_21rocsparse_index_base_b, .Lfunc_end512-_ZN9rocsparseL20bsrxmvn_17_32_kernelILj17EdllfddEEvT2_20rocsparse_direction_NS_24const_host_device_scalarIT0_EES1_PKS1_PKT1_SA_S7_PKT3_PKT4_S5_PT5_21rocsparse_index_base_b
                                        ; -- End function
	.set _ZN9rocsparseL20bsrxmvn_17_32_kernelILj17EdllfddEEvT2_20rocsparse_direction_NS_24const_host_device_scalarIT0_EES1_PKS1_PKT1_SA_S7_PKT3_PKT4_S5_PT5_21rocsparse_index_base_b.num_vgpr, 19
	.set _ZN9rocsparseL20bsrxmvn_17_32_kernelILj17EdllfddEEvT2_20rocsparse_direction_NS_24const_host_device_scalarIT0_EES1_PKS1_PKT1_SA_S7_PKT3_PKT4_S5_PT5_21rocsparse_index_base_b.num_agpr, 0
	.set _ZN9rocsparseL20bsrxmvn_17_32_kernelILj17EdllfddEEvT2_20rocsparse_direction_NS_24const_host_device_scalarIT0_EES1_PKS1_PKT1_SA_S7_PKT3_PKT4_S5_PT5_21rocsparse_index_base_b.numbered_sgpr, 22
	.set _ZN9rocsparseL20bsrxmvn_17_32_kernelILj17EdllfddEEvT2_20rocsparse_direction_NS_24const_host_device_scalarIT0_EES1_PKS1_PKT1_SA_S7_PKT3_PKT4_S5_PT5_21rocsparse_index_base_b.num_named_barrier, 0
	.set _ZN9rocsparseL20bsrxmvn_17_32_kernelILj17EdllfddEEvT2_20rocsparse_direction_NS_24const_host_device_scalarIT0_EES1_PKS1_PKT1_SA_S7_PKT3_PKT4_S5_PT5_21rocsparse_index_base_b.private_seg_size, 0
	.set _ZN9rocsparseL20bsrxmvn_17_32_kernelILj17EdllfddEEvT2_20rocsparse_direction_NS_24const_host_device_scalarIT0_EES1_PKS1_PKT1_SA_S7_PKT3_PKT4_S5_PT5_21rocsparse_index_base_b.uses_vcc, 1
	.set _ZN9rocsparseL20bsrxmvn_17_32_kernelILj17EdllfddEEvT2_20rocsparse_direction_NS_24const_host_device_scalarIT0_EES1_PKS1_PKT1_SA_S7_PKT3_PKT4_S5_PT5_21rocsparse_index_base_b.uses_flat_scratch, 0
	.set _ZN9rocsparseL20bsrxmvn_17_32_kernelILj17EdllfddEEvT2_20rocsparse_direction_NS_24const_host_device_scalarIT0_EES1_PKS1_PKT1_SA_S7_PKT3_PKT4_S5_PT5_21rocsparse_index_base_b.has_dyn_sized_stack, 0
	.set _ZN9rocsparseL20bsrxmvn_17_32_kernelILj17EdllfddEEvT2_20rocsparse_direction_NS_24const_host_device_scalarIT0_EES1_PKS1_PKT1_SA_S7_PKT3_PKT4_S5_PT5_21rocsparse_index_base_b.has_recursion, 0
	.set _ZN9rocsparseL20bsrxmvn_17_32_kernelILj17EdllfddEEvT2_20rocsparse_direction_NS_24const_host_device_scalarIT0_EES1_PKS1_PKT1_SA_S7_PKT3_PKT4_S5_PT5_21rocsparse_index_base_b.has_indirect_call, 0
	.section	.AMDGPU.csdata,"",@progbits
; Kernel info:
; codeLenInByte = 1420
; TotalNumSgprs: 26
; NumVgprs: 19
; ScratchSize: 0
; MemoryBound: 0
; FloatMode: 240
; IeeeMode: 1
; LDSByteSize: 2312 bytes/workgroup (compile time only)
; SGPRBlocks: 3
; VGPRBlocks: 4
; NumSGPRsForWavesPerEU: 26
; NumVGPRsForWavesPerEU: 19
; Occupancy: 10
; WaveLimiterHint : 1
; COMPUTE_PGM_RSRC2:SCRATCH_EN: 0
; COMPUTE_PGM_RSRC2:USER_SGPR: 6
; COMPUTE_PGM_RSRC2:TRAP_HANDLER: 0
; COMPUTE_PGM_RSRC2:TGID_X_EN: 1
; COMPUTE_PGM_RSRC2:TGID_Y_EN: 0
; COMPUTE_PGM_RSRC2:TGID_Z_EN: 0
; COMPUTE_PGM_RSRC2:TIDIG_COMP_CNT: 0
	.section	.text._ZN9rocsparseL20bsrxmvn_17_32_kernelILj18EdllfddEEvT2_20rocsparse_direction_NS_24const_host_device_scalarIT0_EES1_PKS1_PKT1_SA_S7_PKT3_PKT4_S5_PT5_21rocsparse_index_base_b,"axG",@progbits,_ZN9rocsparseL20bsrxmvn_17_32_kernelILj18EdllfddEEvT2_20rocsparse_direction_NS_24const_host_device_scalarIT0_EES1_PKS1_PKT1_SA_S7_PKT3_PKT4_S5_PT5_21rocsparse_index_base_b,comdat
	.globl	_ZN9rocsparseL20bsrxmvn_17_32_kernelILj18EdllfddEEvT2_20rocsparse_direction_NS_24const_host_device_scalarIT0_EES1_PKS1_PKT1_SA_S7_PKT3_PKT4_S5_PT5_21rocsparse_index_base_b ; -- Begin function _ZN9rocsparseL20bsrxmvn_17_32_kernelILj18EdllfddEEvT2_20rocsparse_direction_NS_24const_host_device_scalarIT0_EES1_PKS1_PKT1_SA_S7_PKT3_PKT4_S5_PT5_21rocsparse_index_base_b
	.p2align	8
	.type	_ZN9rocsparseL20bsrxmvn_17_32_kernelILj18EdllfddEEvT2_20rocsparse_direction_NS_24const_host_device_scalarIT0_EES1_PKS1_PKT1_SA_S7_PKT3_PKT4_S5_PT5_21rocsparse_index_base_b,@function
_ZN9rocsparseL20bsrxmvn_17_32_kernelILj18EdllfddEEvT2_20rocsparse_direction_NS_24const_host_device_scalarIT0_EES1_PKS1_PKT1_SA_S7_PKT3_PKT4_S5_PT5_21rocsparse_index_base_b: ; @_ZN9rocsparseL20bsrxmvn_17_32_kernelILj18EdllfddEEvT2_20rocsparse_direction_NS_24const_host_device_scalarIT0_EES1_PKS1_PKT1_SA_S7_PKT3_PKT4_S5_PT5_21rocsparse_index_base_b
; %bb.0:
	s_load_dwordx2 s[14:15], s[4:5], 0x60
	s_load_dwordx2 s[8:9], s[4:5], 0x10
	s_load_dwordx2 s[0:1], s[4:5], 0x50
	s_waitcnt lgkmcnt(0)
	s_bitcmp1_b32 s15, 0
	s_cselect_b64 s[10:11], -1, 0
	v_mov_b32_e32 v3, s8
	s_xor_b64 s[2:3], s[10:11], -1
	s_and_b64 vcc, exec, s[10:11]
	v_mov_b32_e32 v4, s9
	s_cbranch_vccnz .LBB513_2
; %bb.1:
	v_mov_b32_e32 v1, s8
	v_mov_b32_e32 v2, s9
	flat_load_dwordx2 v[3:4], v[1:2]
.LBB513_2:
	v_mov_b32_e32 v2, s1
	s_andn2_b64 vcc, exec, s[2:3]
	v_mov_b32_e32 v1, s0
	s_cbranch_vccnz .LBB513_4
; %bb.3:
	v_mov_b32_e32 v2, s1
	v_mov_b32_e32 v1, s0
	flat_load_dwordx2 v[1:2], v[1:2]
.LBB513_4:
	s_waitcnt vmcnt(0) lgkmcnt(0)
	v_cmp_neq_f64_e32 vcc, 0, v[3:4]
	v_cmp_neq_f64_e64 s[0:1], 1.0, v[1:2]
	s_or_b64 s[0:1], vcc, s[0:1]
	s_and_saveexec_b64 s[2:3], s[0:1]
	s_cbranch_execz .LBB513_41
; %bb.5:
	s_load_dwordx4 s[0:3], s[4:5], 0x20
	s_load_dwordx2 s[8:9], s[4:5], 0x30
	s_mov_b32 s7, 0
	s_waitcnt lgkmcnt(0)
	s_cmp_eq_u64 s[0:1], 0
	s_cbranch_scc1 .LBB513_7
; %bb.6:
	s_lshl_b64 s[6:7], s[6:7], 3
	s_add_u32 s0, s0, s6
	s_addc_u32 s1, s1, s7
	s_load_dwordx2 s[0:1], s[0:1], 0x0
	s_waitcnt lgkmcnt(0)
	s_sub_u32 s6, s0, s14
	s_subb_u32 s7, s1, 0
.LBB513_7:
	s_load_dword s10, s[4:5], 0x8
	s_load_dwordx2 s[12:13], s[4:5], 0x58
	v_mul_u32_u24_e32 v7, 0xe39, v0
	v_mov_b32_e32 v8, 18
	v_mul_lo_u16_sdwa v5, v7, v8 dst_sel:DWORD dst_unused:UNUSED_PAD src0_sel:WORD_1 src1_sel:DWORD
	s_waitcnt lgkmcnt(0)
	s_cmp_eq_u32 s10, 1
	s_cselect_b64 s[0:1], -1, 0
	s_cmp_lg_u32 s10, 1
	s_cselect_b64 s[16:17], -1, 0
	s_lshl_b64 s[10:11], s[6:7], 3
	s_add_u32 s20, s2, s10
	s_addc_u32 s21, s3, s11
	s_add_u32 s2, s20, 8
	s_addc_u32 s3, s21, 0
	;; [unrolled: 2-line block ×3, first 2 shown]
	s_cmp_eq_u64 s[8:9], 0
	s_cselect_b32 s9, s3, s11
	s_cselect_b32 s8, s2, s10
	s_load_dwordx2 s[2:3], s[8:9], 0x0
	s_load_dwordx2 s[18:19], s[20:21], 0x0
	v_sub_u16_e32 v13, v0, v5
	s_waitcnt lgkmcnt(0)
	v_mov_b32_e32 v6, s3
	v_mov_b32_e32 v5, s2
	v_cmp_ge_i64_e32 vcc, s[18:19], v[5:6]
	v_mov_b32_e32 v5, 0
	v_mov_b32_e32 v6, 0
	s_cbranch_vccnz .LBB513_12
; %bb.8:
	v_mov_b32_e32 v5, 15
	v_mul_lo_u16_sdwa v5, v7, v5 dst_sel:DWORD dst_unused:UNUSED_PAD src0_sel:WORD_1 src1_sel:DWORD
	s_load_dwordx4 s[8:11], s[4:5], 0x38
	s_load_dwordx2 s[20:21], s[4:5], 0x48
	v_mul_lo_u16_sdwa v5, v5, v8 dst_sel:DWORD dst_unused:UNUSED_PAD src0_sel:BYTE_1 src1_sel:DWORD
	s_sub_u32 s2, s2, s14
	v_sub_u16_sdwa v5, v7, v5 dst_sel:DWORD dst_unused:UNUSED_PAD src0_sel:WORD_1 src1_sel:DWORD
	s_subb_u32 s3, s3, 0
	v_and_b32_e32 v5, 0xff, v5
	s_sub_u32 s4, s18, s14
	v_cndmask_b32_e64 v5, v13, v5, s[0:1]
	s_subb_u32 s5, s19, 0
	v_lshlrev_b32_e32 v5, 3, v5
	s_mul_i32 s0, s5, 0x510
	s_mul_hi_u32 s1, s4, 0x510
	s_waitcnt lgkmcnt(0)
	v_mov_b32_e32 v6, s21
	v_add_co_u32_e32 v7, vcc, s20, v5
	s_add_i32 s1, s1, s0
	s_mul_i32 s0, s4, 0x510
	v_addc_co_u32_e32 v8, vcc, 0, v6, vcc
	s_add_u32 s0, s10, s0
	v_lshlrev_b32_e32 v5, 2, v0
	s_addc_u32 s1, s11, s1
	v_add_co_u32_e32 v9, vcc, s0, v5
	s_movk_i32 s0, 0x195
	v_mov_b32_e32 v6, s1
	v_mul_u32_u24_sdwa v5, v0, s0 dst_sel:DWORD dst_unused:UNUSED_PAD src0_sel:WORD_0 src1_sel:DWORD
	v_addc_co_u32_e32 v10, vcc, 0, v6, vcc
	v_lshrrev_b32_e32 v14, 17, v5
	v_mov_b32_e32 v5, s19
	v_add_co_u32_e32 v6, vcc, s18, v14
	v_addc_co_u32_e32 v11, vcc, 0, v5, vcc
	v_subrev_co_u32_e32 v5, vcc, s14, v6
	v_subbrev_co_u32_e32 v6, vcc, 0, v11, vcc
	v_lshlrev_b64 v[5:6], 3, v[5:6]
	v_mov_b32_e32 v12, s9
	v_add_co_u32_e32 v11, vcc, s8, v5
	v_addc_co_u32_e32 v12, vcc, v12, v6, vcc
	v_mov_b32_e32 v5, 0
	v_mov_b32_e32 v6, 0
	s_movk_i32 s8, 0x90
	s_branch .LBB513_10
.LBB513_9:                              ;   in Loop: Header=BB513_10 Depth=1
	s_or_b64 exec, exec, s[0:1]
	s_add_u32 s4, s4, 1
	v_mov_b32_e32 v16, s3
	s_addc_u32 s5, s5, 0
	v_mov_b32_e32 v15, s2
	v_cmp_lt_i64_e32 vcc, s[4:5], v[15:16]
	v_add_co_u32_e64 v11, s[0:1], 8, v11
	v_addc_co_u32_e64 v12, s[0:1], 0, v12, s[0:1]
	s_cbranch_vccz .LBB513_12
.LBB513_10:                             ; =>This Inner Loop Header: Depth=1
	v_mov_b32_e32 v16, s5
	v_add_co_u32_e32 v15, vcc, s4, v14
	v_addc_co_u32_e32 v16, vcc, 0, v16, vcc
	v_cmp_gt_i64_e32 vcc, s[2:3], v[15:16]
	s_and_saveexec_b64 s[0:1], vcc
	s_cbranch_execz .LBB513_9
; %bb.11:                               ;   in Loop: Header=BB513_10 Depth=1
	global_load_dwordx2 v[15:16], v[11:12], off
	s_waitcnt vmcnt(0)
	v_subrev_co_u32_e32 v15, vcc, s14, v15
	v_subbrev_co_u32_e32 v17, vcc, 0, v16, vcc
	v_mad_u64_u32 v[15:16], s[10:11], v15, s8, v[7:8]
	v_mad_u64_u32 v[16:17], s[10:11], v17, s8, v[16:17]
	global_load_dword v17, v[9:10], off
	s_nop 0
	global_load_dwordx2 v[15:16], v[15:16], off
	v_add_co_u32_e32 v9, vcc, 0x510, v9
	v_addc_co_u32_e32 v10, vcc, 0, v10, vcc
	s_waitcnt vmcnt(1)
	v_cvt_f64_f32_e32 v[17:18], v17
	s_waitcnt vmcnt(0)
	v_fma_f64 v[5:6], v[17:18], v[15:16], v[5:6]
	s_branch .LBB513_9
.LBB513_12:
	v_lshlrev_b32_e32 v9, 3, v0
	s_and_b64 vcc, exec, s[16:17]
	ds_write_b64 v9, v[5:6]
	s_waitcnt lgkmcnt(0)
	s_barrier
	s_cbranch_vccz .LBB513_24
; %bb.13:
	v_cmp_gt_u16_e32 vcc, 2, v13
	s_and_saveexec_b64 s[0:1], vcc
	s_cbranch_execz .LBB513_15
; %bb.14:
	ds_read2_b64 v[14:17], v9 offset1:16
	s_waitcnt lgkmcnt(0)
	v_add_f64 v[7:8], v[16:17], v[14:15]
	ds_write_b64 v9, v[7:8]
.LBB513_15:
	s_or_b64 exec, exec, s[0:1]
	v_cmp_gt_u16_e64 s[0:1], 8, v13
	s_waitcnt lgkmcnt(0)
	s_barrier
	s_and_saveexec_b64 s[2:3], s[0:1]
	s_cbranch_execz .LBB513_17
; %bb.16:
	ds_read2_b64 v[14:17], v9 offset1:8
	s_waitcnt lgkmcnt(0)
	v_add_f64 v[7:8], v[16:17], v[14:15]
	ds_write_b64 v9, v[7:8]
.LBB513_17:
	s_or_b64 exec, exec, s[2:3]
	v_cmp_gt_u16_e64 s[0:1], 4, v13
	s_waitcnt lgkmcnt(0)
	s_barrier
	s_and_saveexec_b64 s[2:3], s[0:1]
	s_cbranch_execz .LBB513_19
; %bb.18:
	ds_read2_b64 v[10:13], v9 offset1:4
	s_waitcnt lgkmcnt(0)
	v_add_f64 v[7:8], v[12:13], v[10:11]
	ds_write_b64 v9, v[7:8]
.LBB513_19:
	s_or_b64 exec, exec, s[2:3]
	s_waitcnt lgkmcnt(0)
	s_barrier
	s_and_saveexec_b64 s[0:1], vcc
	s_cbranch_execz .LBB513_21
; %bb.20:
	ds_read2_b64 v[10:13], v9 offset1:2
	s_waitcnt lgkmcnt(0)
	v_add_f64 v[7:8], v[12:13], v[10:11]
	ds_write_b64 v9, v[7:8]
.LBB513_21:
	s_or_b64 exec, exec, s[0:1]
	v_mov_b32_e32 v8, v6
	v_cmp_gt_u32_e32 vcc, 18, v0
	v_mov_b32_e32 v7, v5
	s_waitcnt lgkmcnt(0)
	s_barrier
	s_and_saveexec_b64 s[0:1], vcc
	s_cbranch_execz .LBB513_23
; %bb.22:
	s_movk_i32 s2, 0x88
	v_mad_u32_u24 v7, v0, s2, v9
	ds_read_b128 v[10:13], v7
	s_waitcnt lgkmcnt(0)
	v_add_f64 v[7:8], v[10:11], v[12:13]
.LBB513_23:
	s_or_b64 exec, exec, s[0:1]
	s_branch .LBB513_36
.LBB513_24:
                                        ; implicit-def: $vgpr7_vgpr8
	s_cbranch_execz .LBB513_36
; %bb.25:
	v_cmp_gt_u32_e32 vcc, 36, v0
	s_and_saveexec_b64 s[0:1], vcc
	s_cbranch_execz .LBB513_27
; %bb.26:
	ds_read_b64 v[7:8], v9 offset:2304
	ds_read_b64 v[10:11], v9
	s_waitcnt lgkmcnt(0)
	v_add_f64 v[7:8], v[7:8], v[10:11]
	ds_write_b64 v9, v[7:8]
.LBB513_27:
	s_or_b64 exec, exec, s[0:1]
	s_movk_i32 s0, 0x90
	v_cmp_gt_u32_e64 s[0:1], s0, v0
	s_waitcnt lgkmcnt(0)
	s_barrier
	s_and_saveexec_b64 s[2:3], s[0:1]
	s_cbranch_execz .LBB513_29
; %bb.28:
	ds_read2_b64 v[10:13], v9 offset1:144
	s_waitcnt lgkmcnt(0)
	v_add_f64 v[7:8], v[12:13], v[10:11]
	ds_write_b64 v9, v[7:8]
.LBB513_29:
	s_or_b64 exec, exec, s[2:3]
	s_movk_i32 s0, 0x48
	v_cmp_gt_u32_e64 s[0:1], s0, v0
	s_waitcnt lgkmcnt(0)
	s_barrier
	s_and_saveexec_b64 s[2:3], s[0:1]
	s_cbranch_execz .LBB513_31
; %bb.30:
	ds_read2_b64 v[10:13], v9 offset1:72
	s_waitcnt lgkmcnt(0)
	v_add_f64 v[7:8], v[12:13], v[10:11]
	ds_write_b64 v9, v[7:8]
.LBB513_31:
	s_or_b64 exec, exec, s[2:3]
	s_waitcnt lgkmcnt(0)
	s_barrier
	s_and_saveexec_b64 s[0:1], vcc
	s_cbranch_execz .LBB513_33
; %bb.32:
	ds_read2_b64 v[10:13], v9 offset1:36
	s_waitcnt lgkmcnt(0)
	v_add_f64 v[7:8], v[12:13], v[10:11]
	ds_write_b64 v9, v[7:8]
.LBB513_33:
	s_or_b64 exec, exec, s[0:1]
	v_cmp_gt_u32_e32 vcc, 18, v0
	s_waitcnt lgkmcnt(0)
	s_and_saveexec_b64 s[0:1], vcc
	s_cbranch_execz .LBB513_35
; %bb.34:
	ds_read2_b64 v[5:8], v9 offset1:18
	s_waitcnt lgkmcnt(0)
	v_add_f64 v[5:6], v[5:6], v[7:8]
.LBB513_35:
	s_or_b64 exec, exec, s[0:1]
	v_mov_b32_e32 v8, v6
	v_mov_b32_e32 v7, v5
.LBB513_36:
	v_cmp_gt_u32_e32 vcc, 18, v0
	s_and_b64 exec, exec, vcc
	s_cbranch_execz .LBB513_41
; %bb.37:
	v_cmp_eq_f64_e32 vcc, 0, v[1:2]
	v_mul_f64 v[3:4], v[3:4], v[7:8]
	s_mul_i32 s2, s7, 0x90
	s_mul_hi_u32 s3, s6, 0x90
	s_mul_i32 s4, s6, 0x90
	s_and_saveexec_b64 s[0:1], vcc
	s_xor_b64 s[0:1], exec, s[0:1]
	s_cbranch_execz .LBB513_39
; %bb.38:
	s_add_i32 s5, s3, s2
	s_add_u32 s6, s12, s4
	s_addc_u32 s7, s13, s5
	global_store_dwordx2 v9, v[3:4], s[6:7]
                                        ; implicit-def: $vgpr9
                                        ; implicit-def: $vgpr1_vgpr2
                                        ; implicit-def: $vgpr3_vgpr4
.LBB513_39:
	s_andn2_saveexec_b64 s[0:1], s[0:1]
	s_cbranch_execz .LBB513_41
; %bb.40:
	s_add_i32 s3, s3, s2
	s_add_u32 s0, s12, s4
	s_addc_u32 s1, s13, s3
	global_load_dwordx2 v[5:6], v9, s[0:1]
	s_waitcnt vmcnt(0)
	v_fma_f64 v[0:1], v[1:2], v[5:6], v[3:4]
	global_store_dwordx2 v9, v[0:1], s[0:1]
.LBB513_41:
	s_endpgm
	.section	.rodata,"a",@progbits
	.p2align	6, 0x0
	.amdhsa_kernel _ZN9rocsparseL20bsrxmvn_17_32_kernelILj18EdllfddEEvT2_20rocsparse_direction_NS_24const_host_device_scalarIT0_EES1_PKS1_PKT1_SA_S7_PKT3_PKT4_S5_PT5_21rocsparse_index_base_b
		.amdhsa_group_segment_fixed_size 2592
		.amdhsa_private_segment_fixed_size 0
		.amdhsa_kernarg_size 104
		.amdhsa_user_sgpr_count 6
		.amdhsa_user_sgpr_private_segment_buffer 1
		.amdhsa_user_sgpr_dispatch_ptr 0
		.amdhsa_user_sgpr_queue_ptr 0
		.amdhsa_user_sgpr_kernarg_segment_ptr 1
		.amdhsa_user_sgpr_dispatch_id 0
		.amdhsa_user_sgpr_flat_scratch_init 0
		.amdhsa_user_sgpr_private_segment_size 0
		.amdhsa_uses_dynamic_stack 0
		.amdhsa_system_sgpr_private_segment_wavefront_offset 0
		.amdhsa_system_sgpr_workgroup_id_x 1
		.amdhsa_system_sgpr_workgroup_id_y 0
		.amdhsa_system_sgpr_workgroup_id_z 0
		.amdhsa_system_sgpr_workgroup_info 0
		.amdhsa_system_vgpr_workitem_id 0
		.amdhsa_next_free_vgpr 25
		.amdhsa_next_free_sgpr 61
		.amdhsa_reserve_vcc 1
		.amdhsa_reserve_flat_scratch 0
		.amdhsa_float_round_mode_32 0
		.amdhsa_float_round_mode_16_64 0
		.amdhsa_float_denorm_mode_32 3
		.amdhsa_float_denorm_mode_16_64 3
		.amdhsa_dx10_clamp 1
		.amdhsa_ieee_mode 1
		.amdhsa_fp16_overflow 0
		.amdhsa_exception_fp_ieee_invalid_op 0
		.amdhsa_exception_fp_denorm_src 0
		.amdhsa_exception_fp_ieee_div_zero 0
		.amdhsa_exception_fp_ieee_overflow 0
		.amdhsa_exception_fp_ieee_underflow 0
		.amdhsa_exception_fp_ieee_inexact 0
		.amdhsa_exception_int_div_zero 0
	.end_amdhsa_kernel
	.section	.text._ZN9rocsparseL20bsrxmvn_17_32_kernelILj18EdllfddEEvT2_20rocsparse_direction_NS_24const_host_device_scalarIT0_EES1_PKS1_PKT1_SA_S7_PKT3_PKT4_S5_PT5_21rocsparse_index_base_b,"axG",@progbits,_ZN9rocsparseL20bsrxmvn_17_32_kernelILj18EdllfddEEvT2_20rocsparse_direction_NS_24const_host_device_scalarIT0_EES1_PKS1_PKT1_SA_S7_PKT3_PKT4_S5_PT5_21rocsparse_index_base_b,comdat
.Lfunc_end513:
	.size	_ZN9rocsparseL20bsrxmvn_17_32_kernelILj18EdllfddEEvT2_20rocsparse_direction_NS_24const_host_device_scalarIT0_EES1_PKS1_PKT1_SA_S7_PKT3_PKT4_S5_PT5_21rocsparse_index_base_b, .Lfunc_end513-_ZN9rocsparseL20bsrxmvn_17_32_kernelILj18EdllfddEEvT2_20rocsparse_direction_NS_24const_host_device_scalarIT0_EES1_PKS1_PKT1_SA_S7_PKT3_PKT4_S5_PT5_21rocsparse_index_base_b
                                        ; -- End function
	.set _ZN9rocsparseL20bsrxmvn_17_32_kernelILj18EdllfddEEvT2_20rocsparse_direction_NS_24const_host_device_scalarIT0_EES1_PKS1_PKT1_SA_S7_PKT3_PKT4_S5_PT5_21rocsparse_index_base_b.num_vgpr, 19
	.set _ZN9rocsparseL20bsrxmvn_17_32_kernelILj18EdllfddEEvT2_20rocsparse_direction_NS_24const_host_device_scalarIT0_EES1_PKS1_PKT1_SA_S7_PKT3_PKT4_S5_PT5_21rocsparse_index_base_b.num_agpr, 0
	.set _ZN9rocsparseL20bsrxmvn_17_32_kernelILj18EdllfddEEvT2_20rocsparse_direction_NS_24const_host_device_scalarIT0_EES1_PKS1_PKT1_SA_S7_PKT3_PKT4_S5_PT5_21rocsparse_index_base_b.numbered_sgpr, 22
	.set _ZN9rocsparseL20bsrxmvn_17_32_kernelILj18EdllfddEEvT2_20rocsparse_direction_NS_24const_host_device_scalarIT0_EES1_PKS1_PKT1_SA_S7_PKT3_PKT4_S5_PT5_21rocsparse_index_base_b.num_named_barrier, 0
	.set _ZN9rocsparseL20bsrxmvn_17_32_kernelILj18EdllfddEEvT2_20rocsparse_direction_NS_24const_host_device_scalarIT0_EES1_PKS1_PKT1_SA_S7_PKT3_PKT4_S5_PT5_21rocsparse_index_base_b.private_seg_size, 0
	.set _ZN9rocsparseL20bsrxmvn_17_32_kernelILj18EdllfddEEvT2_20rocsparse_direction_NS_24const_host_device_scalarIT0_EES1_PKS1_PKT1_SA_S7_PKT3_PKT4_S5_PT5_21rocsparse_index_base_b.uses_vcc, 1
	.set _ZN9rocsparseL20bsrxmvn_17_32_kernelILj18EdllfddEEvT2_20rocsparse_direction_NS_24const_host_device_scalarIT0_EES1_PKS1_PKT1_SA_S7_PKT3_PKT4_S5_PT5_21rocsparse_index_base_b.uses_flat_scratch, 0
	.set _ZN9rocsparseL20bsrxmvn_17_32_kernelILj18EdllfddEEvT2_20rocsparse_direction_NS_24const_host_device_scalarIT0_EES1_PKS1_PKT1_SA_S7_PKT3_PKT4_S5_PT5_21rocsparse_index_base_b.has_dyn_sized_stack, 0
	.set _ZN9rocsparseL20bsrxmvn_17_32_kernelILj18EdllfddEEvT2_20rocsparse_direction_NS_24const_host_device_scalarIT0_EES1_PKS1_PKT1_SA_S7_PKT3_PKT4_S5_PT5_21rocsparse_index_base_b.has_recursion, 0
	.set _ZN9rocsparseL20bsrxmvn_17_32_kernelILj18EdllfddEEvT2_20rocsparse_direction_NS_24const_host_device_scalarIT0_EES1_PKS1_PKT1_SA_S7_PKT3_PKT4_S5_PT5_21rocsparse_index_base_b.has_indirect_call, 0
	.section	.AMDGPU.csdata,"",@progbits
; Kernel info:
; codeLenInByte = 1424
; TotalNumSgprs: 26
; NumVgprs: 19
; ScratchSize: 0
; MemoryBound: 0
; FloatMode: 240
; IeeeMode: 1
; LDSByteSize: 2592 bytes/workgroup (compile time only)
; SGPRBlocks: 8
; VGPRBlocks: 6
; NumSGPRsForWavesPerEU: 65
; NumVGPRsForWavesPerEU: 25
; Occupancy: 9
; WaveLimiterHint : 1
; COMPUTE_PGM_RSRC2:SCRATCH_EN: 0
; COMPUTE_PGM_RSRC2:USER_SGPR: 6
; COMPUTE_PGM_RSRC2:TRAP_HANDLER: 0
; COMPUTE_PGM_RSRC2:TGID_X_EN: 1
; COMPUTE_PGM_RSRC2:TGID_Y_EN: 0
; COMPUTE_PGM_RSRC2:TGID_Z_EN: 0
; COMPUTE_PGM_RSRC2:TIDIG_COMP_CNT: 0
	.section	.text._ZN9rocsparseL20bsrxmvn_17_32_kernelILj19EdllfddEEvT2_20rocsparse_direction_NS_24const_host_device_scalarIT0_EES1_PKS1_PKT1_SA_S7_PKT3_PKT4_S5_PT5_21rocsparse_index_base_b,"axG",@progbits,_ZN9rocsparseL20bsrxmvn_17_32_kernelILj19EdllfddEEvT2_20rocsparse_direction_NS_24const_host_device_scalarIT0_EES1_PKS1_PKT1_SA_S7_PKT3_PKT4_S5_PT5_21rocsparse_index_base_b,comdat
	.globl	_ZN9rocsparseL20bsrxmvn_17_32_kernelILj19EdllfddEEvT2_20rocsparse_direction_NS_24const_host_device_scalarIT0_EES1_PKS1_PKT1_SA_S7_PKT3_PKT4_S5_PT5_21rocsparse_index_base_b ; -- Begin function _ZN9rocsparseL20bsrxmvn_17_32_kernelILj19EdllfddEEvT2_20rocsparse_direction_NS_24const_host_device_scalarIT0_EES1_PKS1_PKT1_SA_S7_PKT3_PKT4_S5_PT5_21rocsparse_index_base_b
	.p2align	8
	.type	_ZN9rocsparseL20bsrxmvn_17_32_kernelILj19EdllfddEEvT2_20rocsparse_direction_NS_24const_host_device_scalarIT0_EES1_PKS1_PKT1_SA_S7_PKT3_PKT4_S5_PT5_21rocsparse_index_base_b,@function
_ZN9rocsparseL20bsrxmvn_17_32_kernelILj19EdllfddEEvT2_20rocsparse_direction_NS_24const_host_device_scalarIT0_EES1_PKS1_PKT1_SA_S7_PKT3_PKT4_S5_PT5_21rocsparse_index_base_b: ; @_ZN9rocsparseL20bsrxmvn_17_32_kernelILj19EdllfddEEvT2_20rocsparse_direction_NS_24const_host_device_scalarIT0_EES1_PKS1_PKT1_SA_S7_PKT3_PKT4_S5_PT5_21rocsparse_index_base_b
; %bb.0:
	s_load_dwordx2 s[14:15], s[4:5], 0x60
	s_load_dwordx2 s[8:9], s[4:5], 0x10
	;; [unrolled: 1-line block ×3, first 2 shown]
	s_waitcnt lgkmcnt(0)
	s_bitcmp1_b32 s15, 0
	s_cselect_b64 s[10:11], -1, 0
	v_mov_b32_e32 v3, s8
	s_xor_b64 s[2:3], s[10:11], -1
	s_and_b64 vcc, exec, s[10:11]
	v_mov_b32_e32 v4, s9
	s_cbranch_vccnz .LBB514_2
; %bb.1:
	v_mov_b32_e32 v1, s8
	v_mov_b32_e32 v2, s9
	flat_load_dwordx2 v[3:4], v[1:2]
.LBB514_2:
	v_mov_b32_e32 v2, s1
	s_andn2_b64 vcc, exec, s[2:3]
	v_mov_b32_e32 v1, s0
	s_cbranch_vccnz .LBB514_4
; %bb.3:
	v_mov_b32_e32 v2, s1
	v_mov_b32_e32 v1, s0
	flat_load_dwordx2 v[1:2], v[1:2]
.LBB514_4:
	s_waitcnt vmcnt(0) lgkmcnt(0)
	v_cmp_neq_f64_e32 vcc, 0, v[3:4]
	v_cmp_neq_f64_e64 s[0:1], 1.0, v[1:2]
	s_or_b64 s[0:1], vcc, s[0:1]
	s_and_saveexec_b64 s[2:3], s[0:1]
	s_cbranch_execz .LBB514_41
; %bb.5:
	s_load_dwordx4 s[0:3], s[4:5], 0x20
	s_load_dwordx2 s[8:9], s[4:5], 0x30
	s_mov_b32 s7, 0
	s_waitcnt lgkmcnt(0)
	s_cmp_eq_u64 s[0:1], 0
	s_cbranch_scc1 .LBB514_7
; %bb.6:
	s_lshl_b64 s[6:7], s[6:7], 3
	s_add_u32 s0, s0, s6
	s_addc_u32 s1, s1, s7
	s_load_dwordx2 s[0:1], s[0:1], 0x0
	s_waitcnt lgkmcnt(0)
	s_sub_u32 s6, s0, s14
	s_subb_u32 s7, s1, 0
.LBB514_7:
	s_load_dword s10, s[4:5], 0x8
	s_load_dwordx2 s[12:13], s[4:5], 0x58
	v_mul_u32_u24_e32 v7, 0xd7a, v0
	v_mov_b32_e32 v8, 19
	v_mul_lo_u16_sdwa v5, v7, v8 dst_sel:DWORD dst_unused:UNUSED_PAD src0_sel:WORD_1 src1_sel:DWORD
	s_waitcnt lgkmcnt(0)
	s_cmp_eq_u32 s10, 1
	s_cselect_b64 s[0:1], -1, 0
	s_cmp_lg_u32 s10, 1
	s_cselect_b64 s[16:17], -1, 0
	s_lshl_b64 s[10:11], s[6:7], 3
	s_add_u32 s20, s2, s10
	s_addc_u32 s21, s3, s11
	s_add_u32 s2, s20, 8
	s_addc_u32 s3, s21, 0
	s_add_u32 s10, s8, s10
	s_addc_u32 s11, s9, s11
	s_cmp_eq_u64 s[8:9], 0
	s_cselect_b32 s9, s3, s11
	s_cselect_b32 s8, s2, s10
	s_load_dwordx2 s[2:3], s[8:9], 0x0
	s_load_dwordx2 s[18:19], s[20:21], 0x0
	v_sub_u16_e32 v15, v0, v5
	s_waitcnt lgkmcnt(0)
	v_mov_b32_e32 v6, s3
	v_mov_b32_e32 v5, s2
	v_cmp_ge_i64_e32 vcc, s[18:19], v[5:6]
	v_mov_b32_e32 v5, 0
	v_mov_b32_e32 v6, 0
	s_cbranch_vccnz .LBB514_12
; %bb.8:
	v_mov_b32_e32 v5, 14
	v_mul_lo_u16_sdwa v5, v7, v5 dst_sel:DWORD dst_unused:UNUSED_PAD src0_sel:WORD_1 src1_sel:DWORD
	s_load_dwordx4 s[8:11], s[4:5], 0x38
	s_load_dwordx2 s[20:21], s[4:5], 0x48
	v_mul_lo_u16_sdwa v5, v5, v8 dst_sel:DWORD dst_unused:UNUSED_PAD src0_sel:BYTE_1 src1_sel:DWORD
	s_sub_u32 s2, s2, s14
	v_sub_u16_sdwa v5, v7, v5 dst_sel:DWORD dst_unused:UNUSED_PAD src0_sel:WORD_1 src1_sel:DWORD
	s_subb_u32 s3, s3, 0
	v_and_b32_e32 v5, 0xff, v5
	s_sub_u32 s4, s18, s14
	v_cndmask_b32_e64 v5, v15, v5, s[0:1]
	s_subb_u32 s5, s19, 0
	v_lshlrev_b32_e32 v5, 3, v5
	s_mul_i32 s0, s5, 0x5a4
	s_mul_hi_u32 s1, s4, 0x5a4
	s_waitcnt lgkmcnt(0)
	v_mov_b32_e32 v6, s21
	v_add_co_u32_e32 v7, vcc, s20, v5
	s_add_i32 s1, s1, s0
	s_mul_i32 s0, s4, 0x5a4
	v_addc_co_u32_e32 v8, vcc, 0, v6, vcc
	s_add_u32 s0, s10, s0
	v_lshlrev_b32_e32 v5, 2, v0
	s_addc_u32 s1, s11, s1
	v_add_co_u32_e32 v9, vcc, s0, v5
	s_movk_i32 s0, 0xb6
	v_mov_b32_e32 v6, s1
	v_mul_u32_u24_sdwa v5, v0, s0 dst_sel:DWORD dst_unused:UNUSED_PAD src0_sel:WORD_0 src1_sel:DWORD
	v_addc_co_u32_e32 v10, vcc, 0, v6, vcc
	v_lshrrev_b32_e32 v16, 16, v5
	v_mov_b32_e32 v5, s19
	v_add_co_u32_e32 v6, vcc, s18, v16
	v_addc_co_u32_e32 v11, vcc, 0, v5, vcc
	v_subrev_co_u32_e32 v5, vcc, s14, v6
	v_subbrev_co_u32_e32 v6, vcc, 0, v11, vcc
	v_lshlrev_b64 v[5:6], 3, v[5:6]
	v_mov_b32_e32 v12, s9
	v_add_co_u32_e32 v11, vcc, s8, v5
	v_addc_co_u32_e32 v12, vcc, v12, v6, vcc
	v_mov_b32_e32 v5, 0
	v_mov_b32_e32 v14, s3
	;; [unrolled: 1-line block ×3, first 2 shown]
	s_movk_i32 s8, 0x98
	v_mov_b32_e32 v13, s2
	s_branch .LBB514_10
.LBB514_9:                              ;   in Loop: Header=BB514_10 Depth=1
	s_or_b64 exec, exec, s[0:1]
	s_add_u32 s4, s4, 1
	s_addc_u32 s5, s5, 0
	v_cmp_lt_i64_e32 vcc, s[4:5], v[13:14]
	v_add_co_u32_e64 v11, s[0:1], 8, v11
	v_addc_co_u32_e64 v12, s[0:1], 0, v12, s[0:1]
	s_cbranch_vccz .LBB514_12
.LBB514_10:                             ; =>This Inner Loop Header: Depth=1
	v_mov_b32_e32 v18, s5
	v_add_co_u32_e32 v17, vcc, s4, v16
	v_addc_co_u32_e32 v18, vcc, 0, v18, vcc
	v_cmp_gt_i64_e32 vcc, s[2:3], v[17:18]
	s_and_saveexec_b64 s[0:1], vcc
	s_cbranch_execz .LBB514_9
; %bb.11:                               ;   in Loop: Header=BB514_10 Depth=1
	global_load_dwordx2 v[17:18], v[11:12], off
	s_waitcnt vmcnt(0)
	v_subrev_co_u32_e32 v17, vcc, s14, v17
	v_subbrev_co_u32_e32 v19, vcc, 0, v18, vcc
	v_mad_u64_u32 v[17:18], s[10:11], v17, s8, v[7:8]
	v_mad_u64_u32 v[18:19], s[10:11], v19, s8, v[18:19]
	global_load_dword v19, v[9:10], off
	s_nop 0
	global_load_dwordx2 v[17:18], v[17:18], off
	v_add_co_u32_e32 v9, vcc, 0x5a4, v9
	v_addc_co_u32_e32 v10, vcc, 0, v10, vcc
	s_waitcnt vmcnt(1)
	v_cvt_f64_f32_e32 v[19:20], v19
	s_waitcnt vmcnt(0)
	v_fma_f64 v[5:6], v[19:20], v[17:18], v[5:6]
	s_branch .LBB514_9
.LBB514_12:
	v_lshlrev_b32_e32 v9, 3, v0
	s_and_b64 vcc, exec, s[16:17]
	ds_write_b64 v9, v[5:6]
	s_waitcnt lgkmcnt(0)
	s_barrier
	s_cbranch_vccz .LBB514_24
; %bb.13:
	v_cmp_gt_u16_e32 vcc, 3, v15
	s_and_saveexec_b64 s[0:1], vcc
	s_cbranch_execz .LBB514_15
; %bb.14:
	ds_read2_b64 v[10:13], v9 offset1:16
	s_waitcnt lgkmcnt(0)
	v_add_f64 v[7:8], v[12:13], v[10:11]
	ds_write_b64 v9, v[7:8]
.LBB514_15:
	s_or_b64 exec, exec, s[0:1]
	v_cmp_gt_u16_e32 vcc, 8, v15
	s_waitcnt lgkmcnt(0)
	s_barrier
	s_and_saveexec_b64 s[0:1], vcc
	s_cbranch_execz .LBB514_17
; %bb.16:
	ds_read2_b64 v[10:13], v9 offset1:8
	s_waitcnt lgkmcnt(0)
	v_add_f64 v[7:8], v[12:13], v[10:11]
	ds_write_b64 v9, v[7:8]
.LBB514_17:
	s_or_b64 exec, exec, s[0:1]
	v_cmp_gt_u16_e32 vcc, 4, v15
	s_waitcnt lgkmcnt(0)
	s_barrier
	;; [unrolled: 12-line block ×3, first 2 shown]
	s_and_saveexec_b64 s[0:1], vcc
	s_cbranch_execz .LBB514_21
; %bb.20:
	ds_read2_b64 v[10:13], v9 offset1:2
	s_waitcnt lgkmcnt(0)
	v_add_f64 v[7:8], v[12:13], v[10:11]
	ds_write_b64 v9, v[7:8]
.LBB514_21:
	s_or_b64 exec, exec, s[0:1]
	v_mov_b32_e32 v8, v6
	v_cmp_gt_u32_e32 vcc, 19, v0
	v_mov_b32_e32 v7, v5
	s_waitcnt lgkmcnt(0)
	s_barrier
	s_and_saveexec_b64 s[0:1], vcc
	s_cbranch_execz .LBB514_23
; %bb.22:
	s_movk_i32 s2, 0x90
	v_mad_u32_u24 v7, v0, s2, v9
	ds_read2_b64 v[10:13], v7 offset1:1
	s_waitcnt lgkmcnt(0)
	v_add_f64 v[7:8], v[10:11], v[12:13]
.LBB514_23:
	s_or_b64 exec, exec, s[0:1]
	s_branch .LBB514_36
.LBB514_24:
                                        ; implicit-def: $vgpr7_vgpr8
	s_cbranch_execz .LBB514_36
; %bb.25:
	v_cmp_gt_u32_e32 vcc, 57, v0
	s_and_saveexec_b64 s[0:1], vcc
	s_cbranch_execz .LBB514_27
; %bb.26:
	ds_read_b64 v[7:8], v9 offset:2432
	ds_read_b64 v[10:11], v9
	s_waitcnt lgkmcnt(0)
	v_add_f64 v[7:8], v[7:8], v[10:11]
	ds_write_b64 v9, v[7:8]
.LBB514_27:
	s_or_b64 exec, exec, s[0:1]
	s_movk_i32 s0, 0x98
	v_cmp_gt_u32_e32 vcc, s0, v0
	s_waitcnt lgkmcnt(0)
	s_barrier
	s_and_saveexec_b64 s[0:1], vcc
	s_cbranch_execz .LBB514_29
; %bb.28:
	ds_read2_b64 v[10:13], v9 offset1:152
	s_waitcnt lgkmcnt(0)
	v_add_f64 v[7:8], v[12:13], v[10:11]
	ds_write_b64 v9, v[7:8]
.LBB514_29:
	s_or_b64 exec, exec, s[0:1]
	s_movk_i32 s0, 0x4c
	v_cmp_gt_u32_e32 vcc, s0, v0
	s_waitcnt lgkmcnt(0)
	s_barrier
	s_and_saveexec_b64 s[0:1], vcc
	s_cbranch_execz .LBB514_31
; %bb.30:
	ds_read2_b64 v[10:13], v9 offset1:76
	s_waitcnt lgkmcnt(0)
	v_add_f64 v[7:8], v[12:13], v[10:11]
	ds_write_b64 v9, v[7:8]
.LBB514_31:
	s_or_b64 exec, exec, s[0:1]
	v_cmp_gt_u32_e32 vcc, 38, v0
	s_waitcnt lgkmcnt(0)
	s_barrier
	s_and_saveexec_b64 s[0:1], vcc
	s_cbranch_execz .LBB514_33
; %bb.32:
	ds_read2_b64 v[10:13], v9 offset1:38
	s_waitcnt lgkmcnt(0)
	v_add_f64 v[7:8], v[12:13], v[10:11]
	ds_write_b64 v9, v[7:8]
.LBB514_33:
	s_or_b64 exec, exec, s[0:1]
	v_cmp_gt_u32_e32 vcc, 19, v0
	s_waitcnt lgkmcnt(0)
	s_and_saveexec_b64 s[0:1], vcc
	s_cbranch_execz .LBB514_35
; %bb.34:
	ds_read2_b64 v[5:8], v9 offset1:19
	s_waitcnt lgkmcnt(0)
	v_add_f64 v[5:6], v[5:6], v[7:8]
.LBB514_35:
	s_or_b64 exec, exec, s[0:1]
	v_mov_b32_e32 v8, v6
	v_mov_b32_e32 v7, v5
.LBB514_36:
	v_cmp_gt_u32_e32 vcc, 19, v0
	s_and_b64 exec, exec, vcc
	s_cbranch_execz .LBB514_41
; %bb.37:
	v_cmp_eq_f64_e32 vcc, 0, v[1:2]
	v_mul_f64 v[3:4], v[3:4], v[7:8]
	s_mul_i32 s2, s7, 0x98
	s_mul_hi_u32 s3, s6, 0x98
	s_mul_i32 s4, s6, 0x98
	s_and_saveexec_b64 s[0:1], vcc
	s_xor_b64 s[0:1], exec, s[0:1]
	s_cbranch_execz .LBB514_39
; %bb.38:
	s_add_i32 s5, s3, s2
	s_add_u32 s6, s12, s4
	s_addc_u32 s7, s13, s5
	global_store_dwordx2 v9, v[3:4], s[6:7]
                                        ; implicit-def: $vgpr9
                                        ; implicit-def: $vgpr1_vgpr2
                                        ; implicit-def: $vgpr3_vgpr4
.LBB514_39:
	s_andn2_saveexec_b64 s[0:1], s[0:1]
	s_cbranch_execz .LBB514_41
; %bb.40:
	s_add_i32 s3, s3, s2
	s_add_u32 s0, s12, s4
	s_addc_u32 s1, s13, s3
	global_load_dwordx2 v[5:6], v9, s[0:1]
	s_waitcnt vmcnt(0)
	v_fma_f64 v[0:1], v[1:2], v[5:6], v[3:4]
	global_store_dwordx2 v9, v[0:1], s[0:1]
.LBB514_41:
	s_endpgm
	.section	.rodata,"a",@progbits
	.p2align	6, 0x0
	.amdhsa_kernel _ZN9rocsparseL20bsrxmvn_17_32_kernelILj19EdllfddEEvT2_20rocsparse_direction_NS_24const_host_device_scalarIT0_EES1_PKS1_PKT1_SA_S7_PKT3_PKT4_S5_PT5_21rocsparse_index_base_b
		.amdhsa_group_segment_fixed_size 2888
		.amdhsa_private_segment_fixed_size 0
		.amdhsa_kernarg_size 104
		.amdhsa_user_sgpr_count 6
		.amdhsa_user_sgpr_private_segment_buffer 1
		.amdhsa_user_sgpr_dispatch_ptr 0
		.amdhsa_user_sgpr_queue_ptr 0
		.amdhsa_user_sgpr_kernarg_segment_ptr 1
		.amdhsa_user_sgpr_dispatch_id 0
		.amdhsa_user_sgpr_flat_scratch_init 0
		.amdhsa_user_sgpr_private_segment_size 0
		.amdhsa_uses_dynamic_stack 0
		.amdhsa_system_sgpr_private_segment_wavefront_offset 0
		.amdhsa_system_sgpr_workgroup_id_x 1
		.amdhsa_system_sgpr_workgroup_id_y 0
		.amdhsa_system_sgpr_workgroup_id_z 0
		.amdhsa_system_sgpr_workgroup_info 0
		.amdhsa_system_vgpr_workitem_id 0
		.amdhsa_next_free_vgpr 25
		.amdhsa_next_free_sgpr 61
		.amdhsa_reserve_vcc 1
		.amdhsa_reserve_flat_scratch 0
		.amdhsa_float_round_mode_32 0
		.amdhsa_float_round_mode_16_64 0
		.amdhsa_float_denorm_mode_32 3
		.amdhsa_float_denorm_mode_16_64 3
		.amdhsa_dx10_clamp 1
		.amdhsa_ieee_mode 1
		.amdhsa_fp16_overflow 0
		.amdhsa_exception_fp_ieee_invalid_op 0
		.amdhsa_exception_fp_denorm_src 0
		.amdhsa_exception_fp_ieee_div_zero 0
		.amdhsa_exception_fp_ieee_overflow 0
		.amdhsa_exception_fp_ieee_underflow 0
		.amdhsa_exception_fp_ieee_inexact 0
		.amdhsa_exception_int_div_zero 0
	.end_amdhsa_kernel
	.section	.text._ZN9rocsparseL20bsrxmvn_17_32_kernelILj19EdllfddEEvT2_20rocsparse_direction_NS_24const_host_device_scalarIT0_EES1_PKS1_PKT1_SA_S7_PKT3_PKT4_S5_PT5_21rocsparse_index_base_b,"axG",@progbits,_ZN9rocsparseL20bsrxmvn_17_32_kernelILj19EdllfddEEvT2_20rocsparse_direction_NS_24const_host_device_scalarIT0_EES1_PKS1_PKT1_SA_S7_PKT3_PKT4_S5_PT5_21rocsparse_index_base_b,comdat
.Lfunc_end514:
	.size	_ZN9rocsparseL20bsrxmvn_17_32_kernelILj19EdllfddEEvT2_20rocsparse_direction_NS_24const_host_device_scalarIT0_EES1_PKS1_PKT1_SA_S7_PKT3_PKT4_S5_PT5_21rocsparse_index_base_b, .Lfunc_end514-_ZN9rocsparseL20bsrxmvn_17_32_kernelILj19EdllfddEEvT2_20rocsparse_direction_NS_24const_host_device_scalarIT0_EES1_PKS1_PKT1_SA_S7_PKT3_PKT4_S5_PT5_21rocsparse_index_base_b
                                        ; -- End function
	.set _ZN9rocsparseL20bsrxmvn_17_32_kernelILj19EdllfddEEvT2_20rocsparse_direction_NS_24const_host_device_scalarIT0_EES1_PKS1_PKT1_SA_S7_PKT3_PKT4_S5_PT5_21rocsparse_index_base_b.num_vgpr, 21
	.set _ZN9rocsparseL20bsrxmvn_17_32_kernelILj19EdllfddEEvT2_20rocsparse_direction_NS_24const_host_device_scalarIT0_EES1_PKS1_PKT1_SA_S7_PKT3_PKT4_S5_PT5_21rocsparse_index_base_b.num_agpr, 0
	.set _ZN9rocsparseL20bsrxmvn_17_32_kernelILj19EdllfddEEvT2_20rocsparse_direction_NS_24const_host_device_scalarIT0_EES1_PKS1_PKT1_SA_S7_PKT3_PKT4_S5_PT5_21rocsparse_index_base_b.numbered_sgpr, 22
	.set _ZN9rocsparseL20bsrxmvn_17_32_kernelILj19EdllfddEEvT2_20rocsparse_direction_NS_24const_host_device_scalarIT0_EES1_PKS1_PKT1_SA_S7_PKT3_PKT4_S5_PT5_21rocsparse_index_base_b.num_named_barrier, 0
	.set _ZN9rocsparseL20bsrxmvn_17_32_kernelILj19EdllfddEEvT2_20rocsparse_direction_NS_24const_host_device_scalarIT0_EES1_PKS1_PKT1_SA_S7_PKT3_PKT4_S5_PT5_21rocsparse_index_base_b.private_seg_size, 0
	.set _ZN9rocsparseL20bsrxmvn_17_32_kernelILj19EdllfddEEvT2_20rocsparse_direction_NS_24const_host_device_scalarIT0_EES1_PKS1_PKT1_SA_S7_PKT3_PKT4_S5_PT5_21rocsparse_index_base_b.uses_vcc, 1
	.set _ZN9rocsparseL20bsrxmvn_17_32_kernelILj19EdllfddEEvT2_20rocsparse_direction_NS_24const_host_device_scalarIT0_EES1_PKS1_PKT1_SA_S7_PKT3_PKT4_S5_PT5_21rocsparse_index_base_b.uses_flat_scratch, 0
	.set _ZN9rocsparseL20bsrxmvn_17_32_kernelILj19EdllfddEEvT2_20rocsparse_direction_NS_24const_host_device_scalarIT0_EES1_PKS1_PKT1_SA_S7_PKT3_PKT4_S5_PT5_21rocsparse_index_base_b.has_dyn_sized_stack, 0
	.set _ZN9rocsparseL20bsrxmvn_17_32_kernelILj19EdllfddEEvT2_20rocsparse_direction_NS_24const_host_device_scalarIT0_EES1_PKS1_PKT1_SA_S7_PKT3_PKT4_S5_PT5_21rocsparse_index_base_b.has_recursion, 0
	.set _ZN9rocsparseL20bsrxmvn_17_32_kernelILj19EdllfddEEvT2_20rocsparse_direction_NS_24const_host_device_scalarIT0_EES1_PKS1_PKT1_SA_S7_PKT3_PKT4_S5_PT5_21rocsparse_index_base_b.has_indirect_call, 0
	.section	.AMDGPU.csdata,"",@progbits
; Kernel info:
; codeLenInByte = 1416
; TotalNumSgprs: 26
; NumVgprs: 21
; ScratchSize: 0
; MemoryBound: 0
; FloatMode: 240
; IeeeMode: 1
; LDSByteSize: 2888 bytes/workgroup (compile time only)
; SGPRBlocks: 8
; VGPRBlocks: 6
; NumSGPRsForWavesPerEU: 65
; NumVGPRsForWavesPerEU: 25
; Occupancy: 9
; WaveLimiterHint : 1
; COMPUTE_PGM_RSRC2:SCRATCH_EN: 0
; COMPUTE_PGM_RSRC2:USER_SGPR: 6
; COMPUTE_PGM_RSRC2:TRAP_HANDLER: 0
; COMPUTE_PGM_RSRC2:TGID_X_EN: 1
; COMPUTE_PGM_RSRC2:TGID_Y_EN: 0
; COMPUTE_PGM_RSRC2:TGID_Z_EN: 0
; COMPUTE_PGM_RSRC2:TIDIG_COMP_CNT: 0
	.section	.text._ZN9rocsparseL20bsrxmvn_17_32_kernelILj20EdllfddEEvT2_20rocsparse_direction_NS_24const_host_device_scalarIT0_EES1_PKS1_PKT1_SA_S7_PKT3_PKT4_S5_PT5_21rocsparse_index_base_b,"axG",@progbits,_ZN9rocsparseL20bsrxmvn_17_32_kernelILj20EdllfddEEvT2_20rocsparse_direction_NS_24const_host_device_scalarIT0_EES1_PKS1_PKT1_SA_S7_PKT3_PKT4_S5_PT5_21rocsparse_index_base_b,comdat
	.globl	_ZN9rocsparseL20bsrxmvn_17_32_kernelILj20EdllfddEEvT2_20rocsparse_direction_NS_24const_host_device_scalarIT0_EES1_PKS1_PKT1_SA_S7_PKT3_PKT4_S5_PT5_21rocsparse_index_base_b ; -- Begin function _ZN9rocsparseL20bsrxmvn_17_32_kernelILj20EdllfddEEvT2_20rocsparse_direction_NS_24const_host_device_scalarIT0_EES1_PKS1_PKT1_SA_S7_PKT3_PKT4_S5_PT5_21rocsparse_index_base_b
	.p2align	8
	.type	_ZN9rocsparseL20bsrxmvn_17_32_kernelILj20EdllfddEEvT2_20rocsparse_direction_NS_24const_host_device_scalarIT0_EES1_PKS1_PKT1_SA_S7_PKT3_PKT4_S5_PT5_21rocsparse_index_base_b,@function
_ZN9rocsparseL20bsrxmvn_17_32_kernelILj20EdllfddEEvT2_20rocsparse_direction_NS_24const_host_device_scalarIT0_EES1_PKS1_PKT1_SA_S7_PKT3_PKT4_S5_PT5_21rocsparse_index_base_b: ; @_ZN9rocsparseL20bsrxmvn_17_32_kernelILj20EdllfddEEvT2_20rocsparse_direction_NS_24const_host_device_scalarIT0_EES1_PKS1_PKT1_SA_S7_PKT3_PKT4_S5_PT5_21rocsparse_index_base_b
; %bb.0:
	s_load_dwordx2 s[14:15], s[4:5], 0x60
	s_load_dwordx2 s[8:9], s[4:5], 0x10
	;; [unrolled: 1-line block ×3, first 2 shown]
	s_waitcnt lgkmcnt(0)
	s_bitcmp1_b32 s15, 0
	s_cselect_b64 s[10:11], -1, 0
	v_mov_b32_e32 v3, s8
	s_xor_b64 s[2:3], s[10:11], -1
	s_and_b64 vcc, exec, s[10:11]
	v_mov_b32_e32 v4, s9
	s_cbranch_vccnz .LBB515_2
; %bb.1:
	v_mov_b32_e32 v1, s8
	v_mov_b32_e32 v2, s9
	flat_load_dwordx2 v[3:4], v[1:2]
.LBB515_2:
	v_mov_b32_e32 v2, s1
	s_andn2_b64 vcc, exec, s[2:3]
	v_mov_b32_e32 v1, s0
	s_cbranch_vccnz .LBB515_4
; %bb.3:
	v_mov_b32_e32 v2, s1
	v_mov_b32_e32 v1, s0
	flat_load_dwordx2 v[1:2], v[1:2]
.LBB515_4:
	s_waitcnt vmcnt(0) lgkmcnt(0)
	v_cmp_neq_f64_e32 vcc, 0, v[3:4]
	v_cmp_neq_f64_e64 s[0:1], 1.0, v[1:2]
	s_or_b64 s[0:1], vcc, s[0:1]
	s_and_saveexec_b64 s[2:3], s[0:1]
	s_cbranch_execz .LBB515_41
; %bb.5:
	s_load_dwordx4 s[0:3], s[4:5], 0x20
	s_load_dwordx2 s[8:9], s[4:5], 0x30
	s_mov_b32 s7, 0
	s_waitcnt lgkmcnt(0)
	s_cmp_eq_u64 s[0:1], 0
	s_cbranch_scc1 .LBB515_7
; %bb.6:
	s_lshl_b64 s[6:7], s[6:7], 3
	s_add_u32 s0, s0, s6
	s_addc_u32 s1, s1, s7
	s_load_dwordx2 s[0:1], s[0:1], 0x0
	s_waitcnt lgkmcnt(0)
	s_sub_u32 s6, s0, s14
	s_subb_u32 s7, s1, 0
.LBB515_7:
	s_load_dword s10, s[4:5], 0x8
	s_load_dwordx2 s[12:13], s[4:5], 0x58
	v_mul_u32_u24_e32 v7, 0xccd, v0
	v_mov_b32_e32 v8, 20
	v_mul_lo_u16_sdwa v5, v7, v8 dst_sel:DWORD dst_unused:UNUSED_PAD src0_sel:WORD_1 src1_sel:DWORD
	s_waitcnt lgkmcnt(0)
	s_cmp_eq_u32 s10, 1
	s_cselect_b64 s[0:1], -1, 0
	s_cmp_lg_u32 s10, 1
	s_cselect_b64 s[16:17], -1, 0
	s_lshl_b64 s[10:11], s[6:7], 3
	s_add_u32 s20, s2, s10
	s_addc_u32 s21, s3, s11
	s_add_u32 s2, s20, 8
	s_addc_u32 s3, s21, 0
	;; [unrolled: 2-line block ×3, first 2 shown]
	s_cmp_eq_u64 s[8:9], 0
	s_cselect_b32 s9, s3, s11
	s_cselect_b32 s8, s2, s10
	s_load_dwordx2 s[2:3], s[8:9], 0x0
	s_load_dwordx2 s[18:19], s[20:21], 0x0
	v_sub_u16_e32 v15, v0, v5
	s_waitcnt lgkmcnt(0)
	v_mov_b32_e32 v6, s3
	v_mov_b32_e32 v5, s2
	v_cmp_ge_i64_e32 vcc, s[18:19], v[5:6]
	v_mov_b32_e32 v5, 0
	v_mov_b32_e32 v6, 0
	s_cbranch_vccnz .LBB515_12
; %bb.8:
	v_mov_b32_e32 v5, 13
	v_mul_lo_u16_sdwa v5, v7, v5 dst_sel:DWORD dst_unused:UNUSED_PAD src0_sel:WORD_1 src1_sel:DWORD
	s_load_dwordx4 s[8:11], s[4:5], 0x38
	s_load_dwordx2 s[20:21], s[4:5], 0x48
	v_mul_lo_u16_sdwa v5, v5, v8 dst_sel:DWORD dst_unused:UNUSED_PAD src0_sel:BYTE_1 src1_sel:DWORD
	s_sub_u32 s2, s2, s14
	v_sub_u16_sdwa v5, v7, v5 dst_sel:DWORD dst_unused:UNUSED_PAD src0_sel:WORD_1 src1_sel:DWORD
	s_subb_u32 s3, s3, 0
	v_and_b32_e32 v5, 0xff, v5
	s_sub_u32 s4, s18, s14
	v_cndmask_b32_e64 v5, v15, v5, s[0:1]
	s_subb_u32 s5, s19, 0
	v_lshlrev_b32_e32 v5, 3, v5
	s_mul_i32 s0, s5, 0x640
	s_mul_hi_u32 s1, s4, 0x640
	s_waitcnt lgkmcnt(0)
	v_mov_b32_e32 v6, s21
	v_add_co_u32_e32 v7, vcc, s20, v5
	s_add_i32 s1, s1, s0
	s_mul_i32 s0, s4, 0x640
	v_addc_co_u32_e32 v8, vcc, 0, v6, vcc
	s_add_u32 s0, s10, s0
	v_lshlrev_b32_e32 v5, 2, v0
	s_addc_u32 s1, s11, s1
	v_add_co_u32_e32 v9, vcc, s0, v5
	s_movk_i32 s0, 0xa4
	v_mov_b32_e32 v6, s1
	v_mul_u32_u24_sdwa v5, v0, s0 dst_sel:DWORD dst_unused:UNUSED_PAD src0_sel:WORD_0 src1_sel:DWORD
	v_addc_co_u32_e32 v10, vcc, 0, v6, vcc
	v_lshrrev_b32_e32 v16, 16, v5
	v_mov_b32_e32 v5, s19
	v_add_co_u32_e32 v6, vcc, s18, v16
	v_addc_co_u32_e32 v11, vcc, 0, v5, vcc
	v_subrev_co_u32_e32 v5, vcc, s14, v6
	v_subbrev_co_u32_e32 v6, vcc, 0, v11, vcc
	v_lshlrev_b64 v[5:6], 3, v[5:6]
	v_mov_b32_e32 v12, s9
	v_add_co_u32_e32 v11, vcc, s8, v5
	v_addc_co_u32_e32 v12, vcc, v12, v6, vcc
	v_mov_b32_e32 v5, 0
	v_mov_b32_e32 v14, s3
	;; [unrolled: 1-line block ×3, first 2 shown]
	s_movk_i32 s8, 0xa0
	v_mov_b32_e32 v13, s2
	s_branch .LBB515_10
.LBB515_9:                              ;   in Loop: Header=BB515_10 Depth=1
	s_or_b64 exec, exec, s[0:1]
	s_add_u32 s4, s4, 1
	s_addc_u32 s5, s5, 0
	v_cmp_lt_i64_e32 vcc, s[4:5], v[13:14]
	v_add_co_u32_e64 v11, s[0:1], 8, v11
	v_addc_co_u32_e64 v12, s[0:1], 0, v12, s[0:1]
	s_cbranch_vccz .LBB515_12
.LBB515_10:                             ; =>This Inner Loop Header: Depth=1
	v_mov_b32_e32 v18, s5
	v_add_co_u32_e32 v17, vcc, s4, v16
	v_addc_co_u32_e32 v18, vcc, 0, v18, vcc
	v_cmp_gt_i64_e32 vcc, s[2:3], v[17:18]
	s_and_saveexec_b64 s[0:1], vcc
	s_cbranch_execz .LBB515_9
; %bb.11:                               ;   in Loop: Header=BB515_10 Depth=1
	global_load_dwordx2 v[17:18], v[11:12], off
	s_waitcnt vmcnt(0)
	v_subrev_co_u32_e32 v17, vcc, s14, v17
	v_subbrev_co_u32_e32 v19, vcc, 0, v18, vcc
	v_mad_u64_u32 v[17:18], s[10:11], v17, s8, v[7:8]
	v_mad_u64_u32 v[18:19], s[10:11], v19, s8, v[18:19]
	global_load_dword v19, v[9:10], off
	s_nop 0
	global_load_dwordx2 v[17:18], v[17:18], off
	v_add_co_u32_e32 v9, vcc, 0x640, v9
	v_addc_co_u32_e32 v10, vcc, 0, v10, vcc
	s_waitcnt vmcnt(1)
	v_cvt_f64_f32_e32 v[19:20], v19
	s_waitcnt vmcnt(0)
	v_fma_f64 v[5:6], v[19:20], v[17:18], v[5:6]
	s_branch .LBB515_9
.LBB515_12:
	v_lshlrev_b32_e32 v9, 3, v0
	s_and_b64 vcc, exec, s[16:17]
	ds_write_b64 v9, v[5:6]
	s_waitcnt lgkmcnt(0)
	s_barrier
	s_cbranch_vccz .LBB515_24
; %bb.13:
	v_cmp_gt_u16_e32 vcc, 4, v15
	s_and_saveexec_b64 s[0:1], vcc
	s_cbranch_execz .LBB515_15
; %bb.14:
	ds_read2_b64 v[10:13], v9 offset1:16
	s_waitcnt lgkmcnt(0)
	v_add_f64 v[7:8], v[12:13], v[10:11]
	ds_write_b64 v9, v[7:8]
.LBB515_15:
	s_or_b64 exec, exec, s[0:1]
	v_cmp_gt_u16_e64 s[0:1], 8, v15
	s_waitcnt lgkmcnt(0)
	s_barrier
	s_and_saveexec_b64 s[2:3], s[0:1]
	s_cbranch_execz .LBB515_17
; %bb.16:
	ds_read2_b64 v[10:13], v9 offset1:8
	s_waitcnt lgkmcnt(0)
	v_add_f64 v[7:8], v[12:13], v[10:11]
	ds_write_b64 v9, v[7:8]
.LBB515_17:
	s_or_b64 exec, exec, s[2:3]
	s_waitcnt lgkmcnt(0)
	s_barrier
	s_and_saveexec_b64 s[0:1], vcc
	s_cbranch_execz .LBB515_19
; %bb.18:
	ds_read2_b64 v[10:13], v9 offset1:4
	s_waitcnt lgkmcnt(0)
	v_add_f64 v[7:8], v[12:13], v[10:11]
	ds_write_b64 v9, v[7:8]
.LBB515_19:
	s_or_b64 exec, exec, s[0:1]
	v_cmp_gt_u16_e32 vcc, 2, v15
	s_waitcnt lgkmcnt(0)
	s_barrier
	s_and_saveexec_b64 s[0:1], vcc
	s_cbranch_execz .LBB515_21
; %bb.20:
	ds_read2_b64 v[10:13], v9 offset1:2
	s_waitcnt lgkmcnt(0)
	v_add_f64 v[7:8], v[12:13], v[10:11]
	ds_write_b64 v9, v[7:8]
.LBB515_21:
	s_or_b64 exec, exec, s[0:1]
	v_mov_b32_e32 v8, v6
	v_cmp_gt_u32_e32 vcc, 20, v0
	v_mov_b32_e32 v7, v5
	s_waitcnt lgkmcnt(0)
	s_barrier
	s_and_saveexec_b64 s[0:1], vcc
	s_cbranch_execz .LBB515_23
; %bb.22:
	s_movk_i32 s2, 0x98
	v_mad_u32_u24 v7, v0, s2, v9
	ds_read_b128 v[10:13], v7
	s_waitcnt lgkmcnt(0)
	v_add_f64 v[7:8], v[10:11], v[12:13]
.LBB515_23:
	s_or_b64 exec, exec, s[0:1]
	s_branch .LBB515_36
.LBB515_24:
                                        ; implicit-def: $vgpr7_vgpr8
	s_cbranch_execz .LBB515_36
; %bb.25:
	s_movk_i32 s0, 0x50
	v_cmp_gt_u32_e32 vcc, s0, v0
	s_and_saveexec_b64 s[0:1], vcc
	s_cbranch_execz .LBB515_27
; %bb.26:
	ds_read2st64_b64 v[10:13], v9 offset1:5
	s_waitcnt lgkmcnt(0)
	v_add_f64 v[7:8], v[12:13], v[10:11]
	ds_write_b64 v9, v[7:8]
.LBB515_27:
	s_or_b64 exec, exec, s[0:1]
	s_movk_i32 s0, 0xa0
	v_cmp_gt_u32_e64 s[0:1], s0, v0
	s_waitcnt lgkmcnt(0)
	s_barrier
	s_and_saveexec_b64 s[2:3], s[0:1]
	s_cbranch_execz .LBB515_29
; %bb.28:
	ds_read2_b64 v[10:13], v9 offset1:160
	s_waitcnt lgkmcnt(0)
	v_add_f64 v[7:8], v[12:13], v[10:11]
	ds_write_b64 v9, v[7:8]
.LBB515_29:
	s_or_b64 exec, exec, s[2:3]
	s_waitcnt lgkmcnt(0)
	s_barrier
	s_and_saveexec_b64 s[0:1], vcc
	s_cbranch_execz .LBB515_31
; %bb.30:
	ds_read2_b64 v[10:13], v9 offset1:80
	s_waitcnt lgkmcnt(0)
	v_add_f64 v[7:8], v[12:13], v[10:11]
	ds_write_b64 v9, v[7:8]
.LBB515_31:
	s_or_b64 exec, exec, s[0:1]
	v_cmp_gt_u32_e32 vcc, 40, v0
	s_waitcnt lgkmcnt(0)
	s_barrier
	s_and_saveexec_b64 s[0:1], vcc
	s_cbranch_execz .LBB515_33
; %bb.32:
	ds_read2_b64 v[10:13], v9 offset1:40
	s_waitcnt lgkmcnt(0)
	v_add_f64 v[7:8], v[12:13], v[10:11]
	ds_write_b64 v9, v[7:8]
.LBB515_33:
	s_or_b64 exec, exec, s[0:1]
	v_cmp_gt_u32_e32 vcc, 20, v0
	s_waitcnt lgkmcnt(0)
	s_and_saveexec_b64 s[0:1], vcc
	s_cbranch_execz .LBB515_35
; %bb.34:
	ds_read2_b64 v[5:8], v9 offset1:20
	s_waitcnt lgkmcnt(0)
	v_add_f64 v[5:6], v[5:6], v[7:8]
.LBB515_35:
	s_or_b64 exec, exec, s[0:1]
	v_mov_b32_e32 v8, v6
	v_mov_b32_e32 v7, v5
.LBB515_36:
	v_cmp_gt_u32_e32 vcc, 20, v0
	s_and_b64 exec, exec, vcc
	s_cbranch_execz .LBB515_41
; %bb.37:
	v_cmp_eq_f64_e32 vcc, 0, v[1:2]
	v_mul_f64 v[3:4], v[3:4], v[7:8]
	s_mul_i32 s2, s7, 0xa0
	s_mul_hi_u32 s3, s6, 0xa0
	s_mul_i32 s4, s6, 0xa0
	s_and_saveexec_b64 s[0:1], vcc
	s_xor_b64 s[0:1], exec, s[0:1]
	s_cbranch_execz .LBB515_39
; %bb.38:
	s_add_i32 s5, s3, s2
	s_add_u32 s6, s12, s4
	s_addc_u32 s7, s13, s5
	global_store_dwordx2 v9, v[3:4], s[6:7]
                                        ; implicit-def: $vgpr9
                                        ; implicit-def: $vgpr1_vgpr2
                                        ; implicit-def: $vgpr3_vgpr4
.LBB515_39:
	s_andn2_saveexec_b64 s[0:1], s[0:1]
	s_cbranch_execz .LBB515_41
; %bb.40:
	s_add_i32 s3, s3, s2
	s_add_u32 s0, s12, s4
	s_addc_u32 s1, s13, s3
	global_load_dwordx2 v[5:6], v9, s[0:1]
	s_waitcnt vmcnt(0)
	v_fma_f64 v[0:1], v[1:2], v[5:6], v[3:4]
	global_store_dwordx2 v9, v[0:1], s[0:1]
.LBB515_41:
	s_endpgm
	.section	.rodata,"a",@progbits
	.p2align	6, 0x0
	.amdhsa_kernel _ZN9rocsparseL20bsrxmvn_17_32_kernelILj20EdllfddEEvT2_20rocsparse_direction_NS_24const_host_device_scalarIT0_EES1_PKS1_PKT1_SA_S7_PKT3_PKT4_S5_PT5_21rocsparse_index_base_b
		.amdhsa_group_segment_fixed_size 3200
		.amdhsa_private_segment_fixed_size 0
		.amdhsa_kernarg_size 104
		.amdhsa_user_sgpr_count 6
		.amdhsa_user_sgpr_private_segment_buffer 1
		.amdhsa_user_sgpr_dispatch_ptr 0
		.amdhsa_user_sgpr_queue_ptr 0
		.amdhsa_user_sgpr_kernarg_segment_ptr 1
		.amdhsa_user_sgpr_dispatch_id 0
		.amdhsa_user_sgpr_flat_scratch_init 0
		.amdhsa_user_sgpr_private_segment_size 0
		.amdhsa_uses_dynamic_stack 0
		.amdhsa_system_sgpr_private_segment_wavefront_offset 0
		.amdhsa_system_sgpr_workgroup_id_x 1
		.amdhsa_system_sgpr_workgroup_id_y 0
		.amdhsa_system_sgpr_workgroup_id_z 0
		.amdhsa_system_sgpr_workgroup_info 0
		.amdhsa_system_vgpr_workitem_id 0
		.amdhsa_next_free_vgpr 25
		.amdhsa_next_free_sgpr 61
		.amdhsa_reserve_vcc 1
		.amdhsa_reserve_flat_scratch 0
		.amdhsa_float_round_mode_32 0
		.amdhsa_float_round_mode_16_64 0
		.amdhsa_float_denorm_mode_32 3
		.amdhsa_float_denorm_mode_16_64 3
		.amdhsa_dx10_clamp 1
		.amdhsa_ieee_mode 1
		.amdhsa_fp16_overflow 0
		.amdhsa_exception_fp_ieee_invalid_op 0
		.amdhsa_exception_fp_denorm_src 0
		.amdhsa_exception_fp_ieee_div_zero 0
		.amdhsa_exception_fp_ieee_overflow 0
		.amdhsa_exception_fp_ieee_underflow 0
		.amdhsa_exception_fp_ieee_inexact 0
		.amdhsa_exception_int_div_zero 0
	.end_amdhsa_kernel
	.section	.text._ZN9rocsparseL20bsrxmvn_17_32_kernelILj20EdllfddEEvT2_20rocsparse_direction_NS_24const_host_device_scalarIT0_EES1_PKS1_PKT1_SA_S7_PKT3_PKT4_S5_PT5_21rocsparse_index_base_b,"axG",@progbits,_ZN9rocsparseL20bsrxmvn_17_32_kernelILj20EdllfddEEvT2_20rocsparse_direction_NS_24const_host_device_scalarIT0_EES1_PKS1_PKT1_SA_S7_PKT3_PKT4_S5_PT5_21rocsparse_index_base_b,comdat
.Lfunc_end515:
	.size	_ZN9rocsparseL20bsrxmvn_17_32_kernelILj20EdllfddEEvT2_20rocsparse_direction_NS_24const_host_device_scalarIT0_EES1_PKS1_PKT1_SA_S7_PKT3_PKT4_S5_PT5_21rocsparse_index_base_b, .Lfunc_end515-_ZN9rocsparseL20bsrxmvn_17_32_kernelILj20EdllfddEEvT2_20rocsparse_direction_NS_24const_host_device_scalarIT0_EES1_PKS1_PKT1_SA_S7_PKT3_PKT4_S5_PT5_21rocsparse_index_base_b
                                        ; -- End function
	.set _ZN9rocsparseL20bsrxmvn_17_32_kernelILj20EdllfddEEvT2_20rocsparse_direction_NS_24const_host_device_scalarIT0_EES1_PKS1_PKT1_SA_S7_PKT3_PKT4_S5_PT5_21rocsparse_index_base_b.num_vgpr, 21
	.set _ZN9rocsparseL20bsrxmvn_17_32_kernelILj20EdllfddEEvT2_20rocsparse_direction_NS_24const_host_device_scalarIT0_EES1_PKS1_PKT1_SA_S7_PKT3_PKT4_S5_PT5_21rocsparse_index_base_b.num_agpr, 0
	.set _ZN9rocsparseL20bsrxmvn_17_32_kernelILj20EdllfddEEvT2_20rocsparse_direction_NS_24const_host_device_scalarIT0_EES1_PKS1_PKT1_SA_S7_PKT3_PKT4_S5_PT5_21rocsparse_index_base_b.numbered_sgpr, 22
	.set _ZN9rocsparseL20bsrxmvn_17_32_kernelILj20EdllfddEEvT2_20rocsparse_direction_NS_24const_host_device_scalarIT0_EES1_PKS1_PKT1_SA_S7_PKT3_PKT4_S5_PT5_21rocsparse_index_base_b.num_named_barrier, 0
	.set _ZN9rocsparseL20bsrxmvn_17_32_kernelILj20EdllfddEEvT2_20rocsparse_direction_NS_24const_host_device_scalarIT0_EES1_PKS1_PKT1_SA_S7_PKT3_PKT4_S5_PT5_21rocsparse_index_base_b.private_seg_size, 0
	.set _ZN9rocsparseL20bsrxmvn_17_32_kernelILj20EdllfddEEvT2_20rocsparse_direction_NS_24const_host_device_scalarIT0_EES1_PKS1_PKT1_SA_S7_PKT3_PKT4_S5_PT5_21rocsparse_index_base_b.uses_vcc, 1
	.set _ZN9rocsparseL20bsrxmvn_17_32_kernelILj20EdllfddEEvT2_20rocsparse_direction_NS_24const_host_device_scalarIT0_EES1_PKS1_PKT1_SA_S7_PKT3_PKT4_S5_PT5_21rocsparse_index_base_b.uses_flat_scratch, 0
	.set _ZN9rocsparseL20bsrxmvn_17_32_kernelILj20EdllfddEEvT2_20rocsparse_direction_NS_24const_host_device_scalarIT0_EES1_PKS1_PKT1_SA_S7_PKT3_PKT4_S5_PT5_21rocsparse_index_base_b.has_dyn_sized_stack, 0
	.set _ZN9rocsparseL20bsrxmvn_17_32_kernelILj20EdllfddEEvT2_20rocsparse_direction_NS_24const_host_device_scalarIT0_EES1_PKS1_PKT1_SA_S7_PKT3_PKT4_S5_PT5_21rocsparse_index_base_b.has_recursion, 0
	.set _ZN9rocsparseL20bsrxmvn_17_32_kernelILj20EdllfddEEvT2_20rocsparse_direction_NS_24const_host_device_scalarIT0_EES1_PKS1_PKT1_SA_S7_PKT3_PKT4_S5_PT5_21rocsparse_index_base_b.has_indirect_call, 0
	.section	.AMDGPU.csdata,"",@progbits
; Kernel info:
; codeLenInByte = 1408
; TotalNumSgprs: 26
; NumVgprs: 21
; ScratchSize: 0
; MemoryBound: 0
; FloatMode: 240
; IeeeMode: 1
; LDSByteSize: 3200 bytes/workgroup (compile time only)
; SGPRBlocks: 8
; VGPRBlocks: 6
; NumSGPRsForWavesPerEU: 65
; NumVGPRsForWavesPerEU: 25
; Occupancy: 9
; WaveLimiterHint : 1
; COMPUTE_PGM_RSRC2:SCRATCH_EN: 0
; COMPUTE_PGM_RSRC2:USER_SGPR: 6
; COMPUTE_PGM_RSRC2:TRAP_HANDLER: 0
; COMPUTE_PGM_RSRC2:TGID_X_EN: 1
; COMPUTE_PGM_RSRC2:TGID_Y_EN: 0
; COMPUTE_PGM_RSRC2:TGID_Z_EN: 0
; COMPUTE_PGM_RSRC2:TIDIG_COMP_CNT: 0
	.section	.text._ZN9rocsparseL20bsrxmvn_17_32_kernelILj21EdllfddEEvT2_20rocsparse_direction_NS_24const_host_device_scalarIT0_EES1_PKS1_PKT1_SA_S7_PKT3_PKT4_S5_PT5_21rocsparse_index_base_b,"axG",@progbits,_ZN9rocsparseL20bsrxmvn_17_32_kernelILj21EdllfddEEvT2_20rocsparse_direction_NS_24const_host_device_scalarIT0_EES1_PKS1_PKT1_SA_S7_PKT3_PKT4_S5_PT5_21rocsparse_index_base_b,comdat
	.globl	_ZN9rocsparseL20bsrxmvn_17_32_kernelILj21EdllfddEEvT2_20rocsparse_direction_NS_24const_host_device_scalarIT0_EES1_PKS1_PKT1_SA_S7_PKT3_PKT4_S5_PT5_21rocsparse_index_base_b ; -- Begin function _ZN9rocsparseL20bsrxmvn_17_32_kernelILj21EdllfddEEvT2_20rocsparse_direction_NS_24const_host_device_scalarIT0_EES1_PKS1_PKT1_SA_S7_PKT3_PKT4_S5_PT5_21rocsparse_index_base_b
	.p2align	8
	.type	_ZN9rocsparseL20bsrxmvn_17_32_kernelILj21EdllfddEEvT2_20rocsparse_direction_NS_24const_host_device_scalarIT0_EES1_PKS1_PKT1_SA_S7_PKT3_PKT4_S5_PT5_21rocsparse_index_base_b,@function
_ZN9rocsparseL20bsrxmvn_17_32_kernelILj21EdllfddEEvT2_20rocsparse_direction_NS_24const_host_device_scalarIT0_EES1_PKS1_PKT1_SA_S7_PKT3_PKT4_S5_PT5_21rocsparse_index_base_b: ; @_ZN9rocsparseL20bsrxmvn_17_32_kernelILj21EdllfddEEvT2_20rocsparse_direction_NS_24const_host_device_scalarIT0_EES1_PKS1_PKT1_SA_S7_PKT3_PKT4_S5_PT5_21rocsparse_index_base_b
; %bb.0:
	s_load_dwordx2 s[14:15], s[4:5], 0x60
	s_load_dwordx2 s[8:9], s[4:5], 0x10
	;; [unrolled: 1-line block ×3, first 2 shown]
	s_waitcnt lgkmcnt(0)
	s_bitcmp1_b32 s15, 0
	s_cselect_b64 s[10:11], -1, 0
	v_mov_b32_e32 v3, s8
	s_xor_b64 s[2:3], s[10:11], -1
	s_and_b64 vcc, exec, s[10:11]
	v_mov_b32_e32 v4, s9
	s_cbranch_vccnz .LBB516_2
; %bb.1:
	v_mov_b32_e32 v1, s8
	v_mov_b32_e32 v2, s9
	flat_load_dwordx2 v[3:4], v[1:2]
.LBB516_2:
	v_mov_b32_e32 v2, s1
	s_andn2_b64 vcc, exec, s[2:3]
	v_mov_b32_e32 v1, s0
	s_cbranch_vccnz .LBB516_4
; %bb.3:
	v_mov_b32_e32 v2, s1
	v_mov_b32_e32 v1, s0
	flat_load_dwordx2 v[1:2], v[1:2]
.LBB516_4:
	s_waitcnt vmcnt(0) lgkmcnt(0)
	v_cmp_neq_f64_e32 vcc, 0, v[3:4]
	v_cmp_neq_f64_e64 s[0:1], 1.0, v[1:2]
	s_or_b64 s[0:1], vcc, s[0:1]
	s_and_saveexec_b64 s[2:3], s[0:1]
	s_cbranch_execz .LBB516_41
; %bb.5:
	s_load_dwordx4 s[0:3], s[4:5], 0x20
	s_load_dwordx2 s[8:9], s[4:5], 0x30
	s_mov_b32 s7, 0
	s_waitcnt lgkmcnt(0)
	s_cmp_eq_u64 s[0:1], 0
	s_cbranch_scc1 .LBB516_7
; %bb.6:
	s_lshl_b64 s[6:7], s[6:7], 3
	s_add_u32 s0, s0, s6
	s_addc_u32 s1, s1, s7
	s_load_dwordx2 s[0:1], s[0:1], 0x0
	s_waitcnt lgkmcnt(0)
	s_sub_u32 s6, s0, s14
	s_subb_u32 s7, s1, 0
.LBB516_7:
	s_load_dword s10, s[4:5], 0x8
	s_load_dwordx2 s[12:13], s[4:5], 0x58
	v_mul_u32_u24_e32 v7, 0xc31, v0
	v_mov_b32_e32 v5, 21
	v_mul_lo_u16_sdwa v5, v7, v5 dst_sel:DWORD dst_unused:UNUSED_PAD src0_sel:WORD_1 src1_sel:DWORD
	s_waitcnt lgkmcnt(0)
	s_cmp_eq_u32 s10, 1
	s_cselect_b64 s[0:1], -1, 0
	s_cmp_lg_u32 s10, 1
	s_cselect_b64 s[16:17], -1, 0
	s_lshl_b64 s[10:11], s[6:7], 3
	s_add_u32 s20, s2, s10
	s_addc_u32 s21, s3, s11
	s_add_u32 s2, s20, 8
	s_addc_u32 s3, s21, 0
	;; [unrolled: 2-line block ×3, first 2 shown]
	s_cmp_eq_u64 s[8:9], 0
	s_cselect_b32 s9, s3, s11
	s_cselect_b32 s8, s2, s10
	s_load_dwordx2 s[2:3], s[8:9], 0x0
	s_load_dwordx2 s[18:19], s[20:21], 0x0
	v_sub_u16_e32 v15, v0, v5
	s_waitcnt lgkmcnt(0)
	v_mov_b32_e32 v6, s3
	v_mov_b32_e32 v5, s2
	v_cmp_ge_i64_e32 vcc, s[18:19], v[5:6]
	v_mov_b32_e32 v5, 0
	v_mov_b32_e32 v6, 0
	s_cbranch_vccnz .LBB516_12
; %bb.8:
	v_mov_b32_e32 v5, 25
	v_mul_lo_u16_sdwa v5, v7, v5 dst_sel:DWORD dst_unused:UNUSED_PAD src0_sel:WORD_1 src1_sel:DWORD
	v_lshrrev_b16_e32 v5, 9, v5
	s_load_dwordx4 s[8:11], s[4:5], 0x38
	s_load_dwordx2 s[20:21], s[4:5], 0x48
	v_mul_lo_u16_e32 v5, 21, v5
	s_sub_u32 s2, s2, s14
	v_sub_u16_sdwa v5, v7, v5 dst_sel:DWORD dst_unused:UNUSED_PAD src0_sel:WORD_1 src1_sel:DWORD
	s_subb_u32 s3, s3, 0
	v_and_b32_e32 v5, 0xff, v5
	s_sub_u32 s4, s18, s14
	v_cndmask_b32_e64 v5, v15, v5, s[0:1]
	s_subb_u32 s5, s19, 0
	v_lshlrev_b32_e32 v5, 3, v5
	s_mul_i32 s0, s5, 0x6e4
	s_mul_hi_u32 s1, s4, 0x6e4
	s_waitcnt lgkmcnt(0)
	v_mov_b32_e32 v6, s21
	v_add_co_u32_e32 v7, vcc, s20, v5
	s_add_i32 s1, s1, s0
	s_mul_i32 s0, s4, 0x6e4
	v_addc_co_u32_e32 v8, vcc, 0, v6, vcc
	s_add_u32 s0, s10, s0
	v_lshlrev_b32_e32 v5, 2, v0
	s_addc_u32 s1, s11, s1
	v_add_co_u32_e32 v9, vcc, s0, v5
	s_movk_i32 s0, 0x253
	v_mov_b32_e32 v6, s1
	v_mul_u32_u24_sdwa v5, v0, s0 dst_sel:DWORD dst_unused:UNUSED_PAD src0_sel:WORD_0 src1_sel:DWORD
	v_addc_co_u32_e32 v10, vcc, 0, v6, vcc
	v_lshrrev_b32_e32 v16, 18, v5
	v_mov_b32_e32 v5, s19
	v_add_co_u32_e32 v6, vcc, s18, v16
	v_addc_co_u32_e32 v11, vcc, 0, v5, vcc
	v_subrev_co_u32_e32 v5, vcc, s14, v6
	v_subbrev_co_u32_e32 v6, vcc, 0, v11, vcc
	v_lshlrev_b64 v[5:6], 3, v[5:6]
	v_mov_b32_e32 v12, s9
	v_add_co_u32_e32 v11, vcc, s8, v5
	v_addc_co_u32_e32 v12, vcc, v12, v6, vcc
	v_mov_b32_e32 v5, 0
	v_mov_b32_e32 v14, s3
	;; [unrolled: 1-line block ×3, first 2 shown]
	s_movk_i32 s8, 0xa8
	v_mov_b32_e32 v13, s2
	s_branch .LBB516_10
.LBB516_9:                              ;   in Loop: Header=BB516_10 Depth=1
	s_or_b64 exec, exec, s[0:1]
	s_add_u32 s4, s4, 1
	s_addc_u32 s5, s5, 0
	v_cmp_lt_i64_e32 vcc, s[4:5], v[13:14]
	v_add_co_u32_e64 v11, s[0:1], 8, v11
	v_addc_co_u32_e64 v12, s[0:1], 0, v12, s[0:1]
	s_cbranch_vccz .LBB516_12
.LBB516_10:                             ; =>This Inner Loop Header: Depth=1
	v_mov_b32_e32 v18, s5
	v_add_co_u32_e32 v17, vcc, s4, v16
	v_addc_co_u32_e32 v18, vcc, 0, v18, vcc
	v_cmp_gt_i64_e32 vcc, s[2:3], v[17:18]
	s_and_saveexec_b64 s[0:1], vcc
	s_cbranch_execz .LBB516_9
; %bb.11:                               ;   in Loop: Header=BB516_10 Depth=1
	global_load_dwordx2 v[17:18], v[11:12], off
	s_waitcnt vmcnt(0)
	v_subrev_co_u32_e32 v17, vcc, s14, v17
	v_subbrev_co_u32_e32 v19, vcc, 0, v18, vcc
	v_mad_u64_u32 v[17:18], s[10:11], v17, s8, v[7:8]
	v_mad_u64_u32 v[18:19], s[10:11], v19, s8, v[18:19]
	global_load_dword v19, v[9:10], off
	s_nop 0
	global_load_dwordx2 v[17:18], v[17:18], off
	v_add_co_u32_e32 v9, vcc, 0x6e4, v9
	v_addc_co_u32_e32 v10, vcc, 0, v10, vcc
	s_waitcnt vmcnt(1)
	v_cvt_f64_f32_e32 v[19:20], v19
	s_waitcnt vmcnt(0)
	v_fma_f64 v[5:6], v[19:20], v[17:18], v[5:6]
	s_branch .LBB516_9
.LBB516_12:
	v_lshlrev_b32_e32 v9, 3, v0
	s_and_b64 vcc, exec, s[16:17]
	ds_write_b64 v9, v[5:6]
	s_waitcnt lgkmcnt(0)
	s_barrier
	s_cbranch_vccz .LBB516_24
; %bb.13:
	v_cmp_gt_u16_e32 vcc, 5, v15
	s_and_saveexec_b64 s[0:1], vcc
	s_cbranch_execz .LBB516_15
; %bb.14:
	ds_read2_b64 v[10:13], v9 offset1:16
	s_waitcnt lgkmcnt(0)
	v_add_f64 v[7:8], v[12:13], v[10:11]
	ds_write_b64 v9, v[7:8]
.LBB516_15:
	s_or_b64 exec, exec, s[0:1]
	v_cmp_gt_u16_e32 vcc, 8, v15
	s_waitcnt lgkmcnt(0)
	s_barrier
	s_and_saveexec_b64 s[0:1], vcc
	s_cbranch_execz .LBB516_17
; %bb.16:
	ds_read2_b64 v[10:13], v9 offset1:8
	s_waitcnt lgkmcnt(0)
	v_add_f64 v[7:8], v[12:13], v[10:11]
	ds_write_b64 v9, v[7:8]
.LBB516_17:
	s_or_b64 exec, exec, s[0:1]
	v_cmp_gt_u16_e32 vcc, 4, v15
	s_waitcnt lgkmcnt(0)
	s_barrier
	;; [unrolled: 12-line block ×3, first 2 shown]
	s_and_saveexec_b64 s[0:1], vcc
	s_cbranch_execz .LBB516_21
; %bb.20:
	ds_read2_b64 v[10:13], v9 offset1:2
	s_waitcnt lgkmcnt(0)
	v_add_f64 v[7:8], v[12:13], v[10:11]
	ds_write_b64 v9, v[7:8]
.LBB516_21:
	s_or_b64 exec, exec, s[0:1]
	v_mov_b32_e32 v8, v6
	v_cmp_gt_u32_e32 vcc, 21, v0
	v_mov_b32_e32 v7, v5
	s_waitcnt lgkmcnt(0)
	s_barrier
	s_and_saveexec_b64 s[0:1], vcc
	s_cbranch_execz .LBB516_23
; %bb.22:
	s_movk_i32 s2, 0xa0
	v_mad_u32_u24 v7, v0, s2, v9
	ds_read2_b64 v[10:13], v7 offset1:1
	s_waitcnt lgkmcnt(0)
	v_add_f64 v[7:8], v[10:11], v[12:13]
.LBB516_23:
	s_or_b64 exec, exec, s[0:1]
	s_branch .LBB516_36
.LBB516_24:
                                        ; implicit-def: $vgpr7_vgpr8
	s_cbranch_execz .LBB516_36
; %bb.25:
	s_movk_i32 s0, 0x69
	v_cmp_gt_u32_e32 vcc, s0, v0
	s_and_saveexec_b64 s[0:1], vcc
	s_cbranch_execz .LBB516_27
; %bb.26:
	ds_read_b64 v[7:8], v9 offset:2688
	ds_read_b64 v[10:11], v9
	s_waitcnt lgkmcnt(0)
	v_add_f64 v[7:8], v[7:8], v[10:11]
	ds_write_b64 v9, v[7:8]
.LBB516_27:
	s_or_b64 exec, exec, s[0:1]
	s_movk_i32 s0, 0xa8
	v_cmp_gt_u32_e32 vcc, s0, v0
	s_waitcnt lgkmcnt(0)
	s_barrier
	s_and_saveexec_b64 s[0:1], vcc
	s_cbranch_execz .LBB516_29
; %bb.28:
	ds_read2_b64 v[10:13], v9 offset1:168
	s_waitcnt lgkmcnt(0)
	v_add_f64 v[7:8], v[12:13], v[10:11]
	ds_write_b64 v9, v[7:8]
.LBB516_29:
	s_or_b64 exec, exec, s[0:1]
	s_movk_i32 s0, 0x54
	v_cmp_gt_u32_e32 vcc, s0, v0
	s_waitcnt lgkmcnt(0)
	s_barrier
	s_and_saveexec_b64 s[0:1], vcc
	s_cbranch_execz .LBB516_31
; %bb.30:
	ds_read2_b64 v[10:13], v9 offset1:84
	s_waitcnt lgkmcnt(0)
	v_add_f64 v[7:8], v[12:13], v[10:11]
	ds_write_b64 v9, v[7:8]
.LBB516_31:
	s_or_b64 exec, exec, s[0:1]
	v_cmp_gt_u32_e32 vcc, 42, v0
	s_waitcnt lgkmcnt(0)
	s_barrier
	s_and_saveexec_b64 s[0:1], vcc
	s_cbranch_execz .LBB516_33
; %bb.32:
	ds_read2_b64 v[10:13], v9 offset1:42
	s_waitcnt lgkmcnt(0)
	v_add_f64 v[7:8], v[12:13], v[10:11]
	ds_write_b64 v9, v[7:8]
.LBB516_33:
	s_or_b64 exec, exec, s[0:1]
	v_cmp_gt_u32_e32 vcc, 21, v0
	s_waitcnt lgkmcnt(0)
	s_and_saveexec_b64 s[0:1], vcc
	s_cbranch_execz .LBB516_35
; %bb.34:
	ds_read2_b64 v[5:8], v9 offset1:21
	s_waitcnt lgkmcnt(0)
	v_add_f64 v[5:6], v[5:6], v[7:8]
.LBB516_35:
	s_or_b64 exec, exec, s[0:1]
	v_mov_b32_e32 v8, v6
	v_mov_b32_e32 v7, v5
.LBB516_36:
	v_cmp_gt_u32_e32 vcc, 21, v0
	s_and_b64 exec, exec, vcc
	s_cbranch_execz .LBB516_41
; %bb.37:
	v_cmp_eq_f64_e32 vcc, 0, v[1:2]
	v_mul_f64 v[3:4], v[3:4], v[7:8]
	s_mul_i32 s2, s7, 0xa8
	s_mul_hi_u32 s3, s6, 0xa8
	s_mul_i32 s4, s6, 0xa8
	s_and_saveexec_b64 s[0:1], vcc
	s_xor_b64 s[0:1], exec, s[0:1]
	s_cbranch_execz .LBB516_39
; %bb.38:
	s_add_i32 s5, s3, s2
	s_add_u32 s6, s12, s4
	s_addc_u32 s7, s13, s5
	global_store_dwordx2 v9, v[3:4], s[6:7]
                                        ; implicit-def: $vgpr9
                                        ; implicit-def: $vgpr1_vgpr2
                                        ; implicit-def: $vgpr3_vgpr4
.LBB516_39:
	s_andn2_saveexec_b64 s[0:1], s[0:1]
	s_cbranch_execz .LBB516_41
; %bb.40:
	s_add_i32 s3, s3, s2
	s_add_u32 s0, s12, s4
	s_addc_u32 s1, s13, s3
	global_load_dwordx2 v[5:6], v9, s[0:1]
	s_waitcnt vmcnt(0)
	v_fma_f64 v[0:1], v[1:2], v[5:6], v[3:4]
	global_store_dwordx2 v9, v[0:1], s[0:1]
.LBB516_41:
	s_endpgm
	.section	.rodata,"a",@progbits
	.p2align	6, 0x0
	.amdhsa_kernel _ZN9rocsparseL20bsrxmvn_17_32_kernelILj21EdllfddEEvT2_20rocsparse_direction_NS_24const_host_device_scalarIT0_EES1_PKS1_PKT1_SA_S7_PKT3_PKT4_S5_PT5_21rocsparse_index_base_b
		.amdhsa_group_segment_fixed_size 3528
		.amdhsa_private_segment_fixed_size 0
		.amdhsa_kernarg_size 104
		.amdhsa_user_sgpr_count 6
		.amdhsa_user_sgpr_private_segment_buffer 1
		.amdhsa_user_sgpr_dispatch_ptr 0
		.amdhsa_user_sgpr_queue_ptr 0
		.amdhsa_user_sgpr_kernarg_segment_ptr 1
		.amdhsa_user_sgpr_dispatch_id 0
		.amdhsa_user_sgpr_flat_scratch_init 0
		.amdhsa_user_sgpr_private_segment_size 0
		.amdhsa_uses_dynamic_stack 0
		.amdhsa_system_sgpr_private_segment_wavefront_offset 0
		.amdhsa_system_sgpr_workgroup_id_x 1
		.amdhsa_system_sgpr_workgroup_id_y 0
		.amdhsa_system_sgpr_workgroup_id_z 0
		.amdhsa_system_sgpr_workgroup_info 0
		.amdhsa_system_vgpr_workitem_id 0
		.amdhsa_next_free_vgpr 25
		.amdhsa_next_free_sgpr 61
		.amdhsa_reserve_vcc 1
		.amdhsa_reserve_flat_scratch 0
		.amdhsa_float_round_mode_32 0
		.amdhsa_float_round_mode_16_64 0
		.amdhsa_float_denorm_mode_32 3
		.amdhsa_float_denorm_mode_16_64 3
		.amdhsa_dx10_clamp 1
		.amdhsa_ieee_mode 1
		.amdhsa_fp16_overflow 0
		.amdhsa_exception_fp_ieee_invalid_op 0
		.amdhsa_exception_fp_denorm_src 0
		.amdhsa_exception_fp_ieee_div_zero 0
		.amdhsa_exception_fp_ieee_overflow 0
		.amdhsa_exception_fp_ieee_underflow 0
		.amdhsa_exception_fp_ieee_inexact 0
		.amdhsa_exception_int_div_zero 0
	.end_amdhsa_kernel
	.section	.text._ZN9rocsparseL20bsrxmvn_17_32_kernelILj21EdllfddEEvT2_20rocsparse_direction_NS_24const_host_device_scalarIT0_EES1_PKS1_PKT1_SA_S7_PKT3_PKT4_S5_PT5_21rocsparse_index_base_b,"axG",@progbits,_ZN9rocsparseL20bsrxmvn_17_32_kernelILj21EdllfddEEvT2_20rocsparse_direction_NS_24const_host_device_scalarIT0_EES1_PKS1_PKT1_SA_S7_PKT3_PKT4_S5_PT5_21rocsparse_index_base_b,comdat
.Lfunc_end516:
	.size	_ZN9rocsparseL20bsrxmvn_17_32_kernelILj21EdllfddEEvT2_20rocsparse_direction_NS_24const_host_device_scalarIT0_EES1_PKS1_PKT1_SA_S7_PKT3_PKT4_S5_PT5_21rocsparse_index_base_b, .Lfunc_end516-_ZN9rocsparseL20bsrxmvn_17_32_kernelILj21EdllfddEEvT2_20rocsparse_direction_NS_24const_host_device_scalarIT0_EES1_PKS1_PKT1_SA_S7_PKT3_PKT4_S5_PT5_21rocsparse_index_base_b
                                        ; -- End function
	.set _ZN9rocsparseL20bsrxmvn_17_32_kernelILj21EdllfddEEvT2_20rocsparse_direction_NS_24const_host_device_scalarIT0_EES1_PKS1_PKT1_SA_S7_PKT3_PKT4_S5_PT5_21rocsparse_index_base_b.num_vgpr, 21
	.set _ZN9rocsparseL20bsrxmvn_17_32_kernelILj21EdllfddEEvT2_20rocsparse_direction_NS_24const_host_device_scalarIT0_EES1_PKS1_PKT1_SA_S7_PKT3_PKT4_S5_PT5_21rocsparse_index_base_b.num_agpr, 0
	.set _ZN9rocsparseL20bsrxmvn_17_32_kernelILj21EdllfddEEvT2_20rocsparse_direction_NS_24const_host_device_scalarIT0_EES1_PKS1_PKT1_SA_S7_PKT3_PKT4_S5_PT5_21rocsparse_index_base_b.numbered_sgpr, 22
	.set _ZN9rocsparseL20bsrxmvn_17_32_kernelILj21EdllfddEEvT2_20rocsparse_direction_NS_24const_host_device_scalarIT0_EES1_PKS1_PKT1_SA_S7_PKT3_PKT4_S5_PT5_21rocsparse_index_base_b.num_named_barrier, 0
	.set _ZN9rocsparseL20bsrxmvn_17_32_kernelILj21EdllfddEEvT2_20rocsparse_direction_NS_24const_host_device_scalarIT0_EES1_PKS1_PKT1_SA_S7_PKT3_PKT4_S5_PT5_21rocsparse_index_base_b.private_seg_size, 0
	.set _ZN9rocsparseL20bsrxmvn_17_32_kernelILj21EdllfddEEvT2_20rocsparse_direction_NS_24const_host_device_scalarIT0_EES1_PKS1_PKT1_SA_S7_PKT3_PKT4_S5_PT5_21rocsparse_index_base_b.uses_vcc, 1
	.set _ZN9rocsparseL20bsrxmvn_17_32_kernelILj21EdllfddEEvT2_20rocsparse_direction_NS_24const_host_device_scalarIT0_EES1_PKS1_PKT1_SA_S7_PKT3_PKT4_S5_PT5_21rocsparse_index_base_b.uses_flat_scratch, 0
	.set _ZN9rocsparseL20bsrxmvn_17_32_kernelILj21EdllfddEEvT2_20rocsparse_direction_NS_24const_host_device_scalarIT0_EES1_PKS1_PKT1_SA_S7_PKT3_PKT4_S5_PT5_21rocsparse_index_base_b.has_dyn_sized_stack, 0
	.set _ZN9rocsparseL20bsrxmvn_17_32_kernelILj21EdllfddEEvT2_20rocsparse_direction_NS_24const_host_device_scalarIT0_EES1_PKS1_PKT1_SA_S7_PKT3_PKT4_S5_PT5_21rocsparse_index_base_b.has_recursion, 0
	.set _ZN9rocsparseL20bsrxmvn_17_32_kernelILj21EdllfddEEvT2_20rocsparse_direction_NS_24const_host_device_scalarIT0_EES1_PKS1_PKT1_SA_S7_PKT3_PKT4_S5_PT5_21rocsparse_index_base_b.has_indirect_call, 0
	.section	.AMDGPU.csdata,"",@progbits
; Kernel info:
; codeLenInByte = 1420
; TotalNumSgprs: 26
; NumVgprs: 21
; ScratchSize: 0
; MemoryBound: 0
; FloatMode: 240
; IeeeMode: 1
; LDSByteSize: 3528 bytes/workgroup (compile time only)
; SGPRBlocks: 8
; VGPRBlocks: 6
; NumSGPRsForWavesPerEU: 65
; NumVGPRsForWavesPerEU: 25
; Occupancy: 9
; WaveLimiterHint : 1
; COMPUTE_PGM_RSRC2:SCRATCH_EN: 0
; COMPUTE_PGM_RSRC2:USER_SGPR: 6
; COMPUTE_PGM_RSRC2:TRAP_HANDLER: 0
; COMPUTE_PGM_RSRC2:TGID_X_EN: 1
; COMPUTE_PGM_RSRC2:TGID_Y_EN: 0
; COMPUTE_PGM_RSRC2:TGID_Z_EN: 0
; COMPUTE_PGM_RSRC2:TIDIG_COMP_CNT: 0
	.section	.text._ZN9rocsparseL20bsrxmvn_17_32_kernelILj22EdllfddEEvT2_20rocsparse_direction_NS_24const_host_device_scalarIT0_EES1_PKS1_PKT1_SA_S7_PKT3_PKT4_S5_PT5_21rocsparse_index_base_b,"axG",@progbits,_ZN9rocsparseL20bsrxmvn_17_32_kernelILj22EdllfddEEvT2_20rocsparse_direction_NS_24const_host_device_scalarIT0_EES1_PKS1_PKT1_SA_S7_PKT3_PKT4_S5_PT5_21rocsparse_index_base_b,comdat
	.globl	_ZN9rocsparseL20bsrxmvn_17_32_kernelILj22EdllfddEEvT2_20rocsparse_direction_NS_24const_host_device_scalarIT0_EES1_PKS1_PKT1_SA_S7_PKT3_PKT4_S5_PT5_21rocsparse_index_base_b ; -- Begin function _ZN9rocsparseL20bsrxmvn_17_32_kernelILj22EdllfddEEvT2_20rocsparse_direction_NS_24const_host_device_scalarIT0_EES1_PKS1_PKT1_SA_S7_PKT3_PKT4_S5_PT5_21rocsparse_index_base_b
	.p2align	8
	.type	_ZN9rocsparseL20bsrxmvn_17_32_kernelILj22EdllfddEEvT2_20rocsparse_direction_NS_24const_host_device_scalarIT0_EES1_PKS1_PKT1_SA_S7_PKT3_PKT4_S5_PT5_21rocsparse_index_base_b,@function
_ZN9rocsparseL20bsrxmvn_17_32_kernelILj22EdllfddEEvT2_20rocsparse_direction_NS_24const_host_device_scalarIT0_EES1_PKS1_PKT1_SA_S7_PKT3_PKT4_S5_PT5_21rocsparse_index_base_b: ; @_ZN9rocsparseL20bsrxmvn_17_32_kernelILj22EdllfddEEvT2_20rocsparse_direction_NS_24const_host_device_scalarIT0_EES1_PKS1_PKT1_SA_S7_PKT3_PKT4_S5_PT5_21rocsparse_index_base_b
; %bb.0:
	s_load_dwordx2 s[14:15], s[4:5], 0x60
	s_load_dwordx2 s[8:9], s[4:5], 0x10
	;; [unrolled: 1-line block ×3, first 2 shown]
	s_waitcnt lgkmcnt(0)
	s_bitcmp1_b32 s15, 0
	s_cselect_b64 s[10:11], -1, 0
	v_mov_b32_e32 v3, s8
	s_xor_b64 s[2:3], s[10:11], -1
	s_and_b64 vcc, exec, s[10:11]
	v_mov_b32_e32 v4, s9
	s_cbranch_vccnz .LBB517_2
; %bb.1:
	v_mov_b32_e32 v1, s8
	v_mov_b32_e32 v2, s9
	flat_load_dwordx2 v[3:4], v[1:2]
.LBB517_2:
	v_mov_b32_e32 v2, s1
	s_andn2_b64 vcc, exec, s[2:3]
	v_mov_b32_e32 v1, s0
	s_cbranch_vccnz .LBB517_4
; %bb.3:
	v_mov_b32_e32 v2, s1
	v_mov_b32_e32 v1, s0
	flat_load_dwordx2 v[1:2], v[1:2]
.LBB517_4:
	s_waitcnt vmcnt(0) lgkmcnt(0)
	v_cmp_neq_f64_e32 vcc, 0, v[3:4]
	v_cmp_neq_f64_e64 s[0:1], 1.0, v[1:2]
	s_or_b64 s[0:1], vcc, s[0:1]
	s_and_saveexec_b64 s[2:3], s[0:1]
	s_cbranch_execz .LBB517_41
; %bb.5:
	s_load_dwordx4 s[0:3], s[4:5], 0x20
	s_load_dwordx2 s[8:9], s[4:5], 0x30
	s_mov_b32 s7, 0
	s_waitcnt lgkmcnt(0)
	s_cmp_eq_u64 s[0:1], 0
	s_cbranch_scc1 .LBB517_7
; %bb.6:
	s_lshl_b64 s[6:7], s[6:7], 3
	s_add_u32 s0, s0, s6
	s_addc_u32 s1, s1, s7
	s_load_dwordx2 s[0:1], s[0:1], 0x0
	s_waitcnt lgkmcnt(0)
	s_sub_u32 s6, s0, s14
	s_subb_u32 s7, s1, 0
.LBB517_7:
	s_load_dword s10, s[4:5], 0x8
	s_load_dwordx2 s[12:13], s[4:5], 0x58
	v_mul_u32_u24_e32 v7, 0xba3, v0
	v_mov_b32_e32 v8, 22
	v_mul_lo_u16_sdwa v5, v7, v8 dst_sel:DWORD dst_unused:UNUSED_PAD src0_sel:WORD_1 src1_sel:DWORD
	s_waitcnt lgkmcnt(0)
	s_cmp_eq_u32 s10, 1
	s_cselect_b64 s[0:1], -1, 0
	s_cmp_lg_u32 s10, 1
	s_cselect_b64 s[16:17], -1, 0
	s_lshl_b64 s[10:11], s[6:7], 3
	s_add_u32 s20, s2, s10
	s_addc_u32 s21, s3, s11
	s_add_u32 s2, s20, 8
	s_addc_u32 s3, s21, 0
	;; [unrolled: 2-line block ×3, first 2 shown]
	s_cmp_eq_u64 s[8:9], 0
	s_cselect_b32 s9, s3, s11
	s_cselect_b32 s8, s2, s10
	s_load_dwordx2 s[2:3], s[8:9], 0x0
	s_load_dwordx2 s[18:19], s[20:21], 0x0
	v_sub_u16_e32 v15, v0, v5
	s_waitcnt lgkmcnt(0)
	v_mov_b32_e32 v6, s3
	v_mov_b32_e32 v5, s2
	v_cmp_ge_i64_e32 vcc, s[18:19], v[5:6]
	v_mov_b32_e32 v5, 0
	v_mov_b32_e32 v6, 0
	s_cbranch_vccnz .LBB517_12
; %bb.8:
	v_mov_b32_e32 v5, 12
	v_mul_lo_u16_sdwa v5, v7, v5 dst_sel:DWORD dst_unused:UNUSED_PAD src0_sel:WORD_1 src1_sel:DWORD
	s_load_dwordx4 s[8:11], s[4:5], 0x38
	s_load_dwordx2 s[20:21], s[4:5], 0x48
	v_mul_lo_u16_sdwa v5, v5, v8 dst_sel:DWORD dst_unused:UNUSED_PAD src0_sel:BYTE_1 src1_sel:DWORD
	s_sub_u32 s2, s2, s14
	v_sub_u16_sdwa v5, v7, v5 dst_sel:DWORD dst_unused:UNUSED_PAD src0_sel:WORD_1 src1_sel:DWORD
	s_subb_u32 s3, s3, 0
	v_and_b32_e32 v5, 0xff, v5
	s_sub_u32 s4, s18, s14
	v_cndmask_b32_e64 v5, v15, v5, s[0:1]
	s_subb_u32 s5, s19, 0
	v_lshlrev_b32_e32 v5, 3, v5
	s_mul_i32 s0, s5, 0x790
	s_mul_hi_u32 s1, s4, 0x790
	s_waitcnt lgkmcnt(0)
	v_mov_b32_e32 v6, s21
	v_add_co_u32_e32 v7, vcc, s20, v5
	s_add_i32 s1, s1, s0
	s_mul_i32 s0, s4, 0x790
	v_addc_co_u32_e32 v8, vcc, 0, v6, vcc
	s_add_u32 s0, s10, s0
	v_lshlrev_b32_e32 v5, 2, v0
	s_addc_u32 s1, s11, s1
	v_add_co_u32_e32 v9, vcc, s0, v5
	s_movk_i32 s0, 0x10f
	v_mov_b32_e32 v6, s1
	v_mul_u32_u24_sdwa v5, v0, s0 dst_sel:DWORD dst_unused:UNUSED_PAD src0_sel:WORD_0 src1_sel:DWORD
	v_addc_co_u32_e32 v10, vcc, 0, v6, vcc
	v_lshrrev_b32_e32 v16, 17, v5
	v_mov_b32_e32 v5, s19
	v_add_co_u32_e32 v6, vcc, s18, v16
	v_addc_co_u32_e32 v11, vcc, 0, v5, vcc
	v_subrev_co_u32_e32 v5, vcc, s14, v6
	v_subbrev_co_u32_e32 v6, vcc, 0, v11, vcc
	v_lshlrev_b64 v[5:6], 3, v[5:6]
	v_mov_b32_e32 v12, s9
	v_add_co_u32_e32 v11, vcc, s8, v5
	v_addc_co_u32_e32 v12, vcc, v12, v6, vcc
	v_mov_b32_e32 v5, 0
	v_mov_b32_e32 v14, s3
	v_mov_b32_e32 v6, 0
	s_movk_i32 s8, 0xb0
	v_mov_b32_e32 v13, s2
	s_branch .LBB517_10
.LBB517_9:                              ;   in Loop: Header=BB517_10 Depth=1
	s_or_b64 exec, exec, s[0:1]
	s_add_u32 s4, s4, 1
	s_addc_u32 s5, s5, 0
	v_cmp_lt_i64_e32 vcc, s[4:5], v[13:14]
	v_add_co_u32_e64 v11, s[0:1], 8, v11
	v_addc_co_u32_e64 v12, s[0:1], 0, v12, s[0:1]
	s_cbranch_vccz .LBB517_12
.LBB517_10:                             ; =>This Inner Loop Header: Depth=1
	v_mov_b32_e32 v18, s5
	v_add_co_u32_e32 v17, vcc, s4, v16
	v_addc_co_u32_e32 v18, vcc, 0, v18, vcc
	v_cmp_gt_i64_e32 vcc, s[2:3], v[17:18]
	s_and_saveexec_b64 s[0:1], vcc
	s_cbranch_execz .LBB517_9
; %bb.11:                               ;   in Loop: Header=BB517_10 Depth=1
	global_load_dwordx2 v[17:18], v[11:12], off
	s_waitcnt vmcnt(0)
	v_subrev_co_u32_e32 v17, vcc, s14, v17
	v_subbrev_co_u32_e32 v19, vcc, 0, v18, vcc
	v_mad_u64_u32 v[17:18], s[10:11], v17, s8, v[7:8]
	v_mad_u64_u32 v[18:19], s[10:11], v19, s8, v[18:19]
	global_load_dword v19, v[9:10], off
	s_nop 0
	global_load_dwordx2 v[17:18], v[17:18], off
	v_add_co_u32_e32 v9, vcc, 0x790, v9
	v_addc_co_u32_e32 v10, vcc, 0, v10, vcc
	s_waitcnt vmcnt(1)
	v_cvt_f64_f32_e32 v[19:20], v19
	s_waitcnt vmcnt(0)
	v_fma_f64 v[5:6], v[19:20], v[17:18], v[5:6]
	s_branch .LBB517_9
.LBB517_12:
	v_lshlrev_b32_e32 v9, 3, v0
	s_and_b64 vcc, exec, s[16:17]
	ds_write_b64 v9, v[5:6]
	s_waitcnt lgkmcnt(0)
	s_barrier
	s_cbranch_vccz .LBB517_24
; %bb.13:
	v_cmp_gt_u16_e32 vcc, 6, v15
	s_and_saveexec_b64 s[0:1], vcc
	s_cbranch_execz .LBB517_15
; %bb.14:
	ds_read2_b64 v[10:13], v9 offset1:16
	s_waitcnt lgkmcnt(0)
	v_add_f64 v[7:8], v[12:13], v[10:11]
	ds_write_b64 v9, v[7:8]
.LBB517_15:
	s_or_b64 exec, exec, s[0:1]
	v_cmp_gt_u16_e32 vcc, 8, v15
	s_waitcnt lgkmcnt(0)
	s_barrier
	s_and_saveexec_b64 s[0:1], vcc
	s_cbranch_execz .LBB517_17
; %bb.16:
	ds_read2_b64 v[10:13], v9 offset1:8
	s_waitcnt lgkmcnt(0)
	v_add_f64 v[7:8], v[12:13], v[10:11]
	ds_write_b64 v9, v[7:8]
.LBB517_17:
	s_or_b64 exec, exec, s[0:1]
	v_cmp_gt_u16_e32 vcc, 4, v15
	s_waitcnt lgkmcnt(0)
	s_barrier
	;; [unrolled: 12-line block ×3, first 2 shown]
	s_and_saveexec_b64 s[0:1], vcc
	s_cbranch_execz .LBB517_21
; %bb.20:
	ds_read2_b64 v[10:13], v9 offset1:2
	s_waitcnt lgkmcnt(0)
	v_add_f64 v[7:8], v[12:13], v[10:11]
	ds_write_b64 v9, v[7:8]
.LBB517_21:
	s_or_b64 exec, exec, s[0:1]
	v_mov_b32_e32 v8, v6
	v_cmp_gt_u32_e32 vcc, 22, v0
	v_mov_b32_e32 v7, v5
	s_waitcnt lgkmcnt(0)
	s_barrier
	s_and_saveexec_b64 s[0:1], vcc
	s_cbranch_execz .LBB517_23
; %bb.22:
	s_movk_i32 s2, 0xa8
	v_mad_u32_u24 v7, v0, s2, v9
	ds_read_b128 v[10:13], v7
	s_waitcnt lgkmcnt(0)
	v_add_f64 v[7:8], v[10:11], v[12:13]
.LBB517_23:
	s_or_b64 exec, exec, s[0:1]
	s_branch .LBB517_36
.LBB517_24:
                                        ; implicit-def: $vgpr7_vgpr8
	s_cbranch_execz .LBB517_36
; %bb.25:
	s_movk_i32 s0, 0x84
	v_cmp_gt_u32_e32 vcc, s0, v0
	s_and_saveexec_b64 s[0:1], vcc
	s_cbranch_execz .LBB517_27
; %bb.26:
	ds_read_b64 v[7:8], v9 offset:2816
	ds_read_b64 v[10:11], v9
	s_waitcnt lgkmcnt(0)
	v_add_f64 v[7:8], v[7:8], v[10:11]
	ds_write_b64 v9, v[7:8]
.LBB517_27:
	s_or_b64 exec, exec, s[0:1]
	s_movk_i32 s0, 0xb0
	v_cmp_gt_u32_e32 vcc, s0, v0
	s_waitcnt lgkmcnt(0)
	s_barrier
	s_and_saveexec_b64 s[0:1], vcc
	s_cbranch_execz .LBB517_29
; %bb.28:
	ds_read2_b64 v[10:13], v9 offset1:176
	s_waitcnt lgkmcnt(0)
	v_add_f64 v[7:8], v[12:13], v[10:11]
	ds_write_b64 v9, v[7:8]
.LBB517_29:
	s_or_b64 exec, exec, s[0:1]
	s_movk_i32 s0, 0x58
	v_cmp_gt_u32_e32 vcc, s0, v0
	s_waitcnt lgkmcnt(0)
	s_barrier
	s_and_saveexec_b64 s[0:1], vcc
	s_cbranch_execz .LBB517_31
; %bb.30:
	ds_read2_b64 v[10:13], v9 offset1:88
	s_waitcnt lgkmcnt(0)
	v_add_f64 v[7:8], v[12:13], v[10:11]
	ds_write_b64 v9, v[7:8]
.LBB517_31:
	s_or_b64 exec, exec, s[0:1]
	v_cmp_gt_u32_e32 vcc, 44, v0
	s_waitcnt lgkmcnt(0)
	s_barrier
	s_and_saveexec_b64 s[0:1], vcc
	s_cbranch_execz .LBB517_33
; %bb.32:
	ds_read2_b64 v[10:13], v9 offset1:44
	s_waitcnt lgkmcnt(0)
	v_add_f64 v[7:8], v[12:13], v[10:11]
	ds_write_b64 v9, v[7:8]
.LBB517_33:
	s_or_b64 exec, exec, s[0:1]
	v_cmp_gt_u32_e32 vcc, 22, v0
	s_waitcnt lgkmcnt(0)
	s_and_saveexec_b64 s[0:1], vcc
	s_cbranch_execz .LBB517_35
; %bb.34:
	ds_read2_b64 v[5:8], v9 offset1:22
	s_waitcnt lgkmcnt(0)
	v_add_f64 v[5:6], v[5:6], v[7:8]
.LBB517_35:
	s_or_b64 exec, exec, s[0:1]
	v_mov_b32_e32 v8, v6
	v_mov_b32_e32 v7, v5
.LBB517_36:
	v_cmp_gt_u32_e32 vcc, 22, v0
	s_and_b64 exec, exec, vcc
	s_cbranch_execz .LBB517_41
; %bb.37:
	v_cmp_eq_f64_e32 vcc, 0, v[1:2]
	v_mul_f64 v[3:4], v[3:4], v[7:8]
	s_mul_i32 s2, s7, 0xb0
	s_mul_hi_u32 s3, s6, 0xb0
	s_mul_i32 s4, s6, 0xb0
	s_and_saveexec_b64 s[0:1], vcc
	s_xor_b64 s[0:1], exec, s[0:1]
	s_cbranch_execz .LBB517_39
; %bb.38:
	s_add_i32 s5, s3, s2
	s_add_u32 s6, s12, s4
	s_addc_u32 s7, s13, s5
	global_store_dwordx2 v9, v[3:4], s[6:7]
                                        ; implicit-def: $vgpr9
                                        ; implicit-def: $vgpr1_vgpr2
                                        ; implicit-def: $vgpr3_vgpr4
.LBB517_39:
	s_andn2_saveexec_b64 s[0:1], s[0:1]
	s_cbranch_execz .LBB517_41
; %bb.40:
	s_add_i32 s3, s3, s2
	s_add_u32 s0, s12, s4
	s_addc_u32 s1, s13, s3
	global_load_dwordx2 v[5:6], v9, s[0:1]
	s_waitcnt vmcnt(0)
	v_fma_f64 v[0:1], v[1:2], v[5:6], v[3:4]
	global_store_dwordx2 v9, v[0:1], s[0:1]
.LBB517_41:
	s_endpgm
	.section	.rodata,"a",@progbits
	.p2align	6, 0x0
	.amdhsa_kernel _ZN9rocsparseL20bsrxmvn_17_32_kernelILj22EdllfddEEvT2_20rocsparse_direction_NS_24const_host_device_scalarIT0_EES1_PKS1_PKT1_SA_S7_PKT3_PKT4_S5_PT5_21rocsparse_index_base_b
		.amdhsa_group_segment_fixed_size 3872
		.amdhsa_private_segment_fixed_size 0
		.amdhsa_kernarg_size 104
		.amdhsa_user_sgpr_count 6
		.amdhsa_user_sgpr_private_segment_buffer 1
		.amdhsa_user_sgpr_dispatch_ptr 0
		.amdhsa_user_sgpr_queue_ptr 0
		.amdhsa_user_sgpr_kernarg_segment_ptr 1
		.amdhsa_user_sgpr_dispatch_id 0
		.amdhsa_user_sgpr_flat_scratch_init 0
		.amdhsa_user_sgpr_private_segment_size 0
		.amdhsa_uses_dynamic_stack 0
		.amdhsa_system_sgpr_private_segment_wavefront_offset 0
		.amdhsa_system_sgpr_workgroup_id_x 1
		.amdhsa_system_sgpr_workgroup_id_y 0
		.amdhsa_system_sgpr_workgroup_id_z 0
		.amdhsa_system_sgpr_workgroup_info 0
		.amdhsa_system_vgpr_workitem_id 0
		.amdhsa_next_free_vgpr 21
		.amdhsa_next_free_sgpr 22
		.amdhsa_reserve_vcc 1
		.amdhsa_reserve_flat_scratch 0
		.amdhsa_float_round_mode_32 0
		.amdhsa_float_round_mode_16_64 0
		.amdhsa_float_denorm_mode_32 3
		.amdhsa_float_denorm_mode_16_64 3
		.amdhsa_dx10_clamp 1
		.amdhsa_ieee_mode 1
		.amdhsa_fp16_overflow 0
		.amdhsa_exception_fp_ieee_invalid_op 0
		.amdhsa_exception_fp_denorm_src 0
		.amdhsa_exception_fp_ieee_div_zero 0
		.amdhsa_exception_fp_ieee_overflow 0
		.amdhsa_exception_fp_ieee_underflow 0
		.amdhsa_exception_fp_ieee_inexact 0
		.amdhsa_exception_int_div_zero 0
	.end_amdhsa_kernel
	.section	.text._ZN9rocsparseL20bsrxmvn_17_32_kernelILj22EdllfddEEvT2_20rocsparse_direction_NS_24const_host_device_scalarIT0_EES1_PKS1_PKT1_SA_S7_PKT3_PKT4_S5_PT5_21rocsparse_index_base_b,"axG",@progbits,_ZN9rocsparseL20bsrxmvn_17_32_kernelILj22EdllfddEEvT2_20rocsparse_direction_NS_24const_host_device_scalarIT0_EES1_PKS1_PKT1_SA_S7_PKT3_PKT4_S5_PT5_21rocsparse_index_base_b,comdat
.Lfunc_end517:
	.size	_ZN9rocsparseL20bsrxmvn_17_32_kernelILj22EdllfddEEvT2_20rocsparse_direction_NS_24const_host_device_scalarIT0_EES1_PKS1_PKT1_SA_S7_PKT3_PKT4_S5_PT5_21rocsparse_index_base_b, .Lfunc_end517-_ZN9rocsparseL20bsrxmvn_17_32_kernelILj22EdllfddEEvT2_20rocsparse_direction_NS_24const_host_device_scalarIT0_EES1_PKS1_PKT1_SA_S7_PKT3_PKT4_S5_PT5_21rocsparse_index_base_b
                                        ; -- End function
	.set _ZN9rocsparseL20bsrxmvn_17_32_kernelILj22EdllfddEEvT2_20rocsparse_direction_NS_24const_host_device_scalarIT0_EES1_PKS1_PKT1_SA_S7_PKT3_PKT4_S5_PT5_21rocsparse_index_base_b.num_vgpr, 21
	.set _ZN9rocsparseL20bsrxmvn_17_32_kernelILj22EdllfddEEvT2_20rocsparse_direction_NS_24const_host_device_scalarIT0_EES1_PKS1_PKT1_SA_S7_PKT3_PKT4_S5_PT5_21rocsparse_index_base_b.num_agpr, 0
	.set _ZN9rocsparseL20bsrxmvn_17_32_kernelILj22EdllfddEEvT2_20rocsparse_direction_NS_24const_host_device_scalarIT0_EES1_PKS1_PKT1_SA_S7_PKT3_PKT4_S5_PT5_21rocsparse_index_base_b.numbered_sgpr, 22
	.set _ZN9rocsparseL20bsrxmvn_17_32_kernelILj22EdllfddEEvT2_20rocsparse_direction_NS_24const_host_device_scalarIT0_EES1_PKS1_PKT1_SA_S7_PKT3_PKT4_S5_PT5_21rocsparse_index_base_b.num_named_barrier, 0
	.set _ZN9rocsparseL20bsrxmvn_17_32_kernelILj22EdllfddEEvT2_20rocsparse_direction_NS_24const_host_device_scalarIT0_EES1_PKS1_PKT1_SA_S7_PKT3_PKT4_S5_PT5_21rocsparse_index_base_b.private_seg_size, 0
	.set _ZN9rocsparseL20bsrxmvn_17_32_kernelILj22EdllfddEEvT2_20rocsparse_direction_NS_24const_host_device_scalarIT0_EES1_PKS1_PKT1_SA_S7_PKT3_PKT4_S5_PT5_21rocsparse_index_base_b.uses_vcc, 1
	.set _ZN9rocsparseL20bsrxmvn_17_32_kernelILj22EdllfddEEvT2_20rocsparse_direction_NS_24const_host_device_scalarIT0_EES1_PKS1_PKT1_SA_S7_PKT3_PKT4_S5_PT5_21rocsparse_index_base_b.uses_flat_scratch, 0
	.set _ZN9rocsparseL20bsrxmvn_17_32_kernelILj22EdllfddEEvT2_20rocsparse_direction_NS_24const_host_device_scalarIT0_EES1_PKS1_PKT1_SA_S7_PKT3_PKT4_S5_PT5_21rocsparse_index_base_b.has_dyn_sized_stack, 0
	.set _ZN9rocsparseL20bsrxmvn_17_32_kernelILj22EdllfddEEvT2_20rocsparse_direction_NS_24const_host_device_scalarIT0_EES1_PKS1_PKT1_SA_S7_PKT3_PKT4_S5_PT5_21rocsparse_index_base_b.has_recursion, 0
	.set _ZN9rocsparseL20bsrxmvn_17_32_kernelILj22EdllfddEEvT2_20rocsparse_direction_NS_24const_host_device_scalarIT0_EES1_PKS1_PKT1_SA_S7_PKT3_PKT4_S5_PT5_21rocsparse_index_base_b.has_indirect_call, 0
	.section	.AMDGPU.csdata,"",@progbits
; Kernel info:
; codeLenInByte = 1420
; TotalNumSgprs: 26
; NumVgprs: 21
; ScratchSize: 0
; MemoryBound: 0
; FloatMode: 240
; IeeeMode: 1
; LDSByteSize: 3872 bytes/workgroup (compile time only)
; SGPRBlocks: 3
; VGPRBlocks: 5
; NumSGPRsForWavesPerEU: 26
; NumVGPRsForWavesPerEU: 21
; Occupancy: 10
; WaveLimiterHint : 1
; COMPUTE_PGM_RSRC2:SCRATCH_EN: 0
; COMPUTE_PGM_RSRC2:USER_SGPR: 6
; COMPUTE_PGM_RSRC2:TRAP_HANDLER: 0
; COMPUTE_PGM_RSRC2:TGID_X_EN: 1
; COMPUTE_PGM_RSRC2:TGID_Y_EN: 0
; COMPUTE_PGM_RSRC2:TGID_Z_EN: 0
; COMPUTE_PGM_RSRC2:TIDIG_COMP_CNT: 0
	.section	.text._ZN9rocsparseL20bsrxmvn_17_32_kernelILj23EdllfddEEvT2_20rocsparse_direction_NS_24const_host_device_scalarIT0_EES1_PKS1_PKT1_SA_S7_PKT3_PKT4_S5_PT5_21rocsparse_index_base_b,"axG",@progbits,_ZN9rocsparseL20bsrxmvn_17_32_kernelILj23EdllfddEEvT2_20rocsparse_direction_NS_24const_host_device_scalarIT0_EES1_PKS1_PKT1_SA_S7_PKT3_PKT4_S5_PT5_21rocsparse_index_base_b,comdat
	.globl	_ZN9rocsparseL20bsrxmvn_17_32_kernelILj23EdllfddEEvT2_20rocsparse_direction_NS_24const_host_device_scalarIT0_EES1_PKS1_PKT1_SA_S7_PKT3_PKT4_S5_PT5_21rocsparse_index_base_b ; -- Begin function _ZN9rocsparseL20bsrxmvn_17_32_kernelILj23EdllfddEEvT2_20rocsparse_direction_NS_24const_host_device_scalarIT0_EES1_PKS1_PKT1_SA_S7_PKT3_PKT4_S5_PT5_21rocsparse_index_base_b
	.p2align	8
	.type	_ZN9rocsparseL20bsrxmvn_17_32_kernelILj23EdllfddEEvT2_20rocsparse_direction_NS_24const_host_device_scalarIT0_EES1_PKS1_PKT1_SA_S7_PKT3_PKT4_S5_PT5_21rocsparse_index_base_b,@function
_ZN9rocsparseL20bsrxmvn_17_32_kernelILj23EdllfddEEvT2_20rocsparse_direction_NS_24const_host_device_scalarIT0_EES1_PKS1_PKT1_SA_S7_PKT3_PKT4_S5_PT5_21rocsparse_index_base_b: ; @_ZN9rocsparseL20bsrxmvn_17_32_kernelILj23EdllfddEEvT2_20rocsparse_direction_NS_24const_host_device_scalarIT0_EES1_PKS1_PKT1_SA_S7_PKT3_PKT4_S5_PT5_21rocsparse_index_base_b
; %bb.0:
	s_load_dwordx2 s[14:15], s[4:5], 0x60
	s_load_dwordx2 s[8:9], s[4:5], 0x10
	;; [unrolled: 1-line block ×3, first 2 shown]
	s_waitcnt lgkmcnt(0)
	s_bitcmp1_b32 s15, 0
	s_cselect_b64 s[10:11], -1, 0
	v_mov_b32_e32 v3, s8
	s_xor_b64 s[2:3], s[10:11], -1
	s_and_b64 vcc, exec, s[10:11]
	v_mov_b32_e32 v4, s9
	s_cbranch_vccnz .LBB518_2
; %bb.1:
	v_mov_b32_e32 v1, s8
	v_mov_b32_e32 v2, s9
	flat_load_dwordx2 v[3:4], v[1:2]
.LBB518_2:
	v_mov_b32_e32 v2, s1
	s_andn2_b64 vcc, exec, s[2:3]
	v_mov_b32_e32 v1, s0
	s_cbranch_vccnz .LBB518_4
; %bb.3:
	v_mov_b32_e32 v2, s1
	v_mov_b32_e32 v1, s0
	flat_load_dwordx2 v[1:2], v[1:2]
.LBB518_4:
	s_waitcnt vmcnt(0) lgkmcnt(0)
	v_cmp_neq_f64_e32 vcc, 0, v[3:4]
	v_cmp_neq_f64_e64 s[0:1], 1.0, v[1:2]
	s_or_b64 s[0:1], vcc, s[0:1]
	s_and_saveexec_b64 s[2:3], s[0:1]
	s_cbranch_execz .LBB518_41
; %bb.5:
	s_load_dwordx4 s[0:3], s[4:5], 0x20
	s_load_dwordx2 s[8:9], s[4:5], 0x30
	s_mov_b32 s7, 0
	s_waitcnt lgkmcnt(0)
	s_cmp_eq_u64 s[0:1], 0
	s_cbranch_scc1 .LBB518_7
; %bb.6:
	s_lshl_b64 s[6:7], s[6:7], 3
	s_add_u32 s0, s0, s6
	s_addc_u32 s1, s1, s7
	s_load_dwordx2 s[0:1], s[0:1], 0x0
	s_waitcnt lgkmcnt(0)
	s_sub_u32 s6, s0, s14
	s_subb_u32 s7, s1, 0
.LBB518_7:
	s_load_dword s10, s[4:5], 0x8
	s_load_dwordx2 s[12:13], s[4:5], 0x58
	v_mul_u32_u24_e32 v8, 0xb22, v0
	v_mov_b32_e32 v5, 23
	v_mul_lo_u16_sdwa v5, v8, v5 dst_sel:DWORD dst_unused:UNUSED_PAD src0_sel:WORD_1 src1_sel:DWORD
	s_waitcnt lgkmcnt(0)
	s_cmp_eq_u32 s10, 1
	s_cselect_b64 s[0:1], -1, 0
	s_cmp_lg_u32 s10, 1
	s_cselect_b64 s[16:17], -1, 0
	s_lshl_b64 s[10:11], s[6:7], 3
	s_add_u32 s20, s2, s10
	s_addc_u32 s21, s3, s11
	s_add_u32 s2, s20, 8
	s_addc_u32 s3, s21, 0
	;; [unrolled: 2-line block ×3, first 2 shown]
	s_cmp_eq_u64 s[8:9], 0
	s_cselect_b32 s9, s3, s11
	s_cselect_b32 s8, s2, s10
	s_load_dwordx2 s[2:3], s[8:9], 0x0
	s_load_dwordx2 s[18:19], s[20:21], 0x0
	v_sub_u16_e32 v15, v0, v5
	v_mov_b32_e32 v7, 0
	s_waitcnt lgkmcnt(0)
	v_mov_b32_e32 v6, s3
	v_mov_b32_e32 v5, s2
	v_cmp_ge_i64_e32 vcc, s[18:19], v[5:6]
	v_mov_b32_e32 v5, 0
	v_mov_b32_e32 v6, 0
	s_cbranch_vccnz .LBB518_12
; %bb.8:
	s_load_dwordx4 s[8:11], s[4:5], 0x38
	s_load_dwordx2 s[20:21], s[4:5], 0x48
	s_mov_b32 s4, 0xffff
	s_movk_i32 s5, 0x211
	v_and_b32_sdwa v5, s4, v8 dst_sel:DWORD dst_unused:UNUSED_PAD src0_sel:DWORD src1_sel:WORD_1
	s_sub_u32 s2, s2, s14
	v_subrev_u32_e32 v6, 23, v5
	v_cmp_gt_u32_e32 vcc, s5, v0
	s_subb_u32 s3, s3, 0
	v_cndmask_b32_e32 v5, v6, v5, vcc
	s_sub_u32 s4, s18, s14
	v_cndmask_b32_e64 v6, v15, v5, s[0:1]
	s_subb_u32 s5, s19, 0
	v_lshlrev_b64 v[5:6], 3, v[6:7]
	s_mul_i32 s0, s5, 0x844
	s_mul_hi_u32 s1, s4, 0x844
	s_add_i32 s1, s1, s0
	s_mul_i32 s0, s4, 0x844
	s_waitcnt lgkmcnt(0)
	v_mov_b32_e32 v8, s21
	v_add_co_u32_e32 v7, vcc, s20, v5
	s_add_u32 s0, s10, s0
	v_addc_co_u32_e32 v8, vcc, v8, v6, vcc
	s_addc_u32 s1, s11, s1
	v_lshlrev_b32_e32 v5, 2, v0
	v_mov_b32_e32 v6, s1
	v_add_co_u32_e32 v9, vcc, s0, v5
	v_addc_co_u32_e32 v10, vcc, 0, v6, vcc
	s_movk_i32 s0, 0x210
	v_cmp_lt_u32_e32 vcc, s0, v0
	v_cndmask_b32_e64 v16, 0, 1, vcc
	v_mov_b32_e32 v5, s19
	v_add_co_u32_e32 v6, vcc, s18, v16
	v_addc_co_u32_e32 v11, vcc, 0, v5, vcc
	v_subrev_co_u32_e32 v5, vcc, s14, v6
	v_subbrev_co_u32_e32 v6, vcc, 0, v11, vcc
	v_lshlrev_b64 v[5:6], 3, v[5:6]
	v_mov_b32_e32 v12, s9
	v_add_co_u32_e32 v11, vcc, s8, v5
	v_addc_co_u32_e32 v12, vcc, v12, v6, vcc
	v_mov_b32_e32 v5, 0
	v_mov_b32_e32 v14, s3
	;; [unrolled: 1-line block ×3, first 2 shown]
	s_movk_i32 s8, 0xb8
	v_mov_b32_e32 v13, s2
	s_branch .LBB518_10
.LBB518_9:                              ;   in Loop: Header=BB518_10 Depth=1
	s_or_b64 exec, exec, s[0:1]
	s_add_u32 s4, s4, 1
	s_addc_u32 s5, s5, 0
	v_cmp_lt_i64_e32 vcc, s[4:5], v[13:14]
	v_add_co_u32_e64 v11, s[0:1], 8, v11
	v_addc_co_u32_e64 v12, s[0:1], 0, v12, s[0:1]
	s_cbranch_vccz .LBB518_12
.LBB518_10:                             ; =>This Inner Loop Header: Depth=1
	v_mov_b32_e32 v18, s5
	v_add_co_u32_e32 v17, vcc, s4, v16
	v_addc_co_u32_e32 v18, vcc, 0, v18, vcc
	v_cmp_gt_i64_e32 vcc, s[2:3], v[17:18]
	s_and_saveexec_b64 s[0:1], vcc
	s_cbranch_execz .LBB518_9
; %bb.11:                               ;   in Loop: Header=BB518_10 Depth=1
	global_load_dwordx2 v[17:18], v[11:12], off
	s_waitcnt vmcnt(0)
	v_subrev_co_u32_e32 v17, vcc, s14, v17
	v_subbrev_co_u32_e32 v19, vcc, 0, v18, vcc
	v_mad_u64_u32 v[17:18], s[10:11], v17, s8, v[7:8]
	v_mad_u64_u32 v[18:19], s[10:11], v19, s8, v[18:19]
	global_load_dword v19, v[9:10], off
	s_nop 0
	global_load_dwordx2 v[17:18], v[17:18], off
	v_add_co_u32_e32 v9, vcc, 0x844, v9
	v_addc_co_u32_e32 v10, vcc, 0, v10, vcc
	s_waitcnt vmcnt(1)
	v_cvt_f64_f32_e32 v[19:20], v19
	s_waitcnt vmcnt(0)
	v_fma_f64 v[5:6], v[19:20], v[17:18], v[5:6]
	s_branch .LBB518_9
.LBB518_12:
	v_lshlrev_b32_e32 v9, 3, v0
	s_and_b64 vcc, exec, s[16:17]
	ds_write_b64 v9, v[5:6]
	s_waitcnt lgkmcnt(0)
	s_barrier
	s_cbranch_vccz .LBB518_24
; %bb.13:
	v_cmp_gt_u16_e32 vcc, 7, v15
	s_and_saveexec_b64 s[0:1], vcc
	s_cbranch_execz .LBB518_15
; %bb.14:
	ds_read2_b64 v[10:13], v9 offset1:16
	s_waitcnt lgkmcnt(0)
	v_add_f64 v[7:8], v[12:13], v[10:11]
	ds_write_b64 v9, v[7:8]
.LBB518_15:
	s_or_b64 exec, exec, s[0:1]
	v_cmp_gt_u16_e32 vcc, 8, v15
	s_waitcnt lgkmcnt(0)
	s_barrier
	s_and_saveexec_b64 s[0:1], vcc
	s_cbranch_execz .LBB518_17
; %bb.16:
	ds_read2_b64 v[10:13], v9 offset1:8
	s_waitcnt lgkmcnt(0)
	v_add_f64 v[7:8], v[12:13], v[10:11]
	ds_write_b64 v9, v[7:8]
.LBB518_17:
	s_or_b64 exec, exec, s[0:1]
	v_cmp_gt_u16_e32 vcc, 4, v15
	s_waitcnt lgkmcnt(0)
	s_barrier
	s_and_saveexec_b64 s[0:1], vcc
	s_cbranch_execz .LBB518_19
; %bb.18:
	ds_read2_b64 v[10:13], v9 offset1:4
	s_waitcnt lgkmcnt(0)
	v_add_f64 v[7:8], v[12:13], v[10:11]
	ds_write_b64 v9, v[7:8]
.LBB518_19:
	s_or_b64 exec, exec, s[0:1]
	v_cmp_gt_u16_e32 vcc, 2, v15
	s_waitcnt lgkmcnt(0)
	s_barrier
	s_and_saveexec_b64 s[0:1], vcc
	s_cbranch_execz .LBB518_21
; %bb.20:
	ds_read2_b64 v[10:13], v9 offset1:2
	s_waitcnt lgkmcnt(0)
	v_add_f64 v[7:8], v[12:13], v[10:11]
	ds_write_b64 v9, v[7:8]
.LBB518_21:
	s_or_b64 exec, exec, s[0:1]
	v_mov_b32_e32 v8, v6
	v_cmp_gt_u32_e32 vcc, 23, v0
	v_mov_b32_e32 v7, v5
	s_waitcnt lgkmcnt(0)
	s_barrier
	s_and_saveexec_b64 s[0:1], vcc
	s_cbranch_execz .LBB518_23
; %bb.22:
	s_movk_i32 s2, 0xb0
	v_mad_u32_u24 v7, v0, s2, v9
	ds_read2_b64 v[10:13], v7 offset1:1
	s_waitcnt lgkmcnt(0)
	v_add_f64 v[7:8], v[10:11], v[12:13]
.LBB518_23:
	s_or_b64 exec, exec, s[0:1]
	s_branch .LBB518_36
.LBB518_24:
                                        ; implicit-def: $vgpr7_vgpr8
	s_cbranch_execz .LBB518_36
; %bb.25:
	s_movk_i32 s0, 0xa1
	v_cmp_gt_u32_e32 vcc, s0, v0
	s_and_saveexec_b64 s[0:1], vcc
	s_cbranch_execz .LBB518_27
; %bb.26:
	ds_read_b64 v[7:8], v9 offset:2944
	ds_read_b64 v[10:11], v9
	s_waitcnt lgkmcnt(0)
	v_add_f64 v[7:8], v[7:8], v[10:11]
	ds_write_b64 v9, v[7:8]
.LBB518_27:
	s_or_b64 exec, exec, s[0:1]
	s_movk_i32 s0, 0xb8
	v_cmp_gt_u32_e32 vcc, s0, v0
	s_waitcnt lgkmcnt(0)
	s_barrier
	s_and_saveexec_b64 s[0:1], vcc
	s_cbranch_execz .LBB518_29
; %bb.28:
	ds_read2_b64 v[10:13], v9 offset1:184
	s_waitcnt lgkmcnt(0)
	v_add_f64 v[7:8], v[12:13], v[10:11]
	ds_write_b64 v9, v[7:8]
.LBB518_29:
	s_or_b64 exec, exec, s[0:1]
	s_movk_i32 s0, 0x5c
	v_cmp_gt_u32_e32 vcc, s0, v0
	s_waitcnt lgkmcnt(0)
	s_barrier
	s_and_saveexec_b64 s[0:1], vcc
	s_cbranch_execz .LBB518_31
; %bb.30:
	ds_read2_b64 v[10:13], v9 offset1:92
	s_waitcnt lgkmcnt(0)
	v_add_f64 v[7:8], v[12:13], v[10:11]
	ds_write_b64 v9, v[7:8]
.LBB518_31:
	s_or_b64 exec, exec, s[0:1]
	v_cmp_gt_u32_e32 vcc, 46, v0
	s_waitcnt lgkmcnt(0)
	s_barrier
	s_and_saveexec_b64 s[0:1], vcc
	s_cbranch_execz .LBB518_33
; %bb.32:
	ds_read2_b64 v[10:13], v9 offset1:46
	s_waitcnt lgkmcnt(0)
	v_add_f64 v[7:8], v[12:13], v[10:11]
	ds_write_b64 v9, v[7:8]
.LBB518_33:
	s_or_b64 exec, exec, s[0:1]
	v_cmp_gt_u32_e32 vcc, 23, v0
	s_waitcnt lgkmcnt(0)
	s_and_saveexec_b64 s[0:1], vcc
	s_cbranch_execz .LBB518_35
; %bb.34:
	ds_read2_b64 v[5:8], v9 offset1:23
	s_waitcnt lgkmcnt(0)
	v_add_f64 v[5:6], v[5:6], v[7:8]
.LBB518_35:
	s_or_b64 exec, exec, s[0:1]
	v_mov_b32_e32 v8, v6
	v_mov_b32_e32 v7, v5
.LBB518_36:
	v_cmp_gt_u32_e32 vcc, 23, v0
	s_and_b64 exec, exec, vcc
	s_cbranch_execz .LBB518_41
; %bb.37:
	v_cmp_eq_f64_e32 vcc, 0, v[1:2]
	v_mul_f64 v[3:4], v[3:4], v[7:8]
	s_mul_i32 s2, s7, 0xb8
	s_mul_hi_u32 s3, s6, 0xb8
	s_mul_i32 s4, s6, 0xb8
	s_and_saveexec_b64 s[0:1], vcc
	s_xor_b64 s[0:1], exec, s[0:1]
	s_cbranch_execz .LBB518_39
; %bb.38:
	s_add_i32 s5, s3, s2
	s_add_u32 s6, s12, s4
	s_addc_u32 s7, s13, s5
	global_store_dwordx2 v9, v[3:4], s[6:7]
                                        ; implicit-def: $vgpr9
                                        ; implicit-def: $vgpr1_vgpr2
                                        ; implicit-def: $vgpr3_vgpr4
.LBB518_39:
	s_andn2_saveexec_b64 s[0:1], s[0:1]
	s_cbranch_execz .LBB518_41
; %bb.40:
	s_add_i32 s3, s3, s2
	s_add_u32 s0, s12, s4
	s_addc_u32 s1, s13, s3
	global_load_dwordx2 v[5:6], v9, s[0:1]
	s_waitcnt vmcnt(0)
	v_fma_f64 v[0:1], v[1:2], v[5:6], v[3:4]
	global_store_dwordx2 v9, v[0:1], s[0:1]
.LBB518_41:
	s_endpgm
	.section	.rodata,"a",@progbits
	.p2align	6, 0x0
	.amdhsa_kernel _ZN9rocsparseL20bsrxmvn_17_32_kernelILj23EdllfddEEvT2_20rocsparse_direction_NS_24const_host_device_scalarIT0_EES1_PKS1_PKT1_SA_S7_PKT3_PKT4_S5_PT5_21rocsparse_index_base_b
		.amdhsa_group_segment_fixed_size 4232
		.amdhsa_private_segment_fixed_size 0
		.amdhsa_kernarg_size 104
		.amdhsa_user_sgpr_count 6
		.amdhsa_user_sgpr_private_segment_buffer 1
		.amdhsa_user_sgpr_dispatch_ptr 0
		.amdhsa_user_sgpr_queue_ptr 0
		.amdhsa_user_sgpr_kernarg_segment_ptr 1
		.amdhsa_user_sgpr_dispatch_id 0
		.amdhsa_user_sgpr_flat_scratch_init 0
		.amdhsa_user_sgpr_private_segment_size 0
		.amdhsa_uses_dynamic_stack 0
		.amdhsa_system_sgpr_private_segment_wavefront_offset 0
		.amdhsa_system_sgpr_workgroup_id_x 1
		.amdhsa_system_sgpr_workgroup_id_y 0
		.amdhsa_system_sgpr_workgroup_id_z 0
		.amdhsa_system_sgpr_workgroup_info 0
		.amdhsa_system_vgpr_workitem_id 0
		.amdhsa_next_free_vgpr 25
		.amdhsa_next_free_sgpr 61
		.amdhsa_reserve_vcc 1
		.amdhsa_reserve_flat_scratch 0
		.amdhsa_float_round_mode_32 0
		.amdhsa_float_round_mode_16_64 0
		.amdhsa_float_denorm_mode_32 3
		.amdhsa_float_denorm_mode_16_64 3
		.amdhsa_dx10_clamp 1
		.amdhsa_ieee_mode 1
		.amdhsa_fp16_overflow 0
		.amdhsa_exception_fp_ieee_invalid_op 0
		.amdhsa_exception_fp_denorm_src 0
		.amdhsa_exception_fp_ieee_div_zero 0
		.amdhsa_exception_fp_ieee_overflow 0
		.amdhsa_exception_fp_ieee_underflow 0
		.amdhsa_exception_fp_ieee_inexact 0
		.amdhsa_exception_int_div_zero 0
	.end_amdhsa_kernel
	.section	.text._ZN9rocsparseL20bsrxmvn_17_32_kernelILj23EdllfddEEvT2_20rocsparse_direction_NS_24const_host_device_scalarIT0_EES1_PKS1_PKT1_SA_S7_PKT3_PKT4_S5_PT5_21rocsparse_index_base_b,"axG",@progbits,_ZN9rocsparseL20bsrxmvn_17_32_kernelILj23EdllfddEEvT2_20rocsparse_direction_NS_24const_host_device_scalarIT0_EES1_PKS1_PKT1_SA_S7_PKT3_PKT4_S5_PT5_21rocsparse_index_base_b,comdat
.Lfunc_end518:
	.size	_ZN9rocsparseL20bsrxmvn_17_32_kernelILj23EdllfddEEvT2_20rocsparse_direction_NS_24const_host_device_scalarIT0_EES1_PKS1_PKT1_SA_S7_PKT3_PKT4_S5_PT5_21rocsparse_index_base_b, .Lfunc_end518-_ZN9rocsparseL20bsrxmvn_17_32_kernelILj23EdllfddEEvT2_20rocsparse_direction_NS_24const_host_device_scalarIT0_EES1_PKS1_PKT1_SA_S7_PKT3_PKT4_S5_PT5_21rocsparse_index_base_b
                                        ; -- End function
	.set _ZN9rocsparseL20bsrxmvn_17_32_kernelILj23EdllfddEEvT2_20rocsparse_direction_NS_24const_host_device_scalarIT0_EES1_PKS1_PKT1_SA_S7_PKT3_PKT4_S5_PT5_21rocsparse_index_base_b.num_vgpr, 21
	.set _ZN9rocsparseL20bsrxmvn_17_32_kernelILj23EdllfddEEvT2_20rocsparse_direction_NS_24const_host_device_scalarIT0_EES1_PKS1_PKT1_SA_S7_PKT3_PKT4_S5_PT5_21rocsparse_index_base_b.num_agpr, 0
	.set _ZN9rocsparseL20bsrxmvn_17_32_kernelILj23EdllfddEEvT2_20rocsparse_direction_NS_24const_host_device_scalarIT0_EES1_PKS1_PKT1_SA_S7_PKT3_PKT4_S5_PT5_21rocsparse_index_base_b.numbered_sgpr, 22
	.set _ZN9rocsparseL20bsrxmvn_17_32_kernelILj23EdllfddEEvT2_20rocsparse_direction_NS_24const_host_device_scalarIT0_EES1_PKS1_PKT1_SA_S7_PKT3_PKT4_S5_PT5_21rocsparse_index_base_b.num_named_barrier, 0
	.set _ZN9rocsparseL20bsrxmvn_17_32_kernelILj23EdllfddEEvT2_20rocsparse_direction_NS_24const_host_device_scalarIT0_EES1_PKS1_PKT1_SA_S7_PKT3_PKT4_S5_PT5_21rocsparse_index_base_b.private_seg_size, 0
	.set _ZN9rocsparseL20bsrxmvn_17_32_kernelILj23EdllfddEEvT2_20rocsparse_direction_NS_24const_host_device_scalarIT0_EES1_PKS1_PKT1_SA_S7_PKT3_PKT4_S5_PT5_21rocsparse_index_base_b.uses_vcc, 1
	.set _ZN9rocsparseL20bsrxmvn_17_32_kernelILj23EdllfddEEvT2_20rocsparse_direction_NS_24const_host_device_scalarIT0_EES1_PKS1_PKT1_SA_S7_PKT3_PKT4_S5_PT5_21rocsparse_index_base_b.uses_flat_scratch, 0
	.set _ZN9rocsparseL20bsrxmvn_17_32_kernelILj23EdllfddEEvT2_20rocsparse_direction_NS_24const_host_device_scalarIT0_EES1_PKS1_PKT1_SA_S7_PKT3_PKT4_S5_PT5_21rocsparse_index_base_b.has_dyn_sized_stack, 0
	.set _ZN9rocsparseL20bsrxmvn_17_32_kernelILj23EdllfddEEvT2_20rocsparse_direction_NS_24const_host_device_scalarIT0_EES1_PKS1_PKT1_SA_S7_PKT3_PKT4_S5_PT5_21rocsparse_index_base_b.has_recursion, 0
	.set _ZN9rocsparseL20bsrxmvn_17_32_kernelILj23EdllfddEEvT2_20rocsparse_direction_NS_24const_host_device_scalarIT0_EES1_PKS1_PKT1_SA_S7_PKT3_PKT4_S5_PT5_21rocsparse_index_base_b.has_indirect_call, 0
	.section	.AMDGPU.csdata,"",@progbits
; Kernel info:
; codeLenInByte = 1424
; TotalNumSgprs: 26
; NumVgprs: 21
; ScratchSize: 0
; MemoryBound: 0
; FloatMode: 240
; IeeeMode: 1
; LDSByteSize: 4232 bytes/workgroup (compile time only)
; SGPRBlocks: 8
; VGPRBlocks: 6
; NumSGPRsForWavesPerEU: 65
; NumVGPRsForWavesPerEU: 25
; Occupancy: 9
; WaveLimiterHint : 1
; COMPUTE_PGM_RSRC2:SCRATCH_EN: 0
; COMPUTE_PGM_RSRC2:USER_SGPR: 6
; COMPUTE_PGM_RSRC2:TRAP_HANDLER: 0
; COMPUTE_PGM_RSRC2:TGID_X_EN: 1
; COMPUTE_PGM_RSRC2:TGID_Y_EN: 0
; COMPUTE_PGM_RSRC2:TGID_Z_EN: 0
; COMPUTE_PGM_RSRC2:TIDIG_COMP_CNT: 0
	.section	.text._ZN9rocsparseL20bsrxmvn_17_32_kernelILj24EdllfddEEvT2_20rocsparse_direction_NS_24const_host_device_scalarIT0_EES1_PKS1_PKT1_SA_S7_PKT3_PKT4_S5_PT5_21rocsparse_index_base_b,"axG",@progbits,_ZN9rocsparseL20bsrxmvn_17_32_kernelILj24EdllfddEEvT2_20rocsparse_direction_NS_24const_host_device_scalarIT0_EES1_PKS1_PKT1_SA_S7_PKT3_PKT4_S5_PT5_21rocsparse_index_base_b,comdat
	.globl	_ZN9rocsparseL20bsrxmvn_17_32_kernelILj24EdllfddEEvT2_20rocsparse_direction_NS_24const_host_device_scalarIT0_EES1_PKS1_PKT1_SA_S7_PKT3_PKT4_S5_PT5_21rocsparse_index_base_b ; -- Begin function _ZN9rocsparseL20bsrxmvn_17_32_kernelILj24EdllfddEEvT2_20rocsparse_direction_NS_24const_host_device_scalarIT0_EES1_PKS1_PKT1_SA_S7_PKT3_PKT4_S5_PT5_21rocsparse_index_base_b
	.p2align	8
	.type	_ZN9rocsparseL20bsrxmvn_17_32_kernelILj24EdllfddEEvT2_20rocsparse_direction_NS_24const_host_device_scalarIT0_EES1_PKS1_PKT1_SA_S7_PKT3_PKT4_S5_PT5_21rocsparse_index_base_b,@function
_ZN9rocsparseL20bsrxmvn_17_32_kernelILj24EdllfddEEvT2_20rocsparse_direction_NS_24const_host_device_scalarIT0_EES1_PKS1_PKT1_SA_S7_PKT3_PKT4_S5_PT5_21rocsparse_index_base_b: ; @_ZN9rocsparseL20bsrxmvn_17_32_kernelILj24EdllfddEEvT2_20rocsparse_direction_NS_24const_host_device_scalarIT0_EES1_PKS1_PKT1_SA_S7_PKT3_PKT4_S5_PT5_21rocsparse_index_base_b
; %bb.0:
	s_load_dwordx2 s[14:15], s[4:5], 0x60
	s_load_dwordx2 s[8:9], s[4:5], 0x10
	;; [unrolled: 1-line block ×3, first 2 shown]
	s_waitcnt lgkmcnt(0)
	s_bitcmp1_b32 s15, 0
	s_cselect_b64 s[10:11], -1, 0
	v_mov_b32_e32 v3, s8
	s_xor_b64 s[2:3], s[10:11], -1
	s_and_b64 vcc, exec, s[10:11]
	v_mov_b32_e32 v4, s9
	s_cbranch_vccnz .LBB519_2
; %bb.1:
	v_mov_b32_e32 v1, s8
	v_mov_b32_e32 v2, s9
	flat_load_dwordx2 v[3:4], v[1:2]
.LBB519_2:
	v_mov_b32_e32 v2, s1
	s_andn2_b64 vcc, exec, s[2:3]
	v_mov_b32_e32 v1, s0
	s_cbranch_vccnz .LBB519_4
; %bb.3:
	v_mov_b32_e32 v2, s1
	v_mov_b32_e32 v1, s0
	flat_load_dwordx2 v[1:2], v[1:2]
.LBB519_4:
	s_waitcnt vmcnt(0) lgkmcnt(0)
	v_cmp_neq_f64_e32 vcc, 0, v[3:4]
	v_cmp_neq_f64_e64 s[0:1], 1.0, v[1:2]
	s_or_b64 s[0:1], vcc, s[0:1]
	s_and_saveexec_b64 s[2:3], s[0:1]
	s_cbranch_execz .LBB519_41
; %bb.5:
	s_load_dwordx4 s[0:3], s[4:5], 0x20
	s_load_dwordx2 s[8:9], s[4:5], 0x30
	s_mov_b32 s7, 0
	s_waitcnt lgkmcnt(0)
	s_cmp_eq_u64 s[0:1], 0
	s_cbranch_scc1 .LBB519_7
; %bb.6:
	s_lshl_b64 s[6:7], s[6:7], 3
	s_add_u32 s0, s0, s6
	s_addc_u32 s1, s1, s7
	s_load_dwordx2 s[0:1], s[0:1], 0x0
	s_waitcnt lgkmcnt(0)
	s_sub_u32 s6, s0, s14
	s_subb_u32 s7, s1, 0
.LBB519_7:
	s_load_dword s10, s[4:5], 0x8
	s_load_dwordx2 s[12:13], s[4:5], 0x58
	v_mul_u32_u24_e32 v8, 0xaab, v0
	v_mov_b32_e32 v5, 24
	v_mul_lo_u16_sdwa v5, v8, v5 dst_sel:DWORD dst_unused:UNUSED_PAD src0_sel:WORD_1 src1_sel:DWORD
	s_waitcnt lgkmcnt(0)
	s_cmp_eq_u32 s10, 1
	s_cselect_b64 s[0:1], -1, 0
	s_cmp_lg_u32 s10, 1
	s_cselect_b64 s[16:17], -1, 0
	s_lshl_b64 s[10:11], s[6:7], 3
	s_add_u32 s20, s2, s10
	s_addc_u32 s21, s3, s11
	s_add_u32 s2, s20, 8
	s_addc_u32 s3, s21, 0
	;; [unrolled: 2-line block ×3, first 2 shown]
	s_cmp_eq_u64 s[8:9], 0
	s_cselect_b32 s9, s3, s11
	s_cselect_b32 s8, s2, s10
	s_load_dwordx2 s[2:3], s[8:9], 0x0
	s_load_dwordx2 s[18:19], s[20:21], 0x0
	v_sub_u16_e32 v15, v0, v5
	v_mov_b32_e32 v7, 0
	s_waitcnt lgkmcnt(0)
	v_mov_b32_e32 v6, s3
	v_mov_b32_e32 v5, s2
	v_cmp_ge_i64_e32 vcc, s[18:19], v[5:6]
	v_mov_b32_e32 v5, 0
	v_mov_b32_e32 v6, 0
	s_cbranch_vccnz .LBB519_12
; %bb.8:
	s_load_dwordx4 s[8:11], s[4:5], 0x38
	s_load_dwordx2 s[20:21], s[4:5], 0x48
	s_mov_b32 s4, 0xffff
	s_movk_i32 s5, 0x240
	v_and_b32_sdwa v5, s4, v8 dst_sel:DWORD dst_unused:UNUSED_PAD src0_sel:DWORD src1_sel:WORD_1
	s_sub_u32 s2, s2, s14
	v_subrev_u32_e32 v6, 24, v5
	v_cmp_gt_u32_e32 vcc, s5, v0
	s_subb_u32 s3, s3, 0
	v_cndmask_b32_e32 v5, v6, v5, vcc
	s_sub_u32 s4, s18, s14
	v_cndmask_b32_e64 v6, v15, v5, s[0:1]
	s_subb_u32 s5, s19, 0
	v_lshlrev_b64 v[5:6], 3, v[6:7]
	s_mul_i32 s0, s5, 0x900
	s_mul_hi_u32 s1, s4, 0x900
	s_add_i32 s1, s1, s0
	s_mul_i32 s0, s4, 0x900
	s_waitcnt lgkmcnt(0)
	v_mov_b32_e32 v8, s21
	v_add_co_u32_e32 v7, vcc, s20, v5
	s_add_u32 s0, s10, s0
	v_addc_co_u32_e32 v8, vcc, v8, v6, vcc
	s_addc_u32 s1, s11, s1
	v_lshlrev_b32_e32 v5, 2, v0
	v_mov_b32_e32 v6, s1
	v_add_co_u32_e32 v9, vcc, s0, v5
	v_addc_co_u32_e32 v10, vcc, 0, v6, vcc
	s_movk_i32 s0, 0x23f
	v_cmp_lt_u32_e32 vcc, s0, v0
	v_cndmask_b32_e64 v16, 0, 1, vcc
	v_mov_b32_e32 v5, s19
	v_add_co_u32_e32 v6, vcc, s18, v16
	v_addc_co_u32_e32 v11, vcc, 0, v5, vcc
	v_subrev_co_u32_e32 v5, vcc, s14, v6
	v_subbrev_co_u32_e32 v6, vcc, 0, v11, vcc
	v_lshlrev_b64 v[5:6], 3, v[5:6]
	v_mov_b32_e32 v12, s9
	v_add_co_u32_e32 v11, vcc, s8, v5
	v_addc_co_u32_e32 v12, vcc, v12, v6, vcc
	v_mov_b32_e32 v5, 0
	v_mov_b32_e32 v14, s3
	;; [unrolled: 1-line block ×3, first 2 shown]
	s_movk_i32 s8, 0xc0
	v_mov_b32_e32 v13, s2
	s_branch .LBB519_10
.LBB519_9:                              ;   in Loop: Header=BB519_10 Depth=1
	s_or_b64 exec, exec, s[0:1]
	s_add_u32 s4, s4, 1
	s_addc_u32 s5, s5, 0
	v_cmp_lt_i64_e32 vcc, s[4:5], v[13:14]
	v_add_co_u32_e64 v11, s[0:1], 8, v11
	v_addc_co_u32_e64 v12, s[0:1], 0, v12, s[0:1]
	s_cbranch_vccz .LBB519_12
.LBB519_10:                             ; =>This Inner Loop Header: Depth=1
	v_mov_b32_e32 v18, s5
	v_add_co_u32_e32 v17, vcc, s4, v16
	v_addc_co_u32_e32 v18, vcc, 0, v18, vcc
	v_cmp_gt_i64_e32 vcc, s[2:3], v[17:18]
	s_and_saveexec_b64 s[0:1], vcc
	s_cbranch_execz .LBB519_9
; %bb.11:                               ;   in Loop: Header=BB519_10 Depth=1
	global_load_dwordx2 v[17:18], v[11:12], off
	s_waitcnt vmcnt(0)
	v_subrev_co_u32_e32 v17, vcc, s14, v17
	v_subbrev_co_u32_e32 v19, vcc, 0, v18, vcc
	v_mad_u64_u32 v[17:18], s[10:11], v17, s8, v[7:8]
	v_mad_u64_u32 v[18:19], s[10:11], v19, s8, v[18:19]
	global_load_dword v19, v[9:10], off
	s_nop 0
	global_load_dwordx2 v[17:18], v[17:18], off
	v_add_co_u32_e32 v9, vcc, 0x900, v9
	v_addc_co_u32_e32 v10, vcc, 0, v10, vcc
	s_waitcnt vmcnt(1)
	v_cvt_f64_f32_e32 v[19:20], v19
	s_waitcnt vmcnt(0)
	v_fma_f64 v[5:6], v[19:20], v[17:18], v[5:6]
	s_branch .LBB519_9
.LBB519_12:
	v_lshlrev_b32_e32 v9, 3, v0
	s_and_b64 vcc, exec, s[16:17]
	ds_write_b64 v9, v[5:6]
	s_waitcnt lgkmcnt(0)
	s_barrier
	s_cbranch_vccz .LBB519_24
; %bb.13:
	v_cmp_gt_u16_e32 vcc, 8, v15
	s_and_saveexec_b64 s[0:1], vcc
	s_cbranch_execz .LBB519_15
; %bb.14:
	ds_read2_b64 v[10:13], v9 offset1:16
	s_waitcnt lgkmcnt(0)
	v_add_f64 v[7:8], v[12:13], v[10:11]
	ds_write_b64 v9, v[7:8]
.LBB519_15:
	s_or_b64 exec, exec, s[0:1]
	s_waitcnt lgkmcnt(0)
	s_barrier
	s_and_saveexec_b64 s[0:1], vcc
	s_cbranch_execz .LBB519_17
; %bb.16:
	ds_read2_b64 v[10:13], v9 offset1:8
	s_waitcnt lgkmcnt(0)
	v_add_f64 v[7:8], v[12:13], v[10:11]
	ds_write_b64 v9, v[7:8]
.LBB519_17:
	s_or_b64 exec, exec, s[0:1]
	v_cmp_gt_u16_e32 vcc, 4, v15
	s_waitcnt lgkmcnt(0)
	s_barrier
	s_and_saveexec_b64 s[0:1], vcc
	s_cbranch_execz .LBB519_19
; %bb.18:
	ds_read2_b64 v[10:13], v9 offset1:4
	s_waitcnt lgkmcnt(0)
	v_add_f64 v[7:8], v[12:13], v[10:11]
	ds_write_b64 v9, v[7:8]
.LBB519_19:
	s_or_b64 exec, exec, s[0:1]
	v_cmp_gt_u16_e32 vcc, 2, v15
	s_waitcnt lgkmcnt(0)
	s_barrier
	s_and_saveexec_b64 s[0:1], vcc
	s_cbranch_execz .LBB519_21
; %bb.20:
	ds_read2_b64 v[10:13], v9 offset1:2
	s_waitcnt lgkmcnt(0)
	v_add_f64 v[7:8], v[12:13], v[10:11]
	ds_write_b64 v9, v[7:8]
.LBB519_21:
	s_or_b64 exec, exec, s[0:1]
	v_mov_b32_e32 v8, v6
	v_cmp_gt_u32_e32 vcc, 24, v0
	v_mov_b32_e32 v7, v5
	s_waitcnt lgkmcnt(0)
	s_barrier
	s_and_saveexec_b64 s[0:1], vcc
	s_cbranch_execz .LBB519_23
; %bb.22:
	s_movk_i32 s2, 0xb8
	v_mad_u32_u24 v7, v0, s2, v9
	ds_read_b128 v[10:13], v7
	s_waitcnt lgkmcnt(0)
	v_add_f64 v[7:8], v[10:11], v[12:13]
.LBB519_23:
	s_or_b64 exec, exec, s[0:1]
	s_branch .LBB519_36
.LBB519_24:
                                        ; implicit-def: $vgpr7_vgpr8
	s_cbranch_execz .LBB519_36
; %bb.25:
	s_movk_i32 s0, 0xc0
	v_cmp_gt_u32_e32 vcc, s0, v0
	s_and_saveexec_b64 s[0:1], vcc
	s_cbranch_execz .LBB519_27
; %bb.26:
	ds_read2st64_b64 v[10:13], v9 offset1:6
	s_waitcnt lgkmcnt(0)
	v_add_f64 v[7:8], v[12:13], v[10:11]
	ds_write_b64 v9, v[7:8]
.LBB519_27:
	s_or_b64 exec, exec, s[0:1]
	s_waitcnt lgkmcnt(0)
	s_barrier
	s_and_saveexec_b64 s[0:1], vcc
	s_cbranch_execz .LBB519_29
; %bb.28:
	ds_read2st64_b64 v[10:13], v9 offset1:3
	s_waitcnt lgkmcnt(0)
	v_add_f64 v[7:8], v[12:13], v[10:11]
	ds_write_b64 v9, v[7:8]
.LBB519_29:
	s_or_b64 exec, exec, s[0:1]
	s_movk_i32 s0, 0x60
	v_cmp_gt_u32_e32 vcc, s0, v0
	s_waitcnt lgkmcnt(0)
	s_barrier
	s_and_saveexec_b64 s[0:1], vcc
	s_cbranch_execz .LBB519_31
; %bb.30:
	ds_read2_b64 v[10:13], v9 offset1:96
	s_waitcnt lgkmcnt(0)
	v_add_f64 v[7:8], v[12:13], v[10:11]
	ds_write_b64 v9, v[7:8]
.LBB519_31:
	s_or_b64 exec, exec, s[0:1]
	v_cmp_gt_u32_e32 vcc, 48, v0
	s_waitcnt lgkmcnt(0)
	s_barrier
	s_and_saveexec_b64 s[0:1], vcc
	s_cbranch_execz .LBB519_33
; %bb.32:
	ds_read2_b64 v[10:13], v9 offset1:48
	s_waitcnt lgkmcnt(0)
	v_add_f64 v[7:8], v[12:13], v[10:11]
	ds_write_b64 v9, v[7:8]
.LBB519_33:
	s_or_b64 exec, exec, s[0:1]
	v_cmp_gt_u32_e32 vcc, 24, v0
	s_waitcnt lgkmcnt(0)
	s_and_saveexec_b64 s[0:1], vcc
	s_cbranch_execz .LBB519_35
; %bb.34:
	ds_read2_b64 v[5:8], v9 offset1:24
	s_waitcnt lgkmcnt(0)
	v_add_f64 v[5:6], v[5:6], v[7:8]
.LBB519_35:
	s_or_b64 exec, exec, s[0:1]
	v_mov_b32_e32 v8, v6
	v_mov_b32_e32 v7, v5
.LBB519_36:
	v_cmp_gt_u32_e32 vcc, 24, v0
	s_and_b64 exec, exec, vcc
	s_cbranch_execz .LBB519_41
; %bb.37:
	v_cmp_eq_f64_e32 vcc, 0, v[1:2]
	v_mul_f64 v[3:4], v[3:4], v[7:8]
	s_mul_i32 s2, s7, 0xc0
	s_mul_hi_u32 s3, s6, 0xc0
	s_mul_i32 s4, s6, 0xc0
	s_and_saveexec_b64 s[0:1], vcc
	s_xor_b64 s[0:1], exec, s[0:1]
	s_cbranch_execz .LBB519_39
; %bb.38:
	s_add_i32 s5, s3, s2
	s_add_u32 s6, s12, s4
	s_addc_u32 s7, s13, s5
	global_store_dwordx2 v9, v[3:4], s[6:7]
                                        ; implicit-def: $vgpr9
                                        ; implicit-def: $vgpr1_vgpr2
                                        ; implicit-def: $vgpr3_vgpr4
.LBB519_39:
	s_andn2_saveexec_b64 s[0:1], s[0:1]
	s_cbranch_execz .LBB519_41
; %bb.40:
	s_add_i32 s3, s3, s2
	s_add_u32 s0, s12, s4
	s_addc_u32 s1, s13, s3
	global_load_dwordx2 v[5:6], v9, s[0:1]
	s_waitcnt vmcnt(0)
	v_fma_f64 v[0:1], v[1:2], v[5:6], v[3:4]
	global_store_dwordx2 v9, v[0:1], s[0:1]
.LBB519_41:
	s_endpgm
	.section	.rodata,"a",@progbits
	.p2align	6, 0x0
	.amdhsa_kernel _ZN9rocsparseL20bsrxmvn_17_32_kernelILj24EdllfddEEvT2_20rocsparse_direction_NS_24const_host_device_scalarIT0_EES1_PKS1_PKT1_SA_S7_PKT3_PKT4_S5_PT5_21rocsparse_index_base_b
		.amdhsa_group_segment_fixed_size 4608
		.amdhsa_private_segment_fixed_size 0
		.amdhsa_kernarg_size 104
		.amdhsa_user_sgpr_count 6
		.amdhsa_user_sgpr_private_segment_buffer 1
		.amdhsa_user_sgpr_dispatch_ptr 0
		.amdhsa_user_sgpr_queue_ptr 0
		.amdhsa_user_sgpr_kernarg_segment_ptr 1
		.amdhsa_user_sgpr_dispatch_id 0
		.amdhsa_user_sgpr_flat_scratch_init 0
		.amdhsa_user_sgpr_private_segment_size 0
		.amdhsa_uses_dynamic_stack 0
		.amdhsa_system_sgpr_private_segment_wavefront_offset 0
		.amdhsa_system_sgpr_workgroup_id_x 1
		.amdhsa_system_sgpr_workgroup_id_y 0
		.amdhsa_system_sgpr_workgroup_id_z 0
		.amdhsa_system_sgpr_workgroup_info 0
		.amdhsa_system_vgpr_workitem_id 0
		.amdhsa_next_free_vgpr 25
		.amdhsa_next_free_sgpr 61
		.amdhsa_reserve_vcc 1
		.amdhsa_reserve_flat_scratch 0
		.amdhsa_float_round_mode_32 0
		.amdhsa_float_round_mode_16_64 0
		.amdhsa_float_denorm_mode_32 3
		.amdhsa_float_denorm_mode_16_64 3
		.amdhsa_dx10_clamp 1
		.amdhsa_ieee_mode 1
		.amdhsa_fp16_overflow 0
		.amdhsa_exception_fp_ieee_invalid_op 0
		.amdhsa_exception_fp_denorm_src 0
		.amdhsa_exception_fp_ieee_div_zero 0
		.amdhsa_exception_fp_ieee_overflow 0
		.amdhsa_exception_fp_ieee_underflow 0
		.amdhsa_exception_fp_ieee_inexact 0
		.amdhsa_exception_int_div_zero 0
	.end_amdhsa_kernel
	.section	.text._ZN9rocsparseL20bsrxmvn_17_32_kernelILj24EdllfddEEvT2_20rocsparse_direction_NS_24const_host_device_scalarIT0_EES1_PKS1_PKT1_SA_S7_PKT3_PKT4_S5_PT5_21rocsparse_index_base_b,"axG",@progbits,_ZN9rocsparseL20bsrxmvn_17_32_kernelILj24EdllfddEEvT2_20rocsparse_direction_NS_24const_host_device_scalarIT0_EES1_PKS1_PKT1_SA_S7_PKT3_PKT4_S5_PT5_21rocsparse_index_base_b,comdat
.Lfunc_end519:
	.size	_ZN9rocsparseL20bsrxmvn_17_32_kernelILj24EdllfddEEvT2_20rocsparse_direction_NS_24const_host_device_scalarIT0_EES1_PKS1_PKT1_SA_S7_PKT3_PKT4_S5_PT5_21rocsparse_index_base_b, .Lfunc_end519-_ZN9rocsparseL20bsrxmvn_17_32_kernelILj24EdllfddEEvT2_20rocsparse_direction_NS_24const_host_device_scalarIT0_EES1_PKS1_PKT1_SA_S7_PKT3_PKT4_S5_PT5_21rocsparse_index_base_b
                                        ; -- End function
	.set _ZN9rocsparseL20bsrxmvn_17_32_kernelILj24EdllfddEEvT2_20rocsparse_direction_NS_24const_host_device_scalarIT0_EES1_PKS1_PKT1_SA_S7_PKT3_PKT4_S5_PT5_21rocsparse_index_base_b.num_vgpr, 21
	.set _ZN9rocsparseL20bsrxmvn_17_32_kernelILj24EdllfddEEvT2_20rocsparse_direction_NS_24const_host_device_scalarIT0_EES1_PKS1_PKT1_SA_S7_PKT3_PKT4_S5_PT5_21rocsparse_index_base_b.num_agpr, 0
	.set _ZN9rocsparseL20bsrxmvn_17_32_kernelILj24EdllfddEEvT2_20rocsparse_direction_NS_24const_host_device_scalarIT0_EES1_PKS1_PKT1_SA_S7_PKT3_PKT4_S5_PT5_21rocsparse_index_base_b.numbered_sgpr, 22
	.set _ZN9rocsparseL20bsrxmvn_17_32_kernelILj24EdllfddEEvT2_20rocsparse_direction_NS_24const_host_device_scalarIT0_EES1_PKS1_PKT1_SA_S7_PKT3_PKT4_S5_PT5_21rocsparse_index_base_b.num_named_barrier, 0
	.set _ZN9rocsparseL20bsrxmvn_17_32_kernelILj24EdllfddEEvT2_20rocsparse_direction_NS_24const_host_device_scalarIT0_EES1_PKS1_PKT1_SA_S7_PKT3_PKT4_S5_PT5_21rocsparse_index_base_b.private_seg_size, 0
	.set _ZN9rocsparseL20bsrxmvn_17_32_kernelILj24EdllfddEEvT2_20rocsparse_direction_NS_24const_host_device_scalarIT0_EES1_PKS1_PKT1_SA_S7_PKT3_PKT4_S5_PT5_21rocsparse_index_base_b.uses_vcc, 1
	.set _ZN9rocsparseL20bsrxmvn_17_32_kernelILj24EdllfddEEvT2_20rocsparse_direction_NS_24const_host_device_scalarIT0_EES1_PKS1_PKT1_SA_S7_PKT3_PKT4_S5_PT5_21rocsparse_index_base_b.uses_flat_scratch, 0
	.set _ZN9rocsparseL20bsrxmvn_17_32_kernelILj24EdllfddEEvT2_20rocsparse_direction_NS_24const_host_device_scalarIT0_EES1_PKS1_PKT1_SA_S7_PKT3_PKT4_S5_PT5_21rocsparse_index_base_b.has_dyn_sized_stack, 0
	.set _ZN9rocsparseL20bsrxmvn_17_32_kernelILj24EdllfddEEvT2_20rocsparse_direction_NS_24const_host_device_scalarIT0_EES1_PKS1_PKT1_SA_S7_PKT3_PKT4_S5_PT5_21rocsparse_index_base_b.has_recursion, 0
	.set _ZN9rocsparseL20bsrxmvn_17_32_kernelILj24EdllfddEEvT2_20rocsparse_direction_NS_24const_host_device_scalarIT0_EES1_PKS1_PKT1_SA_S7_PKT3_PKT4_S5_PT5_21rocsparse_index_base_b.has_indirect_call, 0
	.section	.AMDGPU.csdata,"",@progbits
; Kernel info:
; codeLenInByte = 1404
; TotalNumSgprs: 26
; NumVgprs: 21
; ScratchSize: 0
; MemoryBound: 0
; FloatMode: 240
; IeeeMode: 1
; LDSByteSize: 4608 bytes/workgroup (compile time only)
; SGPRBlocks: 8
; VGPRBlocks: 6
; NumSGPRsForWavesPerEU: 65
; NumVGPRsForWavesPerEU: 25
; Occupancy: 9
; WaveLimiterHint : 1
; COMPUTE_PGM_RSRC2:SCRATCH_EN: 0
; COMPUTE_PGM_RSRC2:USER_SGPR: 6
; COMPUTE_PGM_RSRC2:TRAP_HANDLER: 0
; COMPUTE_PGM_RSRC2:TGID_X_EN: 1
; COMPUTE_PGM_RSRC2:TGID_Y_EN: 0
; COMPUTE_PGM_RSRC2:TGID_Z_EN: 0
; COMPUTE_PGM_RSRC2:TIDIG_COMP_CNT: 0
	.section	.text._ZN9rocsparseL20bsrxmvn_17_32_kernelILj25EdllfddEEvT2_20rocsparse_direction_NS_24const_host_device_scalarIT0_EES1_PKS1_PKT1_SA_S7_PKT3_PKT4_S5_PT5_21rocsparse_index_base_b,"axG",@progbits,_ZN9rocsparseL20bsrxmvn_17_32_kernelILj25EdllfddEEvT2_20rocsparse_direction_NS_24const_host_device_scalarIT0_EES1_PKS1_PKT1_SA_S7_PKT3_PKT4_S5_PT5_21rocsparse_index_base_b,comdat
	.globl	_ZN9rocsparseL20bsrxmvn_17_32_kernelILj25EdllfddEEvT2_20rocsparse_direction_NS_24const_host_device_scalarIT0_EES1_PKS1_PKT1_SA_S7_PKT3_PKT4_S5_PT5_21rocsparse_index_base_b ; -- Begin function _ZN9rocsparseL20bsrxmvn_17_32_kernelILj25EdllfddEEvT2_20rocsparse_direction_NS_24const_host_device_scalarIT0_EES1_PKS1_PKT1_SA_S7_PKT3_PKT4_S5_PT5_21rocsparse_index_base_b
	.p2align	8
	.type	_ZN9rocsparseL20bsrxmvn_17_32_kernelILj25EdllfddEEvT2_20rocsparse_direction_NS_24const_host_device_scalarIT0_EES1_PKS1_PKT1_SA_S7_PKT3_PKT4_S5_PT5_21rocsparse_index_base_b,@function
_ZN9rocsparseL20bsrxmvn_17_32_kernelILj25EdllfddEEvT2_20rocsparse_direction_NS_24const_host_device_scalarIT0_EES1_PKS1_PKT1_SA_S7_PKT3_PKT4_S5_PT5_21rocsparse_index_base_b: ; @_ZN9rocsparseL20bsrxmvn_17_32_kernelILj25EdllfddEEvT2_20rocsparse_direction_NS_24const_host_device_scalarIT0_EES1_PKS1_PKT1_SA_S7_PKT3_PKT4_S5_PT5_21rocsparse_index_base_b
; %bb.0:
	s_load_dwordx2 s[14:15], s[4:5], 0x60
	s_load_dwordx2 s[8:9], s[4:5], 0x10
	;; [unrolled: 1-line block ×3, first 2 shown]
	s_waitcnt lgkmcnt(0)
	s_bitcmp1_b32 s15, 0
	s_cselect_b64 s[10:11], -1, 0
	v_mov_b32_e32 v3, s8
	s_xor_b64 s[2:3], s[10:11], -1
	s_and_b64 vcc, exec, s[10:11]
	v_mov_b32_e32 v4, s9
	s_cbranch_vccnz .LBB520_2
; %bb.1:
	v_mov_b32_e32 v1, s8
	v_mov_b32_e32 v2, s9
	flat_load_dwordx2 v[3:4], v[1:2]
.LBB520_2:
	v_mov_b32_e32 v2, s1
	s_andn2_b64 vcc, exec, s[2:3]
	v_mov_b32_e32 v1, s0
	s_cbranch_vccnz .LBB520_4
; %bb.3:
	v_mov_b32_e32 v2, s1
	v_mov_b32_e32 v1, s0
	flat_load_dwordx2 v[1:2], v[1:2]
.LBB520_4:
	s_waitcnt vmcnt(0) lgkmcnt(0)
	v_cmp_neq_f64_e32 vcc, 0, v[3:4]
	v_cmp_neq_f64_e64 s[0:1], 1.0, v[1:2]
	s_or_b64 s[0:1], vcc, s[0:1]
	s_and_saveexec_b64 s[2:3], s[0:1]
	s_cbranch_execz .LBB520_41
; %bb.5:
	s_load_dwordx4 s[0:3], s[4:5], 0x20
	s_load_dwordx2 s[8:9], s[4:5], 0x30
	s_mov_b32 s7, 0
	s_waitcnt lgkmcnt(0)
	s_cmp_eq_u64 s[0:1], 0
	s_cbranch_scc1 .LBB520_7
; %bb.6:
	s_lshl_b64 s[6:7], s[6:7], 3
	s_add_u32 s0, s0, s6
	s_addc_u32 s1, s1, s7
	s_load_dwordx2 s[0:1], s[0:1], 0x0
	s_waitcnt lgkmcnt(0)
	s_sub_u32 s6, s0, s14
	s_subb_u32 s7, s1, 0
.LBB520_7:
	s_load_dword s10, s[4:5], 0x8
	s_load_dwordx2 s[12:13], s[4:5], 0x58
	v_mul_u32_u24_e32 v8, 0xa3e, v0
	v_mov_b32_e32 v5, 25
	v_mul_lo_u16_sdwa v5, v8, v5 dst_sel:DWORD dst_unused:UNUSED_PAD src0_sel:WORD_1 src1_sel:DWORD
	s_waitcnt lgkmcnt(0)
	s_cmp_eq_u32 s10, 1
	s_cselect_b64 s[0:1], -1, 0
	s_cmp_lg_u32 s10, 1
	s_cselect_b64 s[16:17], -1, 0
	s_lshl_b64 s[10:11], s[6:7], 3
	s_add_u32 s20, s2, s10
	s_addc_u32 s21, s3, s11
	s_add_u32 s2, s20, 8
	s_addc_u32 s3, s21, 0
	;; [unrolled: 2-line block ×3, first 2 shown]
	s_cmp_eq_u64 s[8:9], 0
	s_cselect_b32 s9, s3, s11
	s_cselect_b32 s8, s2, s10
	s_load_dwordx2 s[2:3], s[8:9], 0x0
	s_load_dwordx2 s[18:19], s[20:21], 0x0
	v_sub_u16_e32 v15, v0, v5
	v_mov_b32_e32 v7, 0
	s_waitcnt lgkmcnt(0)
	v_mov_b32_e32 v6, s3
	v_mov_b32_e32 v5, s2
	v_cmp_ge_i64_e32 vcc, s[18:19], v[5:6]
	v_mov_b32_e32 v5, 0
	v_mov_b32_e32 v6, 0
	s_cbranch_vccnz .LBB520_12
; %bb.8:
	s_load_dwordx4 s[8:11], s[4:5], 0x38
	s_load_dwordx2 s[20:21], s[4:5], 0x48
	s_mov_b32 s4, 0xffff
	s_movk_i32 s5, 0x271
	v_and_b32_sdwa v5, s4, v8 dst_sel:DWORD dst_unused:UNUSED_PAD src0_sel:DWORD src1_sel:WORD_1
	s_sub_u32 s2, s2, s14
	v_subrev_u32_e32 v6, 25, v5
	v_cmp_gt_u32_e32 vcc, s5, v0
	s_subb_u32 s3, s3, 0
	v_cndmask_b32_e32 v5, v6, v5, vcc
	s_sub_u32 s4, s18, s14
	v_cndmask_b32_e64 v6, v15, v5, s[0:1]
	s_subb_u32 s5, s19, 0
	v_lshlrev_b64 v[5:6], 3, v[6:7]
	s_mul_i32 s0, s5, 0x9c4
	s_mul_hi_u32 s1, s4, 0x9c4
	s_add_i32 s1, s1, s0
	s_mul_i32 s0, s4, 0x9c4
	s_waitcnt lgkmcnt(0)
	v_mov_b32_e32 v8, s21
	v_add_co_u32_e32 v7, vcc, s20, v5
	s_add_u32 s0, s10, s0
	v_addc_co_u32_e32 v8, vcc, v8, v6, vcc
	s_addc_u32 s1, s11, s1
	v_lshlrev_b32_e32 v5, 2, v0
	v_mov_b32_e32 v6, s1
	v_add_co_u32_e32 v9, vcc, s0, v5
	v_addc_co_u32_e32 v10, vcc, 0, v6, vcc
	s_movk_i32 s0, 0x270
	v_cmp_lt_u32_e32 vcc, s0, v0
	v_cndmask_b32_e64 v16, 0, 1, vcc
	v_mov_b32_e32 v5, s19
	v_add_co_u32_e32 v6, vcc, s18, v16
	v_addc_co_u32_e32 v11, vcc, 0, v5, vcc
	v_subrev_co_u32_e32 v5, vcc, s14, v6
	v_subbrev_co_u32_e32 v6, vcc, 0, v11, vcc
	v_lshlrev_b64 v[5:6], 3, v[5:6]
	v_mov_b32_e32 v12, s9
	v_add_co_u32_e32 v11, vcc, s8, v5
	v_addc_co_u32_e32 v12, vcc, v12, v6, vcc
	v_mov_b32_e32 v5, 0
	v_mov_b32_e32 v14, s3
	v_mov_b32_e32 v6, 0
	s_movk_i32 s8, 0xc8
	v_mov_b32_e32 v13, s2
	s_branch .LBB520_10
.LBB520_9:                              ;   in Loop: Header=BB520_10 Depth=1
	s_or_b64 exec, exec, s[0:1]
	s_add_u32 s4, s4, 1
	s_addc_u32 s5, s5, 0
	v_cmp_lt_i64_e32 vcc, s[4:5], v[13:14]
	v_add_co_u32_e64 v11, s[0:1], 8, v11
	v_addc_co_u32_e64 v12, s[0:1], 0, v12, s[0:1]
	s_cbranch_vccz .LBB520_12
.LBB520_10:                             ; =>This Inner Loop Header: Depth=1
	v_mov_b32_e32 v18, s5
	v_add_co_u32_e32 v17, vcc, s4, v16
	v_addc_co_u32_e32 v18, vcc, 0, v18, vcc
	v_cmp_gt_i64_e32 vcc, s[2:3], v[17:18]
	s_and_saveexec_b64 s[0:1], vcc
	s_cbranch_execz .LBB520_9
; %bb.11:                               ;   in Loop: Header=BB520_10 Depth=1
	global_load_dwordx2 v[17:18], v[11:12], off
	s_waitcnt vmcnt(0)
	v_subrev_co_u32_e32 v17, vcc, s14, v17
	v_subbrev_co_u32_e32 v19, vcc, 0, v18, vcc
	v_mad_u64_u32 v[17:18], s[10:11], v17, s8, v[7:8]
	v_mad_u64_u32 v[18:19], s[10:11], v19, s8, v[18:19]
	global_load_dword v19, v[9:10], off
	s_nop 0
	global_load_dwordx2 v[17:18], v[17:18], off
	v_add_co_u32_e32 v9, vcc, 0x9c4, v9
	v_addc_co_u32_e32 v10, vcc, 0, v10, vcc
	s_waitcnt vmcnt(1)
	v_cvt_f64_f32_e32 v[19:20], v19
	s_waitcnt vmcnt(0)
	v_fma_f64 v[5:6], v[19:20], v[17:18], v[5:6]
	s_branch .LBB520_9
.LBB520_12:
	v_lshlrev_b32_e32 v9, 3, v0
	s_and_b64 vcc, exec, s[16:17]
	ds_write_b64 v9, v[5:6]
	s_waitcnt lgkmcnt(0)
	s_barrier
	s_cbranch_vccz .LBB520_24
; %bb.13:
	v_cmp_gt_u16_e32 vcc, 9, v15
	s_and_saveexec_b64 s[0:1], vcc
	s_cbranch_execz .LBB520_15
; %bb.14:
	ds_read2_b64 v[10:13], v9 offset1:16
	s_waitcnt lgkmcnt(0)
	v_add_f64 v[7:8], v[12:13], v[10:11]
	ds_write_b64 v9, v[7:8]
.LBB520_15:
	s_or_b64 exec, exec, s[0:1]
	v_cmp_gt_u16_e32 vcc, 8, v15
	s_waitcnt lgkmcnt(0)
	s_barrier
	s_and_saveexec_b64 s[0:1], vcc
	s_cbranch_execz .LBB520_17
; %bb.16:
	ds_read2_b64 v[10:13], v9 offset1:8
	s_waitcnt lgkmcnt(0)
	v_add_f64 v[7:8], v[12:13], v[10:11]
	ds_write_b64 v9, v[7:8]
.LBB520_17:
	s_or_b64 exec, exec, s[0:1]
	v_cmp_gt_u16_e32 vcc, 4, v15
	s_waitcnt lgkmcnt(0)
	s_barrier
	;; [unrolled: 12-line block ×3, first 2 shown]
	s_and_saveexec_b64 s[0:1], vcc
	s_cbranch_execz .LBB520_21
; %bb.20:
	ds_read2_b64 v[10:13], v9 offset1:2
	s_waitcnt lgkmcnt(0)
	v_add_f64 v[7:8], v[12:13], v[10:11]
	ds_write_b64 v9, v[7:8]
.LBB520_21:
	s_or_b64 exec, exec, s[0:1]
	v_mov_b32_e32 v8, v6
	v_cmp_gt_u32_e32 vcc, 25, v0
	v_mov_b32_e32 v7, v5
	s_waitcnt lgkmcnt(0)
	s_barrier
	s_and_saveexec_b64 s[0:1], vcc
	s_cbranch_execz .LBB520_23
; %bb.22:
	s_movk_i32 s2, 0xc0
	v_mad_u32_u24 v7, v0, s2, v9
	ds_read2_b64 v[10:13], v7 offset1:1
	s_waitcnt lgkmcnt(0)
	v_add_f64 v[7:8], v[10:11], v[12:13]
.LBB520_23:
	s_or_b64 exec, exec, s[0:1]
	s_branch .LBB520_36
.LBB520_24:
                                        ; implicit-def: $vgpr7_vgpr8
	s_cbranch_execz .LBB520_36
; %bb.25:
	s_movk_i32 s0, 0xe1
	v_cmp_gt_u32_e32 vcc, s0, v0
	s_and_saveexec_b64 s[0:1], vcc
	s_cbranch_execz .LBB520_27
; %bb.26:
	ds_read_b64 v[7:8], v9 offset:3200
	ds_read_b64 v[10:11], v9
	s_waitcnt lgkmcnt(0)
	v_add_f64 v[7:8], v[7:8], v[10:11]
	ds_write_b64 v9, v[7:8]
.LBB520_27:
	s_or_b64 exec, exec, s[0:1]
	s_movk_i32 s0, 0xc8
	v_cmp_gt_u32_e32 vcc, s0, v0
	s_waitcnt lgkmcnt(0)
	s_barrier
	s_and_saveexec_b64 s[0:1], vcc
	s_cbranch_execz .LBB520_29
; %bb.28:
	ds_read2_b64 v[10:13], v9 offset1:200
	s_waitcnt lgkmcnt(0)
	v_add_f64 v[7:8], v[12:13], v[10:11]
	ds_write_b64 v9, v[7:8]
.LBB520_29:
	s_or_b64 exec, exec, s[0:1]
	s_movk_i32 s0, 0x64
	v_cmp_gt_u32_e32 vcc, s0, v0
	s_waitcnt lgkmcnt(0)
	s_barrier
	s_and_saveexec_b64 s[0:1], vcc
	s_cbranch_execz .LBB520_31
; %bb.30:
	ds_read2_b64 v[10:13], v9 offset1:100
	s_waitcnt lgkmcnt(0)
	v_add_f64 v[7:8], v[12:13], v[10:11]
	ds_write_b64 v9, v[7:8]
.LBB520_31:
	s_or_b64 exec, exec, s[0:1]
	v_cmp_gt_u32_e32 vcc, 50, v0
	s_waitcnt lgkmcnt(0)
	s_barrier
	s_and_saveexec_b64 s[0:1], vcc
	s_cbranch_execz .LBB520_33
; %bb.32:
	ds_read2_b64 v[10:13], v9 offset1:50
	s_waitcnt lgkmcnt(0)
	v_add_f64 v[7:8], v[12:13], v[10:11]
	ds_write_b64 v9, v[7:8]
.LBB520_33:
	s_or_b64 exec, exec, s[0:1]
	v_cmp_gt_u32_e32 vcc, 25, v0
	s_waitcnt lgkmcnt(0)
	s_and_saveexec_b64 s[0:1], vcc
	s_cbranch_execz .LBB520_35
; %bb.34:
	ds_read2_b64 v[5:8], v9 offset1:25
	s_waitcnt lgkmcnt(0)
	v_add_f64 v[5:6], v[5:6], v[7:8]
.LBB520_35:
	s_or_b64 exec, exec, s[0:1]
	v_mov_b32_e32 v8, v6
	v_mov_b32_e32 v7, v5
.LBB520_36:
	v_cmp_gt_u32_e32 vcc, 25, v0
	s_and_b64 exec, exec, vcc
	s_cbranch_execz .LBB520_41
; %bb.37:
	v_cmp_eq_f64_e32 vcc, 0, v[1:2]
	v_mul_f64 v[3:4], v[3:4], v[7:8]
	s_mul_i32 s2, s7, 0xc8
	s_mul_hi_u32 s3, s6, 0xc8
	s_mul_i32 s4, s6, 0xc8
	s_and_saveexec_b64 s[0:1], vcc
	s_xor_b64 s[0:1], exec, s[0:1]
	s_cbranch_execz .LBB520_39
; %bb.38:
	s_add_i32 s5, s3, s2
	s_add_u32 s6, s12, s4
	s_addc_u32 s7, s13, s5
	global_store_dwordx2 v9, v[3:4], s[6:7]
                                        ; implicit-def: $vgpr9
                                        ; implicit-def: $vgpr1_vgpr2
                                        ; implicit-def: $vgpr3_vgpr4
.LBB520_39:
	s_andn2_saveexec_b64 s[0:1], s[0:1]
	s_cbranch_execz .LBB520_41
; %bb.40:
	s_add_i32 s3, s3, s2
	s_add_u32 s0, s12, s4
	s_addc_u32 s1, s13, s3
	global_load_dwordx2 v[5:6], v9, s[0:1]
	s_waitcnt vmcnt(0)
	v_fma_f64 v[0:1], v[1:2], v[5:6], v[3:4]
	global_store_dwordx2 v9, v[0:1], s[0:1]
.LBB520_41:
	s_endpgm
	.section	.rodata,"a",@progbits
	.p2align	6, 0x0
	.amdhsa_kernel _ZN9rocsparseL20bsrxmvn_17_32_kernelILj25EdllfddEEvT2_20rocsparse_direction_NS_24const_host_device_scalarIT0_EES1_PKS1_PKT1_SA_S7_PKT3_PKT4_S5_PT5_21rocsparse_index_base_b
		.amdhsa_group_segment_fixed_size 5000
		.amdhsa_private_segment_fixed_size 0
		.amdhsa_kernarg_size 104
		.amdhsa_user_sgpr_count 6
		.amdhsa_user_sgpr_private_segment_buffer 1
		.amdhsa_user_sgpr_dispatch_ptr 0
		.amdhsa_user_sgpr_queue_ptr 0
		.amdhsa_user_sgpr_kernarg_segment_ptr 1
		.amdhsa_user_sgpr_dispatch_id 0
		.amdhsa_user_sgpr_flat_scratch_init 0
		.amdhsa_user_sgpr_private_segment_size 0
		.amdhsa_uses_dynamic_stack 0
		.amdhsa_system_sgpr_private_segment_wavefront_offset 0
		.amdhsa_system_sgpr_workgroup_id_x 1
		.amdhsa_system_sgpr_workgroup_id_y 0
		.amdhsa_system_sgpr_workgroup_id_z 0
		.amdhsa_system_sgpr_workgroup_info 0
		.amdhsa_system_vgpr_workitem_id 0
		.amdhsa_next_free_vgpr 21
		.amdhsa_next_free_sgpr 22
		.amdhsa_reserve_vcc 1
		.amdhsa_reserve_flat_scratch 0
		.amdhsa_float_round_mode_32 0
		.amdhsa_float_round_mode_16_64 0
		.amdhsa_float_denorm_mode_32 3
		.amdhsa_float_denorm_mode_16_64 3
		.amdhsa_dx10_clamp 1
		.amdhsa_ieee_mode 1
		.amdhsa_fp16_overflow 0
		.amdhsa_exception_fp_ieee_invalid_op 0
		.amdhsa_exception_fp_denorm_src 0
		.amdhsa_exception_fp_ieee_div_zero 0
		.amdhsa_exception_fp_ieee_overflow 0
		.amdhsa_exception_fp_ieee_underflow 0
		.amdhsa_exception_fp_ieee_inexact 0
		.amdhsa_exception_int_div_zero 0
	.end_amdhsa_kernel
	.section	.text._ZN9rocsparseL20bsrxmvn_17_32_kernelILj25EdllfddEEvT2_20rocsparse_direction_NS_24const_host_device_scalarIT0_EES1_PKS1_PKT1_SA_S7_PKT3_PKT4_S5_PT5_21rocsparse_index_base_b,"axG",@progbits,_ZN9rocsparseL20bsrxmvn_17_32_kernelILj25EdllfddEEvT2_20rocsparse_direction_NS_24const_host_device_scalarIT0_EES1_PKS1_PKT1_SA_S7_PKT3_PKT4_S5_PT5_21rocsparse_index_base_b,comdat
.Lfunc_end520:
	.size	_ZN9rocsparseL20bsrxmvn_17_32_kernelILj25EdllfddEEvT2_20rocsparse_direction_NS_24const_host_device_scalarIT0_EES1_PKS1_PKT1_SA_S7_PKT3_PKT4_S5_PT5_21rocsparse_index_base_b, .Lfunc_end520-_ZN9rocsparseL20bsrxmvn_17_32_kernelILj25EdllfddEEvT2_20rocsparse_direction_NS_24const_host_device_scalarIT0_EES1_PKS1_PKT1_SA_S7_PKT3_PKT4_S5_PT5_21rocsparse_index_base_b
                                        ; -- End function
	.set _ZN9rocsparseL20bsrxmvn_17_32_kernelILj25EdllfddEEvT2_20rocsparse_direction_NS_24const_host_device_scalarIT0_EES1_PKS1_PKT1_SA_S7_PKT3_PKT4_S5_PT5_21rocsparse_index_base_b.num_vgpr, 21
	.set _ZN9rocsparseL20bsrxmvn_17_32_kernelILj25EdllfddEEvT2_20rocsparse_direction_NS_24const_host_device_scalarIT0_EES1_PKS1_PKT1_SA_S7_PKT3_PKT4_S5_PT5_21rocsparse_index_base_b.num_agpr, 0
	.set _ZN9rocsparseL20bsrxmvn_17_32_kernelILj25EdllfddEEvT2_20rocsparse_direction_NS_24const_host_device_scalarIT0_EES1_PKS1_PKT1_SA_S7_PKT3_PKT4_S5_PT5_21rocsparse_index_base_b.numbered_sgpr, 22
	.set _ZN9rocsparseL20bsrxmvn_17_32_kernelILj25EdllfddEEvT2_20rocsparse_direction_NS_24const_host_device_scalarIT0_EES1_PKS1_PKT1_SA_S7_PKT3_PKT4_S5_PT5_21rocsparse_index_base_b.num_named_barrier, 0
	.set _ZN9rocsparseL20bsrxmvn_17_32_kernelILj25EdllfddEEvT2_20rocsparse_direction_NS_24const_host_device_scalarIT0_EES1_PKS1_PKT1_SA_S7_PKT3_PKT4_S5_PT5_21rocsparse_index_base_b.private_seg_size, 0
	.set _ZN9rocsparseL20bsrxmvn_17_32_kernelILj25EdllfddEEvT2_20rocsparse_direction_NS_24const_host_device_scalarIT0_EES1_PKS1_PKT1_SA_S7_PKT3_PKT4_S5_PT5_21rocsparse_index_base_b.uses_vcc, 1
	.set _ZN9rocsparseL20bsrxmvn_17_32_kernelILj25EdllfddEEvT2_20rocsparse_direction_NS_24const_host_device_scalarIT0_EES1_PKS1_PKT1_SA_S7_PKT3_PKT4_S5_PT5_21rocsparse_index_base_b.uses_flat_scratch, 0
	.set _ZN9rocsparseL20bsrxmvn_17_32_kernelILj25EdllfddEEvT2_20rocsparse_direction_NS_24const_host_device_scalarIT0_EES1_PKS1_PKT1_SA_S7_PKT3_PKT4_S5_PT5_21rocsparse_index_base_b.has_dyn_sized_stack, 0
	.set _ZN9rocsparseL20bsrxmvn_17_32_kernelILj25EdllfddEEvT2_20rocsparse_direction_NS_24const_host_device_scalarIT0_EES1_PKS1_PKT1_SA_S7_PKT3_PKT4_S5_PT5_21rocsparse_index_base_b.has_recursion, 0
	.set _ZN9rocsparseL20bsrxmvn_17_32_kernelILj25EdllfddEEvT2_20rocsparse_direction_NS_24const_host_device_scalarIT0_EES1_PKS1_PKT1_SA_S7_PKT3_PKT4_S5_PT5_21rocsparse_index_base_b.has_indirect_call, 0
	.section	.AMDGPU.csdata,"",@progbits
; Kernel info:
; codeLenInByte = 1424
; TotalNumSgprs: 26
; NumVgprs: 21
; ScratchSize: 0
; MemoryBound: 0
; FloatMode: 240
; IeeeMode: 1
; LDSByteSize: 5000 bytes/workgroup (compile time only)
; SGPRBlocks: 3
; VGPRBlocks: 5
; NumSGPRsForWavesPerEU: 26
; NumVGPRsForWavesPerEU: 21
; Occupancy: 10
; WaveLimiterHint : 1
; COMPUTE_PGM_RSRC2:SCRATCH_EN: 0
; COMPUTE_PGM_RSRC2:USER_SGPR: 6
; COMPUTE_PGM_RSRC2:TRAP_HANDLER: 0
; COMPUTE_PGM_RSRC2:TGID_X_EN: 1
; COMPUTE_PGM_RSRC2:TGID_Y_EN: 0
; COMPUTE_PGM_RSRC2:TGID_Z_EN: 0
; COMPUTE_PGM_RSRC2:TIDIG_COMP_CNT: 0
	.section	.text._ZN9rocsparseL20bsrxmvn_17_32_kernelILj26EdllfddEEvT2_20rocsparse_direction_NS_24const_host_device_scalarIT0_EES1_PKS1_PKT1_SA_S7_PKT3_PKT4_S5_PT5_21rocsparse_index_base_b,"axG",@progbits,_ZN9rocsparseL20bsrxmvn_17_32_kernelILj26EdllfddEEvT2_20rocsparse_direction_NS_24const_host_device_scalarIT0_EES1_PKS1_PKT1_SA_S7_PKT3_PKT4_S5_PT5_21rocsparse_index_base_b,comdat
	.globl	_ZN9rocsparseL20bsrxmvn_17_32_kernelILj26EdllfddEEvT2_20rocsparse_direction_NS_24const_host_device_scalarIT0_EES1_PKS1_PKT1_SA_S7_PKT3_PKT4_S5_PT5_21rocsparse_index_base_b ; -- Begin function _ZN9rocsparseL20bsrxmvn_17_32_kernelILj26EdllfddEEvT2_20rocsparse_direction_NS_24const_host_device_scalarIT0_EES1_PKS1_PKT1_SA_S7_PKT3_PKT4_S5_PT5_21rocsparse_index_base_b
	.p2align	8
	.type	_ZN9rocsparseL20bsrxmvn_17_32_kernelILj26EdllfddEEvT2_20rocsparse_direction_NS_24const_host_device_scalarIT0_EES1_PKS1_PKT1_SA_S7_PKT3_PKT4_S5_PT5_21rocsparse_index_base_b,@function
_ZN9rocsparseL20bsrxmvn_17_32_kernelILj26EdllfddEEvT2_20rocsparse_direction_NS_24const_host_device_scalarIT0_EES1_PKS1_PKT1_SA_S7_PKT3_PKT4_S5_PT5_21rocsparse_index_base_b: ; @_ZN9rocsparseL20bsrxmvn_17_32_kernelILj26EdllfddEEvT2_20rocsparse_direction_NS_24const_host_device_scalarIT0_EES1_PKS1_PKT1_SA_S7_PKT3_PKT4_S5_PT5_21rocsparse_index_base_b
; %bb.0:
	s_load_dwordx2 s[14:15], s[4:5], 0x60
	s_load_dwordx2 s[8:9], s[4:5], 0x10
	;; [unrolled: 1-line block ×3, first 2 shown]
	s_waitcnt lgkmcnt(0)
	s_bitcmp1_b32 s15, 0
	s_cselect_b64 s[10:11], -1, 0
	v_mov_b32_e32 v3, s8
	s_xor_b64 s[2:3], s[10:11], -1
	s_and_b64 vcc, exec, s[10:11]
	v_mov_b32_e32 v4, s9
	s_cbranch_vccnz .LBB521_2
; %bb.1:
	v_mov_b32_e32 v1, s8
	v_mov_b32_e32 v2, s9
	flat_load_dwordx2 v[3:4], v[1:2]
.LBB521_2:
	v_mov_b32_e32 v2, s1
	s_andn2_b64 vcc, exec, s[2:3]
	v_mov_b32_e32 v1, s0
	s_cbranch_vccnz .LBB521_4
; %bb.3:
	v_mov_b32_e32 v2, s1
	v_mov_b32_e32 v1, s0
	flat_load_dwordx2 v[1:2], v[1:2]
.LBB521_4:
	s_waitcnt vmcnt(0) lgkmcnt(0)
	v_cmp_neq_f64_e32 vcc, 0, v[3:4]
	v_cmp_neq_f64_e64 s[0:1], 1.0, v[1:2]
	s_or_b64 s[0:1], vcc, s[0:1]
	s_and_saveexec_b64 s[2:3], s[0:1]
	s_cbranch_execz .LBB521_41
; %bb.5:
	s_load_dwordx4 s[0:3], s[4:5], 0x20
	s_load_dwordx2 s[8:9], s[4:5], 0x30
	s_mov_b32 s7, 0
	s_waitcnt lgkmcnt(0)
	s_cmp_eq_u64 s[0:1], 0
	s_cbranch_scc1 .LBB521_7
; %bb.6:
	s_lshl_b64 s[6:7], s[6:7], 3
	s_add_u32 s0, s0, s6
	s_addc_u32 s1, s1, s7
	s_load_dwordx2 s[0:1], s[0:1], 0x0
	s_waitcnt lgkmcnt(0)
	s_sub_u32 s6, s0, s14
	s_subb_u32 s7, s1, 0
.LBB521_7:
	s_load_dword s10, s[4:5], 0x8
	s_load_dwordx2 s[12:13], s[4:5], 0x58
	v_mul_u32_u24_e32 v8, 0x9d9, v0
	v_mov_b32_e32 v5, 26
	v_mul_lo_u16_sdwa v5, v8, v5 dst_sel:DWORD dst_unused:UNUSED_PAD src0_sel:WORD_1 src1_sel:DWORD
	s_waitcnt lgkmcnt(0)
	s_cmp_eq_u32 s10, 1
	s_cselect_b64 s[0:1], -1, 0
	s_cmp_lg_u32 s10, 1
	s_cselect_b64 s[16:17], -1, 0
	s_lshl_b64 s[10:11], s[6:7], 3
	s_add_u32 s20, s2, s10
	s_addc_u32 s21, s3, s11
	s_add_u32 s2, s20, 8
	s_addc_u32 s3, s21, 0
	s_add_u32 s10, s8, s10
	s_addc_u32 s11, s9, s11
	s_cmp_eq_u64 s[8:9], 0
	s_cselect_b32 s9, s3, s11
	s_cselect_b32 s8, s2, s10
	s_load_dwordx2 s[2:3], s[8:9], 0x0
	s_load_dwordx2 s[18:19], s[20:21], 0x0
	v_sub_u16_e32 v15, v0, v5
	v_mov_b32_e32 v7, 0
	s_waitcnt lgkmcnt(0)
	v_mov_b32_e32 v6, s3
	v_mov_b32_e32 v5, s2
	v_cmp_ge_i64_e32 vcc, s[18:19], v[5:6]
	v_mov_b32_e32 v5, 0
	v_mov_b32_e32 v6, 0
	s_cbranch_vccnz .LBB521_12
; %bb.8:
	s_load_dwordx4 s[8:11], s[4:5], 0x38
	s_load_dwordx2 s[20:21], s[4:5], 0x48
	s_mov_b32 s4, 0xffff
	s_movk_i32 s5, 0x2a4
	v_and_b32_sdwa v5, s4, v8 dst_sel:DWORD dst_unused:UNUSED_PAD src0_sel:DWORD src1_sel:WORD_1
	s_sub_u32 s2, s2, s14
	v_subrev_u32_e32 v6, 26, v5
	v_cmp_gt_u32_e32 vcc, s5, v0
	s_subb_u32 s3, s3, 0
	v_cndmask_b32_e32 v5, v6, v5, vcc
	s_sub_u32 s4, s18, s14
	v_cndmask_b32_e64 v6, v15, v5, s[0:1]
	s_subb_u32 s5, s19, 0
	v_lshlrev_b64 v[5:6], 3, v[6:7]
	s_mul_i32 s0, s5, 0xa90
	s_mul_hi_u32 s1, s4, 0xa90
	s_add_i32 s1, s1, s0
	s_mul_i32 s0, s4, 0xa90
	s_waitcnt lgkmcnt(0)
	v_mov_b32_e32 v8, s21
	v_add_co_u32_e32 v7, vcc, s20, v5
	s_add_u32 s0, s10, s0
	v_addc_co_u32_e32 v8, vcc, v8, v6, vcc
	s_addc_u32 s1, s11, s1
	v_lshlrev_b32_e32 v5, 2, v0
	v_mov_b32_e32 v6, s1
	v_add_co_u32_e32 v9, vcc, s0, v5
	v_addc_co_u32_e32 v10, vcc, 0, v6, vcc
	s_movk_i32 s0, 0x2a3
	v_cmp_lt_u32_e32 vcc, s0, v0
	v_cndmask_b32_e64 v16, 0, 1, vcc
	v_mov_b32_e32 v5, s19
	v_add_co_u32_e32 v6, vcc, s18, v16
	v_addc_co_u32_e32 v11, vcc, 0, v5, vcc
	v_subrev_co_u32_e32 v5, vcc, s14, v6
	v_subbrev_co_u32_e32 v6, vcc, 0, v11, vcc
	v_lshlrev_b64 v[5:6], 3, v[5:6]
	v_mov_b32_e32 v12, s9
	v_add_co_u32_e32 v11, vcc, s8, v5
	v_addc_co_u32_e32 v12, vcc, v12, v6, vcc
	v_mov_b32_e32 v5, 0
	v_mov_b32_e32 v14, s3
	;; [unrolled: 1-line block ×3, first 2 shown]
	s_movk_i32 s8, 0xd0
	v_mov_b32_e32 v13, s2
	s_branch .LBB521_10
.LBB521_9:                              ;   in Loop: Header=BB521_10 Depth=1
	s_or_b64 exec, exec, s[0:1]
	s_add_u32 s4, s4, 1
	s_addc_u32 s5, s5, 0
	v_cmp_lt_i64_e32 vcc, s[4:5], v[13:14]
	v_add_co_u32_e64 v11, s[0:1], 8, v11
	v_addc_co_u32_e64 v12, s[0:1], 0, v12, s[0:1]
	s_cbranch_vccz .LBB521_12
.LBB521_10:                             ; =>This Inner Loop Header: Depth=1
	v_mov_b32_e32 v18, s5
	v_add_co_u32_e32 v17, vcc, s4, v16
	v_addc_co_u32_e32 v18, vcc, 0, v18, vcc
	v_cmp_gt_i64_e32 vcc, s[2:3], v[17:18]
	s_and_saveexec_b64 s[0:1], vcc
	s_cbranch_execz .LBB521_9
; %bb.11:                               ;   in Loop: Header=BB521_10 Depth=1
	global_load_dwordx2 v[17:18], v[11:12], off
	s_waitcnt vmcnt(0)
	v_subrev_co_u32_e32 v17, vcc, s14, v17
	v_subbrev_co_u32_e32 v19, vcc, 0, v18, vcc
	v_mad_u64_u32 v[17:18], s[10:11], v17, s8, v[7:8]
	v_mad_u64_u32 v[18:19], s[10:11], v19, s8, v[18:19]
	global_load_dword v19, v[9:10], off
	s_nop 0
	global_load_dwordx2 v[17:18], v[17:18], off
	v_add_co_u32_e32 v9, vcc, 0xa90, v9
	v_addc_co_u32_e32 v10, vcc, 0, v10, vcc
	s_waitcnt vmcnt(1)
	v_cvt_f64_f32_e32 v[19:20], v19
	s_waitcnt vmcnt(0)
	v_fma_f64 v[5:6], v[19:20], v[17:18], v[5:6]
	s_branch .LBB521_9
.LBB521_12:
	v_lshlrev_b32_e32 v9, 3, v0
	s_and_b64 vcc, exec, s[16:17]
	ds_write_b64 v9, v[5:6]
	s_waitcnt lgkmcnt(0)
	s_barrier
	s_cbranch_vccz .LBB521_24
; %bb.13:
	v_cmp_gt_u16_e32 vcc, 10, v15
	s_and_saveexec_b64 s[0:1], vcc
	s_cbranch_execz .LBB521_15
; %bb.14:
	ds_read2_b64 v[10:13], v9 offset1:16
	s_waitcnt lgkmcnt(0)
	v_add_f64 v[7:8], v[12:13], v[10:11]
	ds_write_b64 v9, v[7:8]
.LBB521_15:
	s_or_b64 exec, exec, s[0:1]
	v_cmp_gt_u16_e32 vcc, 8, v15
	s_waitcnt lgkmcnt(0)
	s_barrier
	s_and_saveexec_b64 s[0:1], vcc
	s_cbranch_execz .LBB521_17
; %bb.16:
	ds_read2_b64 v[10:13], v9 offset1:8
	s_waitcnt lgkmcnt(0)
	v_add_f64 v[7:8], v[12:13], v[10:11]
	ds_write_b64 v9, v[7:8]
.LBB521_17:
	s_or_b64 exec, exec, s[0:1]
	v_cmp_gt_u16_e32 vcc, 4, v15
	s_waitcnt lgkmcnt(0)
	s_barrier
	;; [unrolled: 12-line block ×3, first 2 shown]
	s_and_saveexec_b64 s[0:1], vcc
	s_cbranch_execz .LBB521_21
; %bb.20:
	ds_read2_b64 v[10:13], v9 offset1:2
	s_waitcnt lgkmcnt(0)
	v_add_f64 v[7:8], v[12:13], v[10:11]
	ds_write_b64 v9, v[7:8]
.LBB521_21:
	s_or_b64 exec, exec, s[0:1]
	v_mov_b32_e32 v8, v6
	v_cmp_gt_u32_e32 vcc, 26, v0
	v_mov_b32_e32 v7, v5
	s_waitcnt lgkmcnt(0)
	s_barrier
	s_and_saveexec_b64 s[0:1], vcc
	s_cbranch_execz .LBB521_23
; %bb.22:
	s_movk_i32 s2, 0xc8
	v_mad_u32_u24 v7, v0, s2, v9
	ds_read_b128 v[10:13], v7
	s_waitcnt lgkmcnt(0)
	v_add_f64 v[7:8], v[10:11], v[12:13]
.LBB521_23:
	s_or_b64 exec, exec, s[0:1]
	s_branch .LBB521_36
.LBB521_24:
                                        ; implicit-def: $vgpr7_vgpr8
	s_cbranch_execz .LBB521_36
; %bb.25:
	s_movk_i32 s0, 0x104
	v_cmp_gt_u32_e32 vcc, s0, v0
	s_and_saveexec_b64 s[0:1], vcc
	s_cbranch_execz .LBB521_27
; %bb.26:
	ds_read_b64 v[7:8], v9 offset:3328
	ds_read_b64 v[10:11], v9
	s_waitcnt lgkmcnt(0)
	v_add_f64 v[7:8], v[7:8], v[10:11]
	ds_write_b64 v9, v[7:8]
.LBB521_27:
	s_or_b64 exec, exec, s[0:1]
	s_movk_i32 s0, 0xd0
	v_cmp_gt_u32_e32 vcc, s0, v0
	s_waitcnt lgkmcnt(0)
	s_barrier
	s_and_saveexec_b64 s[0:1], vcc
	s_cbranch_execz .LBB521_29
; %bb.28:
	ds_read2_b64 v[10:13], v9 offset1:208
	s_waitcnt lgkmcnt(0)
	v_add_f64 v[7:8], v[12:13], v[10:11]
	ds_write_b64 v9, v[7:8]
.LBB521_29:
	s_or_b64 exec, exec, s[0:1]
	s_movk_i32 s0, 0x68
	v_cmp_gt_u32_e32 vcc, s0, v0
	s_waitcnt lgkmcnt(0)
	s_barrier
	s_and_saveexec_b64 s[0:1], vcc
	s_cbranch_execz .LBB521_31
; %bb.30:
	ds_read2_b64 v[10:13], v9 offset1:104
	s_waitcnt lgkmcnt(0)
	v_add_f64 v[7:8], v[12:13], v[10:11]
	ds_write_b64 v9, v[7:8]
.LBB521_31:
	s_or_b64 exec, exec, s[0:1]
	v_cmp_gt_u32_e32 vcc, 52, v0
	s_waitcnt lgkmcnt(0)
	s_barrier
	s_and_saveexec_b64 s[0:1], vcc
	s_cbranch_execz .LBB521_33
; %bb.32:
	ds_read2_b64 v[10:13], v9 offset1:52
	s_waitcnt lgkmcnt(0)
	v_add_f64 v[7:8], v[12:13], v[10:11]
	ds_write_b64 v9, v[7:8]
.LBB521_33:
	s_or_b64 exec, exec, s[0:1]
	v_cmp_gt_u32_e32 vcc, 26, v0
	s_waitcnt lgkmcnt(0)
	s_and_saveexec_b64 s[0:1], vcc
	s_cbranch_execz .LBB521_35
; %bb.34:
	ds_read2_b64 v[5:8], v9 offset1:26
	s_waitcnt lgkmcnt(0)
	v_add_f64 v[5:6], v[5:6], v[7:8]
.LBB521_35:
	s_or_b64 exec, exec, s[0:1]
	v_mov_b32_e32 v8, v6
	v_mov_b32_e32 v7, v5
.LBB521_36:
	v_cmp_gt_u32_e32 vcc, 26, v0
	s_and_b64 exec, exec, vcc
	s_cbranch_execz .LBB521_41
; %bb.37:
	v_cmp_eq_f64_e32 vcc, 0, v[1:2]
	v_mul_f64 v[3:4], v[3:4], v[7:8]
	s_mul_i32 s2, s7, 0xd0
	s_mul_hi_u32 s3, s6, 0xd0
	s_mul_i32 s4, s6, 0xd0
	s_and_saveexec_b64 s[0:1], vcc
	s_xor_b64 s[0:1], exec, s[0:1]
	s_cbranch_execz .LBB521_39
; %bb.38:
	s_add_i32 s5, s3, s2
	s_add_u32 s6, s12, s4
	s_addc_u32 s7, s13, s5
	global_store_dwordx2 v9, v[3:4], s[6:7]
                                        ; implicit-def: $vgpr9
                                        ; implicit-def: $vgpr1_vgpr2
                                        ; implicit-def: $vgpr3_vgpr4
.LBB521_39:
	s_andn2_saveexec_b64 s[0:1], s[0:1]
	s_cbranch_execz .LBB521_41
; %bb.40:
	s_add_i32 s3, s3, s2
	s_add_u32 s0, s12, s4
	s_addc_u32 s1, s13, s3
	global_load_dwordx2 v[5:6], v9, s[0:1]
	s_waitcnt vmcnt(0)
	v_fma_f64 v[0:1], v[1:2], v[5:6], v[3:4]
	global_store_dwordx2 v9, v[0:1], s[0:1]
.LBB521_41:
	s_endpgm
	.section	.rodata,"a",@progbits
	.p2align	6, 0x0
	.amdhsa_kernel _ZN9rocsparseL20bsrxmvn_17_32_kernelILj26EdllfddEEvT2_20rocsparse_direction_NS_24const_host_device_scalarIT0_EES1_PKS1_PKT1_SA_S7_PKT3_PKT4_S5_PT5_21rocsparse_index_base_b
		.amdhsa_group_segment_fixed_size 5408
		.amdhsa_private_segment_fixed_size 0
		.amdhsa_kernarg_size 104
		.amdhsa_user_sgpr_count 6
		.amdhsa_user_sgpr_private_segment_buffer 1
		.amdhsa_user_sgpr_dispatch_ptr 0
		.amdhsa_user_sgpr_queue_ptr 0
		.amdhsa_user_sgpr_kernarg_segment_ptr 1
		.amdhsa_user_sgpr_dispatch_id 0
		.amdhsa_user_sgpr_flat_scratch_init 0
		.amdhsa_user_sgpr_private_segment_size 0
		.amdhsa_uses_dynamic_stack 0
		.amdhsa_system_sgpr_private_segment_wavefront_offset 0
		.amdhsa_system_sgpr_workgroup_id_x 1
		.amdhsa_system_sgpr_workgroup_id_y 0
		.amdhsa_system_sgpr_workgroup_id_z 0
		.amdhsa_system_sgpr_workgroup_info 0
		.amdhsa_system_vgpr_workitem_id 0
		.amdhsa_next_free_vgpr 25
		.amdhsa_next_free_sgpr 61
		.amdhsa_reserve_vcc 1
		.amdhsa_reserve_flat_scratch 0
		.amdhsa_float_round_mode_32 0
		.amdhsa_float_round_mode_16_64 0
		.amdhsa_float_denorm_mode_32 3
		.amdhsa_float_denorm_mode_16_64 3
		.amdhsa_dx10_clamp 1
		.amdhsa_ieee_mode 1
		.amdhsa_fp16_overflow 0
		.amdhsa_exception_fp_ieee_invalid_op 0
		.amdhsa_exception_fp_denorm_src 0
		.amdhsa_exception_fp_ieee_div_zero 0
		.amdhsa_exception_fp_ieee_overflow 0
		.amdhsa_exception_fp_ieee_underflow 0
		.amdhsa_exception_fp_ieee_inexact 0
		.amdhsa_exception_int_div_zero 0
	.end_amdhsa_kernel
	.section	.text._ZN9rocsparseL20bsrxmvn_17_32_kernelILj26EdllfddEEvT2_20rocsparse_direction_NS_24const_host_device_scalarIT0_EES1_PKS1_PKT1_SA_S7_PKT3_PKT4_S5_PT5_21rocsparse_index_base_b,"axG",@progbits,_ZN9rocsparseL20bsrxmvn_17_32_kernelILj26EdllfddEEvT2_20rocsparse_direction_NS_24const_host_device_scalarIT0_EES1_PKS1_PKT1_SA_S7_PKT3_PKT4_S5_PT5_21rocsparse_index_base_b,comdat
.Lfunc_end521:
	.size	_ZN9rocsparseL20bsrxmvn_17_32_kernelILj26EdllfddEEvT2_20rocsparse_direction_NS_24const_host_device_scalarIT0_EES1_PKS1_PKT1_SA_S7_PKT3_PKT4_S5_PT5_21rocsparse_index_base_b, .Lfunc_end521-_ZN9rocsparseL20bsrxmvn_17_32_kernelILj26EdllfddEEvT2_20rocsparse_direction_NS_24const_host_device_scalarIT0_EES1_PKS1_PKT1_SA_S7_PKT3_PKT4_S5_PT5_21rocsparse_index_base_b
                                        ; -- End function
	.set _ZN9rocsparseL20bsrxmvn_17_32_kernelILj26EdllfddEEvT2_20rocsparse_direction_NS_24const_host_device_scalarIT0_EES1_PKS1_PKT1_SA_S7_PKT3_PKT4_S5_PT5_21rocsparse_index_base_b.num_vgpr, 21
	.set _ZN9rocsparseL20bsrxmvn_17_32_kernelILj26EdllfddEEvT2_20rocsparse_direction_NS_24const_host_device_scalarIT0_EES1_PKS1_PKT1_SA_S7_PKT3_PKT4_S5_PT5_21rocsparse_index_base_b.num_agpr, 0
	.set _ZN9rocsparseL20bsrxmvn_17_32_kernelILj26EdllfddEEvT2_20rocsparse_direction_NS_24const_host_device_scalarIT0_EES1_PKS1_PKT1_SA_S7_PKT3_PKT4_S5_PT5_21rocsparse_index_base_b.numbered_sgpr, 22
	.set _ZN9rocsparseL20bsrxmvn_17_32_kernelILj26EdllfddEEvT2_20rocsparse_direction_NS_24const_host_device_scalarIT0_EES1_PKS1_PKT1_SA_S7_PKT3_PKT4_S5_PT5_21rocsparse_index_base_b.num_named_barrier, 0
	.set _ZN9rocsparseL20bsrxmvn_17_32_kernelILj26EdllfddEEvT2_20rocsparse_direction_NS_24const_host_device_scalarIT0_EES1_PKS1_PKT1_SA_S7_PKT3_PKT4_S5_PT5_21rocsparse_index_base_b.private_seg_size, 0
	.set _ZN9rocsparseL20bsrxmvn_17_32_kernelILj26EdllfddEEvT2_20rocsparse_direction_NS_24const_host_device_scalarIT0_EES1_PKS1_PKT1_SA_S7_PKT3_PKT4_S5_PT5_21rocsparse_index_base_b.uses_vcc, 1
	.set _ZN9rocsparseL20bsrxmvn_17_32_kernelILj26EdllfddEEvT2_20rocsparse_direction_NS_24const_host_device_scalarIT0_EES1_PKS1_PKT1_SA_S7_PKT3_PKT4_S5_PT5_21rocsparse_index_base_b.uses_flat_scratch, 0
	.set _ZN9rocsparseL20bsrxmvn_17_32_kernelILj26EdllfddEEvT2_20rocsparse_direction_NS_24const_host_device_scalarIT0_EES1_PKS1_PKT1_SA_S7_PKT3_PKT4_S5_PT5_21rocsparse_index_base_b.has_dyn_sized_stack, 0
	.set _ZN9rocsparseL20bsrxmvn_17_32_kernelILj26EdllfddEEvT2_20rocsparse_direction_NS_24const_host_device_scalarIT0_EES1_PKS1_PKT1_SA_S7_PKT3_PKT4_S5_PT5_21rocsparse_index_base_b.has_recursion, 0
	.set _ZN9rocsparseL20bsrxmvn_17_32_kernelILj26EdllfddEEvT2_20rocsparse_direction_NS_24const_host_device_scalarIT0_EES1_PKS1_PKT1_SA_S7_PKT3_PKT4_S5_PT5_21rocsparse_index_base_b.has_indirect_call, 0
	.section	.AMDGPU.csdata,"",@progbits
; Kernel info:
; codeLenInByte = 1424
; TotalNumSgprs: 26
; NumVgprs: 21
; ScratchSize: 0
; MemoryBound: 0
; FloatMode: 240
; IeeeMode: 1
; LDSByteSize: 5408 bytes/workgroup (compile time only)
; SGPRBlocks: 8
; VGPRBlocks: 6
; NumSGPRsForWavesPerEU: 65
; NumVGPRsForWavesPerEU: 25
; Occupancy: 9
; WaveLimiterHint : 1
; COMPUTE_PGM_RSRC2:SCRATCH_EN: 0
; COMPUTE_PGM_RSRC2:USER_SGPR: 6
; COMPUTE_PGM_RSRC2:TRAP_HANDLER: 0
; COMPUTE_PGM_RSRC2:TGID_X_EN: 1
; COMPUTE_PGM_RSRC2:TGID_Y_EN: 0
; COMPUTE_PGM_RSRC2:TGID_Z_EN: 0
; COMPUTE_PGM_RSRC2:TIDIG_COMP_CNT: 0
	.section	.text._ZN9rocsparseL20bsrxmvn_17_32_kernelILj27EdllfddEEvT2_20rocsparse_direction_NS_24const_host_device_scalarIT0_EES1_PKS1_PKT1_SA_S7_PKT3_PKT4_S5_PT5_21rocsparse_index_base_b,"axG",@progbits,_ZN9rocsparseL20bsrxmvn_17_32_kernelILj27EdllfddEEvT2_20rocsparse_direction_NS_24const_host_device_scalarIT0_EES1_PKS1_PKT1_SA_S7_PKT3_PKT4_S5_PT5_21rocsparse_index_base_b,comdat
	.globl	_ZN9rocsparseL20bsrxmvn_17_32_kernelILj27EdllfddEEvT2_20rocsparse_direction_NS_24const_host_device_scalarIT0_EES1_PKS1_PKT1_SA_S7_PKT3_PKT4_S5_PT5_21rocsparse_index_base_b ; -- Begin function _ZN9rocsparseL20bsrxmvn_17_32_kernelILj27EdllfddEEvT2_20rocsparse_direction_NS_24const_host_device_scalarIT0_EES1_PKS1_PKT1_SA_S7_PKT3_PKT4_S5_PT5_21rocsparse_index_base_b
	.p2align	8
	.type	_ZN9rocsparseL20bsrxmvn_17_32_kernelILj27EdllfddEEvT2_20rocsparse_direction_NS_24const_host_device_scalarIT0_EES1_PKS1_PKT1_SA_S7_PKT3_PKT4_S5_PT5_21rocsparse_index_base_b,@function
_ZN9rocsparseL20bsrxmvn_17_32_kernelILj27EdllfddEEvT2_20rocsparse_direction_NS_24const_host_device_scalarIT0_EES1_PKS1_PKT1_SA_S7_PKT3_PKT4_S5_PT5_21rocsparse_index_base_b: ; @_ZN9rocsparseL20bsrxmvn_17_32_kernelILj27EdllfddEEvT2_20rocsparse_direction_NS_24const_host_device_scalarIT0_EES1_PKS1_PKT1_SA_S7_PKT3_PKT4_S5_PT5_21rocsparse_index_base_b
; %bb.0:
	s_load_dwordx2 s[14:15], s[4:5], 0x60
	s_load_dwordx2 s[8:9], s[4:5], 0x10
	;; [unrolled: 1-line block ×3, first 2 shown]
	s_waitcnt lgkmcnt(0)
	s_bitcmp1_b32 s15, 0
	s_cselect_b64 s[10:11], -1, 0
	v_mov_b32_e32 v3, s8
	s_xor_b64 s[2:3], s[10:11], -1
	s_and_b64 vcc, exec, s[10:11]
	v_mov_b32_e32 v4, s9
	s_cbranch_vccnz .LBB522_2
; %bb.1:
	v_mov_b32_e32 v1, s8
	v_mov_b32_e32 v2, s9
	flat_load_dwordx2 v[3:4], v[1:2]
.LBB522_2:
	v_mov_b32_e32 v2, s1
	s_andn2_b64 vcc, exec, s[2:3]
	v_mov_b32_e32 v1, s0
	s_cbranch_vccnz .LBB522_4
; %bb.3:
	v_mov_b32_e32 v2, s1
	v_mov_b32_e32 v1, s0
	flat_load_dwordx2 v[1:2], v[1:2]
.LBB522_4:
	s_waitcnt vmcnt(0) lgkmcnt(0)
	v_cmp_neq_f64_e32 vcc, 0, v[3:4]
	v_cmp_neq_f64_e64 s[0:1], 1.0, v[1:2]
	s_or_b64 s[0:1], vcc, s[0:1]
	s_and_saveexec_b64 s[2:3], s[0:1]
	s_cbranch_execz .LBB522_41
; %bb.5:
	s_load_dwordx4 s[0:3], s[4:5], 0x20
	s_load_dwordx2 s[8:9], s[4:5], 0x30
	s_mov_b32 s7, 0
	s_waitcnt lgkmcnt(0)
	s_cmp_eq_u64 s[0:1], 0
	s_cbranch_scc1 .LBB522_7
; %bb.6:
	s_lshl_b64 s[6:7], s[6:7], 3
	s_add_u32 s0, s0, s6
	s_addc_u32 s1, s1, s7
	s_load_dwordx2 s[0:1], s[0:1], 0x0
	s_waitcnt lgkmcnt(0)
	s_sub_u32 s6, s0, s14
	s_subb_u32 s7, s1, 0
.LBB522_7:
	s_load_dword s10, s[4:5], 0x8
	s_load_dwordx2 s[12:13], s[4:5], 0x58
	v_mul_u32_u24_e32 v8, 0x97c, v0
	v_mov_b32_e32 v5, 27
	v_mul_lo_u16_sdwa v5, v8, v5 dst_sel:DWORD dst_unused:UNUSED_PAD src0_sel:WORD_1 src1_sel:DWORD
	s_waitcnt lgkmcnt(0)
	s_cmp_eq_u32 s10, 1
	s_cselect_b64 s[0:1], -1, 0
	s_cmp_lg_u32 s10, 1
	s_cselect_b64 s[16:17], -1, 0
	s_lshl_b64 s[10:11], s[6:7], 3
	s_add_u32 s20, s2, s10
	s_addc_u32 s21, s3, s11
	s_add_u32 s2, s20, 8
	s_addc_u32 s3, s21, 0
	;; [unrolled: 2-line block ×3, first 2 shown]
	s_cmp_eq_u64 s[8:9], 0
	s_cselect_b32 s9, s3, s11
	s_cselect_b32 s8, s2, s10
	s_load_dwordx2 s[2:3], s[8:9], 0x0
	s_load_dwordx2 s[18:19], s[20:21], 0x0
	v_sub_u16_e32 v15, v0, v5
	v_mov_b32_e32 v7, 0
	s_waitcnt lgkmcnt(0)
	v_mov_b32_e32 v6, s3
	v_mov_b32_e32 v5, s2
	v_cmp_ge_i64_e32 vcc, s[18:19], v[5:6]
	v_mov_b32_e32 v5, 0
	v_mov_b32_e32 v6, 0
	s_cbranch_vccnz .LBB522_12
; %bb.8:
	s_load_dwordx4 s[8:11], s[4:5], 0x38
	s_load_dwordx2 s[20:21], s[4:5], 0x48
	s_mov_b32 s4, 0xffff
	s_movk_i32 s5, 0x2d9
	v_and_b32_sdwa v5, s4, v8 dst_sel:DWORD dst_unused:UNUSED_PAD src0_sel:DWORD src1_sel:WORD_1
	s_sub_u32 s2, s2, s14
	v_subrev_u32_e32 v6, 27, v5
	v_cmp_gt_u32_e32 vcc, s5, v0
	s_subb_u32 s3, s3, 0
	v_cndmask_b32_e32 v5, v6, v5, vcc
	s_sub_u32 s4, s18, s14
	v_cndmask_b32_e64 v6, v15, v5, s[0:1]
	s_subb_u32 s5, s19, 0
	v_lshlrev_b64 v[5:6], 3, v[6:7]
	s_mul_i32 s0, s5, 0xb64
	s_mul_hi_u32 s1, s4, 0xb64
	s_add_i32 s1, s1, s0
	s_mul_i32 s0, s4, 0xb64
	s_waitcnt lgkmcnt(0)
	v_mov_b32_e32 v8, s21
	v_add_co_u32_e32 v7, vcc, s20, v5
	s_add_u32 s0, s10, s0
	v_addc_co_u32_e32 v8, vcc, v8, v6, vcc
	s_addc_u32 s1, s11, s1
	v_lshlrev_b32_e32 v5, 2, v0
	v_mov_b32_e32 v6, s1
	v_add_co_u32_e32 v9, vcc, s0, v5
	v_addc_co_u32_e32 v10, vcc, 0, v6, vcc
	s_movk_i32 s0, 0x2d8
	v_cmp_lt_u32_e32 vcc, s0, v0
	v_cndmask_b32_e64 v16, 0, 1, vcc
	v_mov_b32_e32 v5, s19
	v_add_co_u32_e32 v6, vcc, s18, v16
	v_addc_co_u32_e32 v11, vcc, 0, v5, vcc
	v_subrev_co_u32_e32 v5, vcc, s14, v6
	v_subbrev_co_u32_e32 v6, vcc, 0, v11, vcc
	v_lshlrev_b64 v[5:6], 3, v[5:6]
	v_mov_b32_e32 v12, s9
	v_add_co_u32_e32 v11, vcc, s8, v5
	v_addc_co_u32_e32 v12, vcc, v12, v6, vcc
	v_mov_b32_e32 v5, 0
	v_mov_b32_e32 v14, s3
	v_mov_b32_e32 v6, 0
	s_movk_i32 s8, 0xd8
	v_mov_b32_e32 v13, s2
	s_branch .LBB522_10
.LBB522_9:                              ;   in Loop: Header=BB522_10 Depth=1
	s_or_b64 exec, exec, s[0:1]
	s_add_u32 s4, s4, 1
	s_addc_u32 s5, s5, 0
	v_cmp_lt_i64_e32 vcc, s[4:5], v[13:14]
	v_add_co_u32_e64 v11, s[0:1], 8, v11
	v_addc_co_u32_e64 v12, s[0:1], 0, v12, s[0:1]
	s_cbranch_vccz .LBB522_12
.LBB522_10:                             ; =>This Inner Loop Header: Depth=1
	v_mov_b32_e32 v18, s5
	v_add_co_u32_e32 v17, vcc, s4, v16
	v_addc_co_u32_e32 v18, vcc, 0, v18, vcc
	v_cmp_gt_i64_e32 vcc, s[2:3], v[17:18]
	s_and_saveexec_b64 s[0:1], vcc
	s_cbranch_execz .LBB522_9
; %bb.11:                               ;   in Loop: Header=BB522_10 Depth=1
	global_load_dwordx2 v[17:18], v[11:12], off
	s_waitcnt vmcnt(0)
	v_subrev_co_u32_e32 v17, vcc, s14, v17
	v_subbrev_co_u32_e32 v19, vcc, 0, v18, vcc
	v_mad_u64_u32 v[17:18], s[10:11], v17, s8, v[7:8]
	v_mad_u64_u32 v[18:19], s[10:11], v19, s8, v[18:19]
	global_load_dword v19, v[9:10], off
	s_nop 0
	global_load_dwordx2 v[17:18], v[17:18], off
	v_add_co_u32_e32 v9, vcc, 0xb64, v9
	v_addc_co_u32_e32 v10, vcc, 0, v10, vcc
	s_waitcnt vmcnt(1)
	v_cvt_f64_f32_e32 v[19:20], v19
	s_waitcnt vmcnt(0)
	v_fma_f64 v[5:6], v[19:20], v[17:18], v[5:6]
	s_branch .LBB522_9
.LBB522_12:
	v_lshlrev_b32_e32 v9, 3, v0
	s_and_b64 vcc, exec, s[16:17]
	ds_write_b64 v9, v[5:6]
	s_waitcnt lgkmcnt(0)
	s_barrier
	s_cbranch_vccz .LBB522_24
; %bb.13:
	v_cmp_gt_u16_e32 vcc, 11, v15
	s_and_saveexec_b64 s[0:1], vcc
	s_cbranch_execz .LBB522_15
; %bb.14:
	ds_read2_b64 v[10:13], v9 offset1:16
	s_waitcnt lgkmcnt(0)
	v_add_f64 v[7:8], v[12:13], v[10:11]
	ds_write_b64 v9, v[7:8]
.LBB522_15:
	s_or_b64 exec, exec, s[0:1]
	v_cmp_gt_u16_e32 vcc, 8, v15
	s_waitcnt lgkmcnt(0)
	s_barrier
	s_and_saveexec_b64 s[0:1], vcc
	s_cbranch_execz .LBB522_17
; %bb.16:
	ds_read2_b64 v[10:13], v9 offset1:8
	s_waitcnt lgkmcnt(0)
	v_add_f64 v[7:8], v[12:13], v[10:11]
	ds_write_b64 v9, v[7:8]
.LBB522_17:
	s_or_b64 exec, exec, s[0:1]
	v_cmp_gt_u16_e32 vcc, 4, v15
	s_waitcnt lgkmcnt(0)
	s_barrier
	;; [unrolled: 12-line block ×3, first 2 shown]
	s_and_saveexec_b64 s[0:1], vcc
	s_cbranch_execz .LBB522_21
; %bb.20:
	ds_read2_b64 v[10:13], v9 offset1:2
	s_waitcnt lgkmcnt(0)
	v_add_f64 v[7:8], v[12:13], v[10:11]
	ds_write_b64 v9, v[7:8]
.LBB522_21:
	s_or_b64 exec, exec, s[0:1]
	v_mov_b32_e32 v8, v6
	v_cmp_gt_u32_e32 vcc, 27, v0
	v_mov_b32_e32 v7, v5
	s_waitcnt lgkmcnt(0)
	s_barrier
	s_and_saveexec_b64 s[0:1], vcc
	s_cbranch_execz .LBB522_23
; %bb.22:
	s_movk_i32 s2, 0xd0
	v_mad_u32_u24 v7, v0, s2, v9
	ds_read2_b64 v[10:13], v7 offset1:1
	s_waitcnt lgkmcnt(0)
	v_add_f64 v[7:8], v[10:11], v[12:13]
.LBB522_23:
	s_or_b64 exec, exec, s[0:1]
	s_branch .LBB522_36
.LBB522_24:
                                        ; implicit-def: $vgpr7_vgpr8
	s_cbranch_execz .LBB522_36
; %bb.25:
	s_movk_i32 s0, 0x129
	v_cmp_gt_u32_e32 vcc, s0, v0
	s_and_saveexec_b64 s[0:1], vcc
	s_cbranch_execz .LBB522_27
; %bb.26:
	ds_read_b64 v[7:8], v9 offset:3456
	ds_read_b64 v[10:11], v9
	s_waitcnt lgkmcnt(0)
	v_add_f64 v[7:8], v[7:8], v[10:11]
	ds_write_b64 v9, v[7:8]
.LBB522_27:
	s_or_b64 exec, exec, s[0:1]
	s_movk_i32 s0, 0xd8
	v_cmp_gt_u32_e32 vcc, s0, v0
	s_waitcnt lgkmcnt(0)
	s_barrier
	s_and_saveexec_b64 s[0:1], vcc
	s_cbranch_execz .LBB522_29
; %bb.28:
	ds_read2_b64 v[10:13], v9 offset1:216
	s_waitcnt lgkmcnt(0)
	v_add_f64 v[7:8], v[12:13], v[10:11]
	ds_write_b64 v9, v[7:8]
.LBB522_29:
	s_or_b64 exec, exec, s[0:1]
	s_movk_i32 s0, 0x6c
	v_cmp_gt_u32_e32 vcc, s0, v0
	s_waitcnt lgkmcnt(0)
	s_barrier
	s_and_saveexec_b64 s[0:1], vcc
	s_cbranch_execz .LBB522_31
; %bb.30:
	ds_read2_b64 v[10:13], v9 offset1:108
	s_waitcnt lgkmcnt(0)
	v_add_f64 v[7:8], v[12:13], v[10:11]
	ds_write_b64 v9, v[7:8]
.LBB522_31:
	s_or_b64 exec, exec, s[0:1]
	v_cmp_gt_u32_e32 vcc, 54, v0
	s_waitcnt lgkmcnt(0)
	s_barrier
	s_and_saveexec_b64 s[0:1], vcc
	s_cbranch_execz .LBB522_33
; %bb.32:
	ds_read2_b64 v[10:13], v9 offset1:54
	s_waitcnt lgkmcnt(0)
	v_add_f64 v[7:8], v[12:13], v[10:11]
	ds_write_b64 v9, v[7:8]
.LBB522_33:
	s_or_b64 exec, exec, s[0:1]
	v_cmp_gt_u32_e32 vcc, 27, v0
	s_waitcnt lgkmcnt(0)
	s_and_saveexec_b64 s[0:1], vcc
	s_cbranch_execz .LBB522_35
; %bb.34:
	ds_read2_b64 v[5:8], v9 offset1:27
	s_waitcnt lgkmcnt(0)
	v_add_f64 v[5:6], v[5:6], v[7:8]
.LBB522_35:
	s_or_b64 exec, exec, s[0:1]
	v_mov_b32_e32 v8, v6
	v_mov_b32_e32 v7, v5
.LBB522_36:
	v_cmp_gt_u32_e32 vcc, 27, v0
	s_and_b64 exec, exec, vcc
	s_cbranch_execz .LBB522_41
; %bb.37:
	v_cmp_eq_f64_e32 vcc, 0, v[1:2]
	v_mul_f64 v[3:4], v[3:4], v[7:8]
	s_mul_i32 s2, s7, 0xd8
	s_mul_hi_u32 s3, s6, 0xd8
	s_mul_i32 s4, s6, 0xd8
	s_and_saveexec_b64 s[0:1], vcc
	s_xor_b64 s[0:1], exec, s[0:1]
	s_cbranch_execz .LBB522_39
; %bb.38:
	s_add_i32 s5, s3, s2
	s_add_u32 s6, s12, s4
	s_addc_u32 s7, s13, s5
	global_store_dwordx2 v9, v[3:4], s[6:7]
                                        ; implicit-def: $vgpr9
                                        ; implicit-def: $vgpr1_vgpr2
                                        ; implicit-def: $vgpr3_vgpr4
.LBB522_39:
	s_andn2_saveexec_b64 s[0:1], s[0:1]
	s_cbranch_execz .LBB522_41
; %bb.40:
	s_add_i32 s3, s3, s2
	s_add_u32 s0, s12, s4
	s_addc_u32 s1, s13, s3
	global_load_dwordx2 v[5:6], v9, s[0:1]
	s_waitcnt vmcnt(0)
	v_fma_f64 v[0:1], v[1:2], v[5:6], v[3:4]
	global_store_dwordx2 v9, v[0:1], s[0:1]
.LBB522_41:
	s_endpgm
	.section	.rodata,"a",@progbits
	.p2align	6, 0x0
	.amdhsa_kernel _ZN9rocsparseL20bsrxmvn_17_32_kernelILj27EdllfddEEvT2_20rocsparse_direction_NS_24const_host_device_scalarIT0_EES1_PKS1_PKT1_SA_S7_PKT3_PKT4_S5_PT5_21rocsparse_index_base_b
		.amdhsa_group_segment_fixed_size 5832
		.amdhsa_private_segment_fixed_size 0
		.amdhsa_kernarg_size 104
		.amdhsa_user_sgpr_count 6
		.amdhsa_user_sgpr_private_segment_buffer 1
		.amdhsa_user_sgpr_dispatch_ptr 0
		.amdhsa_user_sgpr_queue_ptr 0
		.amdhsa_user_sgpr_kernarg_segment_ptr 1
		.amdhsa_user_sgpr_dispatch_id 0
		.amdhsa_user_sgpr_flat_scratch_init 0
		.amdhsa_user_sgpr_private_segment_size 0
		.amdhsa_uses_dynamic_stack 0
		.amdhsa_system_sgpr_private_segment_wavefront_offset 0
		.amdhsa_system_sgpr_workgroup_id_x 1
		.amdhsa_system_sgpr_workgroup_id_y 0
		.amdhsa_system_sgpr_workgroup_id_z 0
		.amdhsa_system_sgpr_workgroup_info 0
		.amdhsa_system_vgpr_workitem_id 0
		.amdhsa_next_free_vgpr 25
		.amdhsa_next_free_sgpr 61
		.amdhsa_reserve_vcc 1
		.amdhsa_reserve_flat_scratch 0
		.amdhsa_float_round_mode_32 0
		.amdhsa_float_round_mode_16_64 0
		.amdhsa_float_denorm_mode_32 3
		.amdhsa_float_denorm_mode_16_64 3
		.amdhsa_dx10_clamp 1
		.amdhsa_ieee_mode 1
		.amdhsa_fp16_overflow 0
		.amdhsa_exception_fp_ieee_invalid_op 0
		.amdhsa_exception_fp_denorm_src 0
		.amdhsa_exception_fp_ieee_div_zero 0
		.amdhsa_exception_fp_ieee_overflow 0
		.amdhsa_exception_fp_ieee_underflow 0
		.amdhsa_exception_fp_ieee_inexact 0
		.amdhsa_exception_int_div_zero 0
	.end_amdhsa_kernel
	.section	.text._ZN9rocsparseL20bsrxmvn_17_32_kernelILj27EdllfddEEvT2_20rocsparse_direction_NS_24const_host_device_scalarIT0_EES1_PKS1_PKT1_SA_S7_PKT3_PKT4_S5_PT5_21rocsparse_index_base_b,"axG",@progbits,_ZN9rocsparseL20bsrxmvn_17_32_kernelILj27EdllfddEEvT2_20rocsparse_direction_NS_24const_host_device_scalarIT0_EES1_PKS1_PKT1_SA_S7_PKT3_PKT4_S5_PT5_21rocsparse_index_base_b,comdat
.Lfunc_end522:
	.size	_ZN9rocsparseL20bsrxmvn_17_32_kernelILj27EdllfddEEvT2_20rocsparse_direction_NS_24const_host_device_scalarIT0_EES1_PKS1_PKT1_SA_S7_PKT3_PKT4_S5_PT5_21rocsparse_index_base_b, .Lfunc_end522-_ZN9rocsparseL20bsrxmvn_17_32_kernelILj27EdllfddEEvT2_20rocsparse_direction_NS_24const_host_device_scalarIT0_EES1_PKS1_PKT1_SA_S7_PKT3_PKT4_S5_PT5_21rocsparse_index_base_b
                                        ; -- End function
	.set _ZN9rocsparseL20bsrxmvn_17_32_kernelILj27EdllfddEEvT2_20rocsparse_direction_NS_24const_host_device_scalarIT0_EES1_PKS1_PKT1_SA_S7_PKT3_PKT4_S5_PT5_21rocsparse_index_base_b.num_vgpr, 21
	.set _ZN9rocsparseL20bsrxmvn_17_32_kernelILj27EdllfddEEvT2_20rocsparse_direction_NS_24const_host_device_scalarIT0_EES1_PKS1_PKT1_SA_S7_PKT3_PKT4_S5_PT5_21rocsparse_index_base_b.num_agpr, 0
	.set _ZN9rocsparseL20bsrxmvn_17_32_kernelILj27EdllfddEEvT2_20rocsparse_direction_NS_24const_host_device_scalarIT0_EES1_PKS1_PKT1_SA_S7_PKT3_PKT4_S5_PT5_21rocsparse_index_base_b.numbered_sgpr, 22
	.set _ZN9rocsparseL20bsrxmvn_17_32_kernelILj27EdllfddEEvT2_20rocsparse_direction_NS_24const_host_device_scalarIT0_EES1_PKS1_PKT1_SA_S7_PKT3_PKT4_S5_PT5_21rocsparse_index_base_b.num_named_barrier, 0
	.set _ZN9rocsparseL20bsrxmvn_17_32_kernelILj27EdllfddEEvT2_20rocsparse_direction_NS_24const_host_device_scalarIT0_EES1_PKS1_PKT1_SA_S7_PKT3_PKT4_S5_PT5_21rocsparse_index_base_b.private_seg_size, 0
	.set _ZN9rocsparseL20bsrxmvn_17_32_kernelILj27EdllfddEEvT2_20rocsparse_direction_NS_24const_host_device_scalarIT0_EES1_PKS1_PKT1_SA_S7_PKT3_PKT4_S5_PT5_21rocsparse_index_base_b.uses_vcc, 1
	.set _ZN9rocsparseL20bsrxmvn_17_32_kernelILj27EdllfddEEvT2_20rocsparse_direction_NS_24const_host_device_scalarIT0_EES1_PKS1_PKT1_SA_S7_PKT3_PKT4_S5_PT5_21rocsparse_index_base_b.uses_flat_scratch, 0
	.set _ZN9rocsparseL20bsrxmvn_17_32_kernelILj27EdllfddEEvT2_20rocsparse_direction_NS_24const_host_device_scalarIT0_EES1_PKS1_PKT1_SA_S7_PKT3_PKT4_S5_PT5_21rocsparse_index_base_b.has_dyn_sized_stack, 0
	.set _ZN9rocsparseL20bsrxmvn_17_32_kernelILj27EdllfddEEvT2_20rocsparse_direction_NS_24const_host_device_scalarIT0_EES1_PKS1_PKT1_SA_S7_PKT3_PKT4_S5_PT5_21rocsparse_index_base_b.has_recursion, 0
	.set _ZN9rocsparseL20bsrxmvn_17_32_kernelILj27EdllfddEEvT2_20rocsparse_direction_NS_24const_host_device_scalarIT0_EES1_PKS1_PKT1_SA_S7_PKT3_PKT4_S5_PT5_21rocsparse_index_base_b.has_indirect_call, 0
	.section	.AMDGPU.csdata,"",@progbits
; Kernel info:
; codeLenInByte = 1424
; TotalNumSgprs: 26
; NumVgprs: 21
; ScratchSize: 0
; MemoryBound: 0
; FloatMode: 240
; IeeeMode: 1
; LDSByteSize: 5832 bytes/workgroup (compile time only)
; SGPRBlocks: 8
; VGPRBlocks: 6
; NumSGPRsForWavesPerEU: 65
; NumVGPRsForWavesPerEU: 25
; Occupancy: 9
; WaveLimiterHint : 1
; COMPUTE_PGM_RSRC2:SCRATCH_EN: 0
; COMPUTE_PGM_RSRC2:USER_SGPR: 6
; COMPUTE_PGM_RSRC2:TRAP_HANDLER: 0
; COMPUTE_PGM_RSRC2:TGID_X_EN: 1
; COMPUTE_PGM_RSRC2:TGID_Y_EN: 0
; COMPUTE_PGM_RSRC2:TGID_Z_EN: 0
; COMPUTE_PGM_RSRC2:TIDIG_COMP_CNT: 0
	.section	.text._ZN9rocsparseL20bsrxmvn_17_32_kernelILj28EdllfddEEvT2_20rocsparse_direction_NS_24const_host_device_scalarIT0_EES1_PKS1_PKT1_SA_S7_PKT3_PKT4_S5_PT5_21rocsparse_index_base_b,"axG",@progbits,_ZN9rocsparseL20bsrxmvn_17_32_kernelILj28EdllfddEEvT2_20rocsparse_direction_NS_24const_host_device_scalarIT0_EES1_PKS1_PKT1_SA_S7_PKT3_PKT4_S5_PT5_21rocsparse_index_base_b,comdat
	.globl	_ZN9rocsparseL20bsrxmvn_17_32_kernelILj28EdllfddEEvT2_20rocsparse_direction_NS_24const_host_device_scalarIT0_EES1_PKS1_PKT1_SA_S7_PKT3_PKT4_S5_PT5_21rocsparse_index_base_b ; -- Begin function _ZN9rocsparseL20bsrxmvn_17_32_kernelILj28EdllfddEEvT2_20rocsparse_direction_NS_24const_host_device_scalarIT0_EES1_PKS1_PKT1_SA_S7_PKT3_PKT4_S5_PT5_21rocsparse_index_base_b
	.p2align	8
	.type	_ZN9rocsparseL20bsrxmvn_17_32_kernelILj28EdllfddEEvT2_20rocsparse_direction_NS_24const_host_device_scalarIT0_EES1_PKS1_PKT1_SA_S7_PKT3_PKT4_S5_PT5_21rocsparse_index_base_b,@function
_ZN9rocsparseL20bsrxmvn_17_32_kernelILj28EdllfddEEvT2_20rocsparse_direction_NS_24const_host_device_scalarIT0_EES1_PKS1_PKT1_SA_S7_PKT3_PKT4_S5_PT5_21rocsparse_index_base_b: ; @_ZN9rocsparseL20bsrxmvn_17_32_kernelILj28EdllfddEEvT2_20rocsparse_direction_NS_24const_host_device_scalarIT0_EES1_PKS1_PKT1_SA_S7_PKT3_PKT4_S5_PT5_21rocsparse_index_base_b
; %bb.0:
	s_load_dwordx2 s[14:15], s[4:5], 0x60
	s_load_dwordx2 s[8:9], s[4:5], 0x10
	;; [unrolled: 1-line block ×3, first 2 shown]
	s_waitcnt lgkmcnt(0)
	s_bitcmp1_b32 s15, 0
	s_cselect_b64 s[10:11], -1, 0
	v_mov_b32_e32 v3, s8
	s_xor_b64 s[2:3], s[10:11], -1
	s_and_b64 vcc, exec, s[10:11]
	v_mov_b32_e32 v4, s9
	s_cbranch_vccnz .LBB523_2
; %bb.1:
	v_mov_b32_e32 v1, s8
	v_mov_b32_e32 v2, s9
	flat_load_dwordx2 v[3:4], v[1:2]
.LBB523_2:
	v_mov_b32_e32 v2, s1
	s_andn2_b64 vcc, exec, s[2:3]
	v_mov_b32_e32 v1, s0
	s_cbranch_vccnz .LBB523_4
; %bb.3:
	v_mov_b32_e32 v2, s1
	v_mov_b32_e32 v1, s0
	flat_load_dwordx2 v[1:2], v[1:2]
.LBB523_4:
	s_waitcnt vmcnt(0) lgkmcnt(0)
	v_cmp_neq_f64_e32 vcc, 0, v[3:4]
	v_cmp_neq_f64_e64 s[0:1], 1.0, v[1:2]
	s_or_b64 s[0:1], vcc, s[0:1]
	s_and_saveexec_b64 s[2:3], s[0:1]
	s_cbranch_execz .LBB523_41
; %bb.5:
	s_load_dwordx4 s[0:3], s[4:5], 0x20
	s_load_dwordx2 s[8:9], s[4:5], 0x30
	s_mov_b32 s7, 0
	s_waitcnt lgkmcnt(0)
	s_cmp_eq_u64 s[0:1], 0
	s_cbranch_scc1 .LBB523_7
; %bb.6:
	s_lshl_b64 s[6:7], s[6:7], 3
	s_add_u32 s0, s0, s6
	s_addc_u32 s1, s1, s7
	s_load_dwordx2 s[0:1], s[0:1], 0x0
	s_waitcnt lgkmcnt(0)
	s_sub_u32 s6, s0, s14
	s_subb_u32 s7, s1, 0
.LBB523_7:
	s_load_dword s10, s[4:5], 0x8
	s_load_dwordx2 s[12:13], s[4:5], 0x58
	v_mul_u32_u24_e32 v8, 0x925, v0
	v_mov_b32_e32 v5, 28
	v_mul_lo_u16_sdwa v5, v8, v5 dst_sel:DWORD dst_unused:UNUSED_PAD src0_sel:WORD_1 src1_sel:DWORD
	s_waitcnt lgkmcnt(0)
	s_cmp_eq_u32 s10, 1
	s_cselect_b64 s[0:1], -1, 0
	s_cmp_lg_u32 s10, 1
	s_cselect_b64 s[16:17], -1, 0
	s_lshl_b64 s[10:11], s[6:7], 3
	s_add_u32 s20, s2, s10
	s_addc_u32 s21, s3, s11
	s_add_u32 s2, s20, 8
	s_addc_u32 s3, s21, 0
	;; [unrolled: 2-line block ×3, first 2 shown]
	s_cmp_eq_u64 s[8:9], 0
	s_cselect_b32 s9, s3, s11
	s_cselect_b32 s8, s2, s10
	s_load_dwordx2 s[2:3], s[8:9], 0x0
	s_load_dwordx2 s[18:19], s[20:21], 0x0
	v_sub_u16_e32 v15, v0, v5
	v_mov_b32_e32 v7, 0
	s_waitcnt lgkmcnt(0)
	v_mov_b32_e32 v6, s3
	v_mov_b32_e32 v5, s2
	v_cmp_ge_i64_e32 vcc, s[18:19], v[5:6]
	v_mov_b32_e32 v5, 0
	v_mov_b32_e32 v6, 0
	s_cbranch_vccnz .LBB523_12
; %bb.8:
	s_load_dwordx4 s[8:11], s[4:5], 0x38
	s_load_dwordx2 s[20:21], s[4:5], 0x48
	s_mov_b32 s4, 0xffff
	s_movk_i32 s5, 0x310
	v_and_b32_sdwa v5, s4, v8 dst_sel:DWORD dst_unused:UNUSED_PAD src0_sel:DWORD src1_sel:WORD_1
	s_sub_u32 s2, s2, s14
	v_subrev_u32_e32 v6, 28, v5
	v_cmp_gt_u32_e32 vcc, s5, v0
	s_subb_u32 s3, s3, 0
	v_cndmask_b32_e32 v5, v6, v5, vcc
	s_sub_u32 s4, s18, s14
	v_cndmask_b32_e64 v6, v15, v5, s[0:1]
	s_subb_u32 s5, s19, 0
	v_lshlrev_b64 v[5:6], 3, v[6:7]
	s_mul_i32 s0, s5, 0xc40
	s_mul_hi_u32 s1, s4, 0xc40
	s_add_i32 s1, s1, s0
	s_mul_i32 s0, s4, 0xc40
	s_waitcnt lgkmcnt(0)
	v_mov_b32_e32 v8, s21
	v_add_co_u32_e32 v7, vcc, s20, v5
	s_add_u32 s0, s10, s0
	v_addc_co_u32_e32 v8, vcc, v8, v6, vcc
	s_addc_u32 s1, s11, s1
	v_lshlrev_b32_e32 v5, 2, v0
	v_mov_b32_e32 v6, s1
	v_add_co_u32_e32 v9, vcc, s0, v5
	v_addc_co_u32_e32 v10, vcc, 0, v6, vcc
	s_movk_i32 s0, 0x30f
	v_cmp_lt_u32_e32 vcc, s0, v0
	v_cndmask_b32_e64 v16, 0, 1, vcc
	v_mov_b32_e32 v5, s19
	v_add_co_u32_e32 v6, vcc, s18, v16
	v_addc_co_u32_e32 v11, vcc, 0, v5, vcc
	v_subrev_co_u32_e32 v5, vcc, s14, v6
	v_subbrev_co_u32_e32 v6, vcc, 0, v11, vcc
	v_lshlrev_b64 v[5:6], 3, v[5:6]
	v_mov_b32_e32 v12, s9
	v_add_co_u32_e32 v11, vcc, s8, v5
	v_addc_co_u32_e32 v12, vcc, v12, v6, vcc
	v_mov_b32_e32 v5, 0
	v_mov_b32_e32 v14, s3
	;; [unrolled: 1-line block ×3, first 2 shown]
	s_movk_i32 s8, 0xe0
	v_mov_b32_e32 v13, s2
	s_branch .LBB523_10
.LBB523_9:                              ;   in Loop: Header=BB523_10 Depth=1
	s_or_b64 exec, exec, s[0:1]
	s_add_u32 s4, s4, 1
	s_addc_u32 s5, s5, 0
	v_cmp_lt_i64_e32 vcc, s[4:5], v[13:14]
	v_add_co_u32_e64 v11, s[0:1], 8, v11
	v_addc_co_u32_e64 v12, s[0:1], 0, v12, s[0:1]
	s_cbranch_vccz .LBB523_12
.LBB523_10:                             ; =>This Inner Loop Header: Depth=1
	v_mov_b32_e32 v18, s5
	v_add_co_u32_e32 v17, vcc, s4, v16
	v_addc_co_u32_e32 v18, vcc, 0, v18, vcc
	v_cmp_gt_i64_e32 vcc, s[2:3], v[17:18]
	s_and_saveexec_b64 s[0:1], vcc
	s_cbranch_execz .LBB523_9
; %bb.11:                               ;   in Loop: Header=BB523_10 Depth=1
	global_load_dwordx2 v[17:18], v[11:12], off
	s_waitcnt vmcnt(0)
	v_subrev_co_u32_e32 v17, vcc, s14, v17
	v_subbrev_co_u32_e32 v19, vcc, 0, v18, vcc
	v_mad_u64_u32 v[17:18], s[10:11], v17, s8, v[7:8]
	v_mad_u64_u32 v[18:19], s[10:11], v19, s8, v[18:19]
	global_load_dword v19, v[9:10], off
	s_nop 0
	global_load_dwordx2 v[17:18], v[17:18], off
	v_add_co_u32_e32 v9, vcc, 0xc40, v9
	v_addc_co_u32_e32 v10, vcc, 0, v10, vcc
	s_waitcnt vmcnt(1)
	v_cvt_f64_f32_e32 v[19:20], v19
	s_waitcnt vmcnt(0)
	v_fma_f64 v[5:6], v[19:20], v[17:18], v[5:6]
	s_branch .LBB523_9
.LBB523_12:
	v_lshlrev_b32_e32 v9, 3, v0
	s_and_b64 vcc, exec, s[16:17]
	ds_write_b64 v9, v[5:6]
	s_waitcnt lgkmcnt(0)
	s_barrier
	s_cbranch_vccz .LBB523_24
; %bb.13:
	v_cmp_gt_u16_e32 vcc, 12, v15
	s_and_saveexec_b64 s[0:1], vcc
	s_cbranch_execz .LBB523_15
; %bb.14:
	ds_read2_b64 v[10:13], v9 offset1:16
	s_waitcnt lgkmcnt(0)
	v_add_f64 v[7:8], v[12:13], v[10:11]
	ds_write_b64 v9, v[7:8]
.LBB523_15:
	s_or_b64 exec, exec, s[0:1]
	v_cmp_gt_u16_e32 vcc, 8, v15
	s_waitcnt lgkmcnt(0)
	s_barrier
	s_and_saveexec_b64 s[0:1], vcc
	s_cbranch_execz .LBB523_17
; %bb.16:
	ds_read2_b64 v[10:13], v9 offset1:8
	s_waitcnt lgkmcnt(0)
	v_add_f64 v[7:8], v[12:13], v[10:11]
	ds_write_b64 v9, v[7:8]
.LBB523_17:
	s_or_b64 exec, exec, s[0:1]
	v_cmp_gt_u16_e32 vcc, 4, v15
	s_waitcnt lgkmcnt(0)
	s_barrier
	;; [unrolled: 12-line block ×3, first 2 shown]
	s_and_saveexec_b64 s[0:1], vcc
	s_cbranch_execz .LBB523_21
; %bb.20:
	ds_read2_b64 v[10:13], v9 offset1:2
	s_waitcnt lgkmcnt(0)
	v_add_f64 v[7:8], v[12:13], v[10:11]
	ds_write_b64 v9, v[7:8]
.LBB523_21:
	s_or_b64 exec, exec, s[0:1]
	v_mov_b32_e32 v8, v6
	v_cmp_gt_u32_e32 vcc, 28, v0
	v_mov_b32_e32 v7, v5
	s_waitcnt lgkmcnt(0)
	s_barrier
	s_and_saveexec_b64 s[0:1], vcc
	s_cbranch_execz .LBB523_23
; %bb.22:
	s_movk_i32 s2, 0xd8
	v_mad_u32_u24 v7, v0, s2, v9
	ds_read_b128 v[10:13], v7
	s_waitcnt lgkmcnt(0)
	v_add_f64 v[7:8], v[10:11], v[12:13]
.LBB523_23:
	s_or_b64 exec, exec, s[0:1]
	s_branch .LBB523_36
.LBB523_24:
                                        ; implicit-def: $vgpr7_vgpr8
	s_cbranch_execz .LBB523_36
; %bb.25:
	s_movk_i32 s0, 0x150
	v_cmp_gt_u32_e32 vcc, s0, v0
	s_and_saveexec_b64 s[0:1], vcc
	s_cbranch_execz .LBB523_27
; %bb.26:
	ds_read2st64_b64 v[10:13], v9 offset1:7
	s_waitcnt lgkmcnt(0)
	v_add_f64 v[7:8], v[12:13], v[10:11]
	ds_write_b64 v9, v[7:8]
.LBB523_27:
	s_or_b64 exec, exec, s[0:1]
	s_movk_i32 s0, 0xe0
	v_cmp_gt_u32_e32 vcc, s0, v0
	s_waitcnt lgkmcnt(0)
	s_barrier
	s_and_saveexec_b64 s[0:1], vcc
	s_cbranch_execz .LBB523_29
; %bb.28:
	ds_read2_b64 v[10:13], v9 offset1:224
	s_waitcnt lgkmcnt(0)
	v_add_f64 v[7:8], v[12:13], v[10:11]
	ds_write_b64 v9, v[7:8]
.LBB523_29:
	s_or_b64 exec, exec, s[0:1]
	s_movk_i32 s0, 0x70
	v_cmp_gt_u32_e32 vcc, s0, v0
	s_waitcnt lgkmcnt(0)
	s_barrier
	s_and_saveexec_b64 s[0:1], vcc
	s_cbranch_execz .LBB523_31
; %bb.30:
	ds_read2_b64 v[10:13], v9 offset1:112
	s_waitcnt lgkmcnt(0)
	v_add_f64 v[7:8], v[12:13], v[10:11]
	ds_write_b64 v9, v[7:8]
.LBB523_31:
	s_or_b64 exec, exec, s[0:1]
	v_cmp_gt_u32_e32 vcc, 56, v0
	s_waitcnt lgkmcnt(0)
	s_barrier
	s_and_saveexec_b64 s[0:1], vcc
	s_cbranch_execz .LBB523_33
; %bb.32:
	ds_read2_b64 v[10:13], v9 offset1:56
	s_waitcnt lgkmcnt(0)
	v_add_f64 v[7:8], v[12:13], v[10:11]
	ds_write_b64 v9, v[7:8]
.LBB523_33:
	s_or_b64 exec, exec, s[0:1]
	v_cmp_gt_u32_e32 vcc, 28, v0
	s_waitcnt lgkmcnt(0)
	s_and_saveexec_b64 s[0:1], vcc
	s_cbranch_execz .LBB523_35
; %bb.34:
	ds_read2_b64 v[5:8], v9 offset1:28
	s_waitcnt lgkmcnt(0)
	v_add_f64 v[5:6], v[5:6], v[7:8]
.LBB523_35:
	s_or_b64 exec, exec, s[0:1]
	v_mov_b32_e32 v8, v6
	v_mov_b32_e32 v7, v5
.LBB523_36:
	v_cmp_gt_u32_e32 vcc, 28, v0
	s_and_b64 exec, exec, vcc
	s_cbranch_execz .LBB523_41
; %bb.37:
	v_cmp_eq_f64_e32 vcc, 0, v[1:2]
	v_mul_f64 v[3:4], v[3:4], v[7:8]
	s_mul_i32 s2, s7, 0xe0
	s_mul_hi_u32 s3, s6, 0xe0
	s_mul_i32 s4, s6, 0xe0
	s_and_saveexec_b64 s[0:1], vcc
	s_xor_b64 s[0:1], exec, s[0:1]
	s_cbranch_execz .LBB523_39
; %bb.38:
	s_add_i32 s5, s3, s2
	s_add_u32 s6, s12, s4
	s_addc_u32 s7, s13, s5
	global_store_dwordx2 v9, v[3:4], s[6:7]
                                        ; implicit-def: $vgpr9
                                        ; implicit-def: $vgpr1_vgpr2
                                        ; implicit-def: $vgpr3_vgpr4
.LBB523_39:
	s_andn2_saveexec_b64 s[0:1], s[0:1]
	s_cbranch_execz .LBB523_41
; %bb.40:
	s_add_i32 s3, s3, s2
	s_add_u32 s0, s12, s4
	s_addc_u32 s1, s13, s3
	global_load_dwordx2 v[5:6], v9, s[0:1]
	s_waitcnt vmcnt(0)
	v_fma_f64 v[0:1], v[1:2], v[5:6], v[3:4]
	global_store_dwordx2 v9, v[0:1], s[0:1]
.LBB523_41:
	s_endpgm
	.section	.rodata,"a",@progbits
	.p2align	6, 0x0
	.amdhsa_kernel _ZN9rocsparseL20bsrxmvn_17_32_kernelILj28EdllfddEEvT2_20rocsparse_direction_NS_24const_host_device_scalarIT0_EES1_PKS1_PKT1_SA_S7_PKT3_PKT4_S5_PT5_21rocsparse_index_base_b
		.amdhsa_group_segment_fixed_size 6272
		.amdhsa_private_segment_fixed_size 0
		.amdhsa_kernarg_size 104
		.amdhsa_user_sgpr_count 6
		.amdhsa_user_sgpr_private_segment_buffer 1
		.amdhsa_user_sgpr_dispatch_ptr 0
		.amdhsa_user_sgpr_queue_ptr 0
		.amdhsa_user_sgpr_kernarg_segment_ptr 1
		.amdhsa_user_sgpr_dispatch_id 0
		.amdhsa_user_sgpr_flat_scratch_init 0
		.amdhsa_user_sgpr_private_segment_size 0
		.amdhsa_uses_dynamic_stack 0
		.amdhsa_system_sgpr_private_segment_wavefront_offset 0
		.amdhsa_system_sgpr_workgroup_id_x 1
		.amdhsa_system_sgpr_workgroup_id_y 0
		.amdhsa_system_sgpr_workgroup_id_z 0
		.amdhsa_system_sgpr_workgroup_info 0
		.amdhsa_system_vgpr_workitem_id 0
		.amdhsa_next_free_vgpr 21
		.amdhsa_next_free_sgpr 22
		.amdhsa_reserve_vcc 1
		.amdhsa_reserve_flat_scratch 0
		.amdhsa_float_round_mode_32 0
		.amdhsa_float_round_mode_16_64 0
		.amdhsa_float_denorm_mode_32 3
		.amdhsa_float_denorm_mode_16_64 3
		.amdhsa_dx10_clamp 1
		.amdhsa_ieee_mode 1
		.amdhsa_fp16_overflow 0
		.amdhsa_exception_fp_ieee_invalid_op 0
		.amdhsa_exception_fp_denorm_src 0
		.amdhsa_exception_fp_ieee_div_zero 0
		.amdhsa_exception_fp_ieee_overflow 0
		.amdhsa_exception_fp_ieee_underflow 0
		.amdhsa_exception_fp_ieee_inexact 0
		.amdhsa_exception_int_div_zero 0
	.end_amdhsa_kernel
	.section	.text._ZN9rocsparseL20bsrxmvn_17_32_kernelILj28EdllfddEEvT2_20rocsparse_direction_NS_24const_host_device_scalarIT0_EES1_PKS1_PKT1_SA_S7_PKT3_PKT4_S5_PT5_21rocsparse_index_base_b,"axG",@progbits,_ZN9rocsparseL20bsrxmvn_17_32_kernelILj28EdllfddEEvT2_20rocsparse_direction_NS_24const_host_device_scalarIT0_EES1_PKS1_PKT1_SA_S7_PKT3_PKT4_S5_PT5_21rocsparse_index_base_b,comdat
.Lfunc_end523:
	.size	_ZN9rocsparseL20bsrxmvn_17_32_kernelILj28EdllfddEEvT2_20rocsparse_direction_NS_24const_host_device_scalarIT0_EES1_PKS1_PKT1_SA_S7_PKT3_PKT4_S5_PT5_21rocsparse_index_base_b, .Lfunc_end523-_ZN9rocsparseL20bsrxmvn_17_32_kernelILj28EdllfddEEvT2_20rocsparse_direction_NS_24const_host_device_scalarIT0_EES1_PKS1_PKT1_SA_S7_PKT3_PKT4_S5_PT5_21rocsparse_index_base_b
                                        ; -- End function
	.set _ZN9rocsparseL20bsrxmvn_17_32_kernelILj28EdllfddEEvT2_20rocsparse_direction_NS_24const_host_device_scalarIT0_EES1_PKS1_PKT1_SA_S7_PKT3_PKT4_S5_PT5_21rocsparse_index_base_b.num_vgpr, 21
	.set _ZN9rocsparseL20bsrxmvn_17_32_kernelILj28EdllfddEEvT2_20rocsparse_direction_NS_24const_host_device_scalarIT0_EES1_PKS1_PKT1_SA_S7_PKT3_PKT4_S5_PT5_21rocsparse_index_base_b.num_agpr, 0
	.set _ZN9rocsparseL20bsrxmvn_17_32_kernelILj28EdllfddEEvT2_20rocsparse_direction_NS_24const_host_device_scalarIT0_EES1_PKS1_PKT1_SA_S7_PKT3_PKT4_S5_PT5_21rocsparse_index_base_b.numbered_sgpr, 22
	.set _ZN9rocsparseL20bsrxmvn_17_32_kernelILj28EdllfddEEvT2_20rocsparse_direction_NS_24const_host_device_scalarIT0_EES1_PKS1_PKT1_SA_S7_PKT3_PKT4_S5_PT5_21rocsparse_index_base_b.num_named_barrier, 0
	.set _ZN9rocsparseL20bsrxmvn_17_32_kernelILj28EdllfddEEvT2_20rocsparse_direction_NS_24const_host_device_scalarIT0_EES1_PKS1_PKT1_SA_S7_PKT3_PKT4_S5_PT5_21rocsparse_index_base_b.private_seg_size, 0
	.set _ZN9rocsparseL20bsrxmvn_17_32_kernelILj28EdllfddEEvT2_20rocsparse_direction_NS_24const_host_device_scalarIT0_EES1_PKS1_PKT1_SA_S7_PKT3_PKT4_S5_PT5_21rocsparse_index_base_b.uses_vcc, 1
	.set _ZN9rocsparseL20bsrxmvn_17_32_kernelILj28EdllfddEEvT2_20rocsparse_direction_NS_24const_host_device_scalarIT0_EES1_PKS1_PKT1_SA_S7_PKT3_PKT4_S5_PT5_21rocsparse_index_base_b.uses_flat_scratch, 0
	.set _ZN9rocsparseL20bsrxmvn_17_32_kernelILj28EdllfddEEvT2_20rocsparse_direction_NS_24const_host_device_scalarIT0_EES1_PKS1_PKT1_SA_S7_PKT3_PKT4_S5_PT5_21rocsparse_index_base_b.has_dyn_sized_stack, 0
	.set _ZN9rocsparseL20bsrxmvn_17_32_kernelILj28EdllfddEEvT2_20rocsparse_direction_NS_24const_host_device_scalarIT0_EES1_PKS1_PKT1_SA_S7_PKT3_PKT4_S5_PT5_21rocsparse_index_base_b.has_recursion, 0
	.set _ZN9rocsparseL20bsrxmvn_17_32_kernelILj28EdllfddEEvT2_20rocsparse_direction_NS_24const_host_device_scalarIT0_EES1_PKS1_PKT1_SA_S7_PKT3_PKT4_S5_PT5_21rocsparse_index_base_b.has_indirect_call, 0
	.section	.AMDGPU.csdata,"",@progbits
; Kernel info:
; codeLenInByte = 1416
; TotalNumSgprs: 26
; NumVgprs: 21
; ScratchSize: 0
; MemoryBound: 0
; FloatMode: 240
; IeeeMode: 1
; LDSByteSize: 6272 bytes/workgroup (compile time only)
; SGPRBlocks: 3
; VGPRBlocks: 5
; NumSGPRsForWavesPerEU: 26
; NumVGPRsForWavesPerEU: 21
; Occupancy: 10
; WaveLimiterHint : 1
; COMPUTE_PGM_RSRC2:SCRATCH_EN: 0
; COMPUTE_PGM_RSRC2:USER_SGPR: 6
; COMPUTE_PGM_RSRC2:TRAP_HANDLER: 0
; COMPUTE_PGM_RSRC2:TGID_X_EN: 1
; COMPUTE_PGM_RSRC2:TGID_Y_EN: 0
; COMPUTE_PGM_RSRC2:TGID_Z_EN: 0
; COMPUTE_PGM_RSRC2:TIDIG_COMP_CNT: 0
	.section	.text._ZN9rocsparseL20bsrxmvn_17_32_kernelILj29EdllfddEEvT2_20rocsparse_direction_NS_24const_host_device_scalarIT0_EES1_PKS1_PKT1_SA_S7_PKT3_PKT4_S5_PT5_21rocsparse_index_base_b,"axG",@progbits,_ZN9rocsparseL20bsrxmvn_17_32_kernelILj29EdllfddEEvT2_20rocsparse_direction_NS_24const_host_device_scalarIT0_EES1_PKS1_PKT1_SA_S7_PKT3_PKT4_S5_PT5_21rocsparse_index_base_b,comdat
	.globl	_ZN9rocsparseL20bsrxmvn_17_32_kernelILj29EdllfddEEvT2_20rocsparse_direction_NS_24const_host_device_scalarIT0_EES1_PKS1_PKT1_SA_S7_PKT3_PKT4_S5_PT5_21rocsparse_index_base_b ; -- Begin function _ZN9rocsparseL20bsrxmvn_17_32_kernelILj29EdllfddEEvT2_20rocsparse_direction_NS_24const_host_device_scalarIT0_EES1_PKS1_PKT1_SA_S7_PKT3_PKT4_S5_PT5_21rocsparse_index_base_b
	.p2align	8
	.type	_ZN9rocsparseL20bsrxmvn_17_32_kernelILj29EdllfddEEvT2_20rocsparse_direction_NS_24const_host_device_scalarIT0_EES1_PKS1_PKT1_SA_S7_PKT3_PKT4_S5_PT5_21rocsparse_index_base_b,@function
_ZN9rocsparseL20bsrxmvn_17_32_kernelILj29EdllfddEEvT2_20rocsparse_direction_NS_24const_host_device_scalarIT0_EES1_PKS1_PKT1_SA_S7_PKT3_PKT4_S5_PT5_21rocsparse_index_base_b: ; @_ZN9rocsparseL20bsrxmvn_17_32_kernelILj29EdllfddEEvT2_20rocsparse_direction_NS_24const_host_device_scalarIT0_EES1_PKS1_PKT1_SA_S7_PKT3_PKT4_S5_PT5_21rocsparse_index_base_b
; %bb.0:
	s_load_dwordx2 s[14:15], s[4:5], 0x60
	s_load_dwordx2 s[8:9], s[4:5], 0x10
	;; [unrolled: 1-line block ×3, first 2 shown]
	s_waitcnt lgkmcnt(0)
	s_bitcmp1_b32 s15, 0
	s_cselect_b64 s[10:11], -1, 0
	v_mov_b32_e32 v3, s8
	s_xor_b64 s[2:3], s[10:11], -1
	s_and_b64 vcc, exec, s[10:11]
	v_mov_b32_e32 v4, s9
	s_cbranch_vccnz .LBB524_2
; %bb.1:
	v_mov_b32_e32 v1, s8
	v_mov_b32_e32 v2, s9
	flat_load_dwordx2 v[3:4], v[1:2]
.LBB524_2:
	v_mov_b32_e32 v2, s1
	s_andn2_b64 vcc, exec, s[2:3]
	v_mov_b32_e32 v1, s0
	s_cbranch_vccnz .LBB524_4
; %bb.3:
	v_mov_b32_e32 v2, s1
	v_mov_b32_e32 v1, s0
	flat_load_dwordx2 v[1:2], v[1:2]
.LBB524_4:
	s_waitcnt vmcnt(0) lgkmcnt(0)
	v_cmp_neq_f64_e32 vcc, 0, v[3:4]
	v_cmp_neq_f64_e64 s[0:1], 1.0, v[1:2]
	s_or_b64 s[0:1], vcc, s[0:1]
	s_and_saveexec_b64 s[2:3], s[0:1]
	s_cbranch_execz .LBB524_41
; %bb.5:
	s_load_dwordx4 s[0:3], s[4:5], 0x20
	s_load_dwordx2 s[8:9], s[4:5], 0x30
	s_mov_b32 s7, 0
	s_waitcnt lgkmcnt(0)
	s_cmp_eq_u64 s[0:1], 0
	s_cbranch_scc1 .LBB524_7
; %bb.6:
	s_lshl_b64 s[6:7], s[6:7], 3
	s_add_u32 s0, s0, s6
	s_addc_u32 s1, s1, s7
	s_load_dwordx2 s[0:1], s[0:1], 0x0
	s_waitcnt lgkmcnt(0)
	s_sub_u32 s6, s0, s14
	s_subb_u32 s7, s1, 0
.LBB524_7:
	s_load_dword s10, s[4:5], 0x8
	s_load_dwordx2 s[12:13], s[4:5], 0x58
	v_mul_u32_u24_e32 v8, 0x8d4, v0
	v_mov_b32_e32 v5, 29
	v_mul_lo_u16_sdwa v5, v8, v5 dst_sel:DWORD dst_unused:UNUSED_PAD src0_sel:WORD_1 src1_sel:DWORD
	s_waitcnt lgkmcnt(0)
	s_cmp_eq_u32 s10, 1
	s_cselect_b64 s[0:1], -1, 0
	s_cmp_lg_u32 s10, 1
	s_cselect_b64 s[16:17], -1, 0
	s_lshl_b64 s[10:11], s[6:7], 3
	s_add_u32 s20, s2, s10
	s_addc_u32 s21, s3, s11
	s_add_u32 s2, s20, 8
	s_addc_u32 s3, s21, 0
	;; [unrolled: 2-line block ×3, first 2 shown]
	s_cmp_eq_u64 s[8:9], 0
	s_cselect_b32 s9, s3, s11
	s_cselect_b32 s8, s2, s10
	s_load_dwordx2 s[2:3], s[8:9], 0x0
	s_load_dwordx2 s[18:19], s[20:21], 0x0
	v_sub_u16_e32 v15, v0, v5
	v_mov_b32_e32 v7, 0
	s_waitcnt lgkmcnt(0)
	v_mov_b32_e32 v6, s3
	v_mov_b32_e32 v5, s2
	v_cmp_ge_i64_e32 vcc, s[18:19], v[5:6]
	v_mov_b32_e32 v5, 0
	v_mov_b32_e32 v6, 0
	s_cbranch_vccnz .LBB524_12
; %bb.8:
	s_load_dwordx4 s[8:11], s[4:5], 0x38
	s_load_dwordx2 s[20:21], s[4:5], 0x48
	s_mov_b32 s4, 0xffff
	s_movk_i32 s5, 0x349
	v_and_b32_sdwa v5, s4, v8 dst_sel:DWORD dst_unused:UNUSED_PAD src0_sel:DWORD src1_sel:WORD_1
	s_sub_u32 s2, s2, s14
	v_subrev_u32_e32 v6, 29, v5
	v_cmp_gt_u32_e32 vcc, s5, v0
	s_subb_u32 s3, s3, 0
	v_cndmask_b32_e32 v5, v6, v5, vcc
	s_sub_u32 s4, s18, s14
	v_cndmask_b32_e64 v6, v15, v5, s[0:1]
	s_subb_u32 s5, s19, 0
	v_lshlrev_b64 v[5:6], 3, v[6:7]
	s_mul_i32 s0, s5, 0xd24
	s_mul_hi_u32 s1, s4, 0xd24
	s_add_i32 s1, s1, s0
	s_mul_i32 s0, s4, 0xd24
	s_waitcnt lgkmcnt(0)
	v_mov_b32_e32 v8, s21
	v_add_co_u32_e32 v7, vcc, s20, v5
	s_add_u32 s0, s10, s0
	v_addc_co_u32_e32 v8, vcc, v8, v6, vcc
	s_addc_u32 s1, s11, s1
	v_lshlrev_b32_e32 v5, 2, v0
	v_mov_b32_e32 v6, s1
	v_add_co_u32_e32 v9, vcc, s0, v5
	v_addc_co_u32_e32 v10, vcc, 0, v6, vcc
	s_movk_i32 s0, 0x348
	v_cmp_lt_u32_e32 vcc, s0, v0
	v_cndmask_b32_e64 v16, 0, 1, vcc
	v_mov_b32_e32 v5, s19
	v_add_co_u32_e32 v6, vcc, s18, v16
	v_addc_co_u32_e32 v11, vcc, 0, v5, vcc
	v_subrev_co_u32_e32 v5, vcc, s14, v6
	v_subbrev_co_u32_e32 v6, vcc, 0, v11, vcc
	v_lshlrev_b64 v[5:6], 3, v[5:6]
	v_mov_b32_e32 v12, s9
	v_add_co_u32_e32 v11, vcc, s8, v5
	v_addc_co_u32_e32 v12, vcc, v12, v6, vcc
	v_mov_b32_e32 v5, 0
	v_mov_b32_e32 v14, s3
	;; [unrolled: 1-line block ×3, first 2 shown]
	s_movk_i32 s8, 0xe8
	v_mov_b32_e32 v13, s2
	s_branch .LBB524_10
.LBB524_9:                              ;   in Loop: Header=BB524_10 Depth=1
	s_or_b64 exec, exec, s[0:1]
	s_add_u32 s4, s4, 1
	s_addc_u32 s5, s5, 0
	v_cmp_lt_i64_e32 vcc, s[4:5], v[13:14]
	v_add_co_u32_e64 v11, s[0:1], 8, v11
	v_addc_co_u32_e64 v12, s[0:1], 0, v12, s[0:1]
	s_cbranch_vccz .LBB524_12
.LBB524_10:                             ; =>This Inner Loop Header: Depth=1
	v_mov_b32_e32 v18, s5
	v_add_co_u32_e32 v17, vcc, s4, v16
	v_addc_co_u32_e32 v18, vcc, 0, v18, vcc
	v_cmp_gt_i64_e32 vcc, s[2:3], v[17:18]
	s_and_saveexec_b64 s[0:1], vcc
	s_cbranch_execz .LBB524_9
; %bb.11:                               ;   in Loop: Header=BB524_10 Depth=1
	global_load_dwordx2 v[17:18], v[11:12], off
	s_waitcnt vmcnt(0)
	v_subrev_co_u32_e32 v17, vcc, s14, v17
	v_subbrev_co_u32_e32 v19, vcc, 0, v18, vcc
	v_mad_u64_u32 v[17:18], s[10:11], v17, s8, v[7:8]
	v_mad_u64_u32 v[18:19], s[10:11], v19, s8, v[18:19]
	global_load_dword v19, v[9:10], off
	s_nop 0
	global_load_dwordx2 v[17:18], v[17:18], off
	v_add_co_u32_e32 v9, vcc, 0xd24, v9
	v_addc_co_u32_e32 v10, vcc, 0, v10, vcc
	s_waitcnt vmcnt(1)
	v_cvt_f64_f32_e32 v[19:20], v19
	s_waitcnt vmcnt(0)
	v_fma_f64 v[5:6], v[19:20], v[17:18], v[5:6]
	s_branch .LBB524_9
.LBB524_12:
	v_lshlrev_b32_e32 v9, 3, v0
	s_and_b64 vcc, exec, s[16:17]
	ds_write_b64 v9, v[5:6]
	s_waitcnt lgkmcnt(0)
	s_barrier
	s_cbranch_vccz .LBB524_24
; %bb.13:
	v_cmp_gt_u16_e32 vcc, 13, v15
	s_and_saveexec_b64 s[0:1], vcc
	s_cbranch_execz .LBB524_15
; %bb.14:
	ds_read2_b64 v[10:13], v9 offset1:16
	s_waitcnt lgkmcnt(0)
	v_add_f64 v[7:8], v[12:13], v[10:11]
	ds_write_b64 v9, v[7:8]
.LBB524_15:
	s_or_b64 exec, exec, s[0:1]
	v_cmp_gt_u16_e32 vcc, 8, v15
	s_waitcnt lgkmcnt(0)
	s_barrier
	s_and_saveexec_b64 s[0:1], vcc
	s_cbranch_execz .LBB524_17
; %bb.16:
	ds_read2_b64 v[10:13], v9 offset1:8
	s_waitcnt lgkmcnt(0)
	v_add_f64 v[7:8], v[12:13], v[10:11]
	ds_write_b64 v9, v[7:8]
.LBB524_17:
	s_or_b64 exec, exec, s[0:1]
	v_cmp_gt_u16_e32 vcc, 4, v15
	s_waitcnt lgkmcnt(0)
	s_barrier
	;; [unrolled: 12-line block ×3, first 2 shown]
	s_and_saveexec_b64 s[0:1], vcc
	s_cbranch_execz .LBB524_21
; %bb.20:
	ds_read2_b64 v[10:13], v9 offset1:2
	s_waitcnt lgkmcnt(0)
	v_add_f64 v[7:8], v[12:13], v[10:11]
	ds_write_b64 v9, v[7:8]
.LBB524_21:
	s_or_b64 exec, exec, s[0:1]
	v_mov_b32_e32 v8, v6
	v_cmp_gt_u32_e32 vcc, 29, v0
	v_mov_b32_e32 v7, v5
	s_waitcnt lgkmcnt(0)
	s_barrier
	s_and_saveexec_b64 s[0:1], vcc
	s_cbranch_execz .LBB524_23
; %bb.22:
	s_movk_i32 s2, 0xe0
	v_mad_u32_u24 v7, v0, s2, v9
	ds_read2_b64 v[10:13], v7 offset1:1
	s_waitcnt lgkmcnt(0)
	v_add_f64 v[7:8], v[10:11], v[12:13]
.LBB524_23:
	s_or_b64 exec, exec, s[0:1]
	s_branch .LBB524_36
.LBB524_24:
                                        ; implicit-def: $vgpr7_vgpr8
	s_cbranch_execz .LBB524_36
; %bb.25:
	s_movk_i32 s0, 0x179
	v_cmp_gt_u32_e32 vcc, s0, v0
	s_and_saveexec_b64 s[0:1], vcc
	s_cbranch_execz .LBB524_27
; %bb.26:
	ds_read_b64 v[7:8], v9 offset:3712
	ds_read_b64 v[10:11], v9
	s_waitcnt lgkmcnt(0)
	v_add_f64 v[7:8], v[7:8], v[10:11]
	ds_write_b64 v9, v[7:8]
.LBB524_27:
	s_or_b64 exec, exec, s[0:1]
	s_movk_i32 s0, 0xe8
	v_cmp_gt_u32_e32 vcc, s0, v0
	s_waitcnt lgkmcnt(0)
	s_barrier
	s_and_saveexec_b64 s[0:1], vcc
	s_cbranch_execz .LBB524_29
; %bb.28:
	ds_read2_b64 v[10:13], v9 offset1:232
	s_waitcnt lgkmcnt(0)
	v_add_f64 v[7:8], v[12:13], v[10:11]
	ds_write_b64 v9, v[7:8]
.LBB524_29:
	s_or_b64 exec, exec, s[0:1]
	s_movk_i32 s0, 0x74
	v_cmp_gt_u32_e32 vcc, s0, v0
	s_waitcnt lgkmcnt(0)
	s_barrier
	s_and_saveexec_b64 s[0:1], vcc
	s_cbranch_execz .LBB524_31
; %bb.30:
	ds_read2_b64 v[10:13], v9 offset1:116
	s_waitcnt lgkmcnt(0)
	v_add_f64 v[7:8], v[12:13], v[10:11]
	ds_write_b64 v9, v[7:8]
.LBB524_31:
	s_or_b64 exec, exec, s[0:1]
	v_cmp_gt_u32_e32 vcc, 58, v0
	s_waitcnt lgkmcnt(0)
	s_barrier
	s_and_saveexec_b64 s[0:1], vcc
	s_cbranch_execz .LBB524_33
; %bb.32:
	ds_read2_b64 v[10:13], v9 offset1:58
	s_waitcnt lgkmcnt(0)
	v_add_f64 v[7:8], v[12:13], v[10:11]
	ds_write_b64 v9, v[7:8]
.LBB524_33:
	s_or_b64 exec, exec, s[0:1]
	v_cmp_gt_u32_e32 vcc, 29, v0
	s_waitcnt lgkmcnt(0)
	s_and_saveexec_b64 s[0:1], vcc
	s_cbranch_execz .LBB524_35
; %bb.34:
	ds_read2_b64 v[5:8], v9 offset1:29
	s_waitcnt lgkmcnt(0)
	v_add_f64 v[5:6], v[5:6], v[7:8]
.LBB524_35:
	s_or_b64 exec, exec, s[0:1]
	v_mov_b32_e32 v8, v6
	v_mov_b32_e32 v7, v5
.LBB524_36:
	v_cmp_gt_u32_e32 vcc, 29, v0
	s_and_b64 exec, exec, vcc
	s_cbranch_execz .LBB524_41
; %bb.37:
	v_cmp_eq_f64_e32 vcc, 0, v[1:2]
	v_mul_f64 v[3:4], v[3:4], v[7:8]
	s_mul_i32 s2, s7, 0xe8
	s_mul_hi_u32 s3, s6, 0xe8
	s_mul_i32 s4, s6, 0xe8
	s_and_saveexec_b64 s[0:1], vcc
	s_xor_b64 s[0:1], exec, s[0:1]
	s_cbranch_execz .LBB524_39
; %bb.38:
	s_add_i32 s5, s3, s2
	s_add_u32 s6, s12, s4
	s_addc_u32 s7, s13, s5
	global_store_dwordx2 v9, v[3:4], s[6:7]
                                        ; implicit-def: $vgpr9
                                        ; implicit-def: $vgpr1_vgpr2
                                        ; implicit-def: $vgpr3_vgpr4
.LBB524_39:
	s_andn2_saveexec_b64 s[0:1], s[0:1]
	s_cbranch_execz .LBB524_41
; %bb.40:
	s_add_i32 s3, s3, s2
	s_add_u32 s0, s12, s4
	s_addc_u32 s1, s13, s3
	global_load_dwordx2 v[5:6], v9, s[0:1]
	s_waitcnt vmcnt(0)
	v_fma_f64 v[0:1], v[1:2], v[5:6], v[3:4]
	global_store_dwordx2 v9, v[0:1], s[0:1]
.LBB524_41:
	s_endpgm
	.section	.rodata,"a",@progbits
	.p2align	6, 0x0
	.amdhsa_kernel _ZN9rocsparseL20bsrxmvn_17_32_kernelILj29EdllfddEEvT2_20rocsparse_direction_NS_24const_host_device_scalarIT0_EES1_PKS1_PKT1_SA_S7_PKT3_PKT4_S5_PT5_21rocsparse_index_base_b
		.amdhsa_group_segment_fixed_size 6728
		.amdhsa_private_segment_fixed_size 0
		.amdhsa_kernarg_size 104
		.amdhsa_user_sgpr_count 6
		.amdhsa_user_sgpr_private_segment_buffer 1
		.amdhsa_user_sgpr_dispatch_ptr 0
		.amdhsa_user_sgpr_queue_ptr 0
		.amdhsa_user_sgpr_kernarg_segment_ptr 1
		.amdhsa_user_sgpr_dispatch_id 0
		.amdhsa_user_sgpr_flat_scratch_init 0
		.amdhsa_user_sgpr_private_segment_size 0
		.amdhsa_uses_dynamic_stack 0
		.amdhsa_system_sgpr_private_segment_wavefront_offset 0
		.amdhsa_system_sgpr_workgroup_id_x 1
		.amdhsa_system_sgpr_workgroup_id_y 0
		.amdhsa_system_sgpr_workgroup_id_z 0
		.amdhsa_system_sgpr_workgroup_info 0
		.amdhsa_system_vgpr_workitem_id 0
		.amdhsa_next_free_vgpr 33
		.amdhsa_next_free_sgpr 77
		.amdhsa_reserve_vcc 1
		.amdhsa_reserve_flat_scratch 0
		.amdhsa_float_round_mode_32 0
		.amdhsa_float_round_mode_16_64 0
		.amdhsa_float_denorm_mode_32 3
		.amdhsa_float_denorm_mode_16_64 3
		.amdhsa_dx10_clamp 1
		.amdhsa_ieee_mode 1
		.amdhsa_fp16_overflow 0
		.amdhsa_exception_fp_ieee_invalid_op 0
		.amdhsa_exception_fp_denorm_src 0
		.amdhsa_exception_fp_ieee_div_zero 0
		.amdhsa_exception_fp_ieee_overflow 0
		.amdhsa_exception_fp_ieee_underflow 0
		.amdhsa_exception_fp_ieee_inexact 0
		.amdhsa_exception_int_div_zero 0
	.end_amdhsa_kernel
	.section	.text._ZN9rocsparseL20bsrxmvn_17_32_kernelILj29EdllfddEEvT2_20rocsparse_direction_NS_24const_host_device_scalarIT0_EES1_PKS1_PKT1_SA_S7_PKT3_PKT4_S5_PT5_21rocsparse_index_base_b,"axG",@progbits,_ZN9rocsparseL20bsrxmvn_17_32_kernelILj29EdllfddEEvT2_20rocsparse_direction_NS_24const_host_device_scalarIT0_EES1_PKS1_PKT1_SA_S7_PKT3_PKT4_S5_PT5_21rocsparse_index_base_b,comdat
.Lfunc_end524:
	.size	_ZN9rocsparseL20bsrxmvn_17_32_kernelILj29EdllfddEEvT2_20rocsparse_direction_NS_24const_host_device_scalarIT0_EES1_PKS1_PKT1_SA_S7_PKT3_PKT4_S5_PT5_21rocsparse_index_base_b, .Lfunc_end524-_ZN9rocsparseL20bsrxmvn_17_32_kernelILj29EdllfddEEvT2_20rocsparse_direction_NS_24const_host_device_scalarIT0_EES1_PKS1_PKT1_SA_S7_PKT3_PKT4_S5_PT5_21rocsparse_index_base_b
                                        ; -- End function
	.set _ZN9rocsparseL20bsrxmvn_17_32_kernelILj29EdllfddEEvT2_20rocsparse_direction_NS_24const_host_device_scalarIT0_EES1_PKS1_PKT1_SA_S7_PKT3_PKT4_S5_PT5_21rocsparse_index_base_b.num_vgpr, 21
	.set _ZN9rocsparseL20bsrxmvn_17_32_kernelILj29EdllfddEEvT2_20rocsparse_direction_NS_24const_host_device_scalarIT0_EES1_PKS1_PKT1_SA_S7_PKT3_PKT4_S5_PT5_21rocsparse_index_base_b.num_agpr, 0
	.set _ZN9rocsparseL20bsrxmvn_17_32_kernelILj29EdllfddEEvT2_20rocsparse_direction_NS_24const_host_device_scalarIT0_EES1_PKS1_PKT1_SA_S7_PKT3_PKT4_S5_PT5_21rocsparse_index_base_b.numbered_sgpr, 22
	.set _ZN9rocsparseL20bsrxmvn_17_32_kernelILj29EdllfddEEvT2_20rocsparse_direction_NS_24const_host_device_scalarIT0_EES1_PKS1_PKT1_SA_S7_PKT3_PKT4_S5_PT5_21rocsparse_index_base_b.num_named_barrier, 0
	.set _ZN9rocsparseL20bsrxmvn_17_32_kernelILj29EdllfddEEvT2_20rocsparse_direction_NS_24const_host_device_scalarIT0_EES1_PKS1_PKT1_SA_S7_PKT3_PKT4_S5_PT5_21rocsparse_index_base_b.private_seg_size, 0
	.set _ZN9rocsparseL20bsrxmvn_17_32_kernelILj29EdllfddEEvT2_20rocsparse_direction_NS_24const_host_device_scalarIT0_EES1_PKS1_PKT1_SA_S7_PKT3_PKT4_S5_PT5_21rocsparse_index_base_b.uses_vcc, 1
	.set _ZN9rocsparseL20bsrxmvn_17_32_kernelILj29EdllfddEEvT2_20rocsparse_direction_NS_24const_host_device_scalarIT0_EES1_PKS1_PKT1_SA_S7_PKT3_PKT4_S5_PT5_21rocsparse_index_base_b.uses_flat_scratch, 0
	.set _ZN9rocsparseL20bsrxmvn_17_32_kernelILj29EdllfddEEvT2_20rocsparse_direction_NS_24const_host_device_scalarIT0_EES1_PKS1_PKT1_SA_S7_PKT3_PKT4_S5_PT5_21rocsparse_index_base_b.has_dyn_sized_stack, 0
	.set _ZN9rocsparseL20bsrxmvn_17_32_kernelILj29EdllfddEEvT2_20rocsparse_direction_NS_24const_host_device_scalarIT0_EES1_PKS1_PKT1_SA_S7_PKT3_PKT4_S5_PT5_21rocsparse_index_base_b.has_recursion, 0
	.set _ZN9rocsparseL20bsrxmvn_17_32_kernelILj29EdllfddEEvT2_20rocsparse_direction_NS_24const_host_device_scalarIT0_EES1_PKS1_PKT1_SA_S7_PKT3_PKT4_S5_PT5_21rocsparse_index_base_b.has_indirect_call, 0
	.section	.AMDGPU.csdata,"",@progbits
; Kernel info:
; codeLenInByte = 1424
; TotalNumSgprs: 26
; NumVgprs: 21
; ScratchSize: 0
; MemoryBound: 0
; FloatMode: 240
; IeeeMode: 1
; LDSByteSize: 6728 bytes/workgroup (compile time only)
; SGPRBlocks: 10
; VGPRBlocks: 8
; NumSGPRsForWavesPerEU: 81
; NumVGPRsForWavesPerEU: 33
; Occupancy: 7
; WaveLimiterHint : 1
; COMPUTE_PGM_RSRC2:SCRATCH_EN: 0
; COMPUTE_PGM_RSRC2:USER_SGPR: 6
; COMPUTE_PGM_RSRC2:TRAP_HANDLER: 0
; COMPUTE_PGM_RSRC2:TGID_X_EN: 1
; COMPUTE_PGM_RSRC2:TGID_Y_EN: 0
; COMPUTE_PGM_RSRC2:TGID_Z_EN: 0
; COMPUTE_PGM_RSRC2:TIDIG_COMP_CNT: 0
	.section	.text._ZN9rocsparseL20bsrxmvn_17_32_kernelILj30EdllfddEEvT2_20rocsparse_direction_NS_24const_host_device_scalarIT0_EES1_PKS1_PKT1_SA_S7_PKT3_PKT4_S5_PT5_21rocsparse_index_base_b,"axG",@progbits,_ZN9rocsparseL20bsrxmvn_17_32_kernelILj30EdllfddEEvT2_20rocsparse_direction_NS_24const_host_device_scalarIT0_EES1_PKS1_PKT1_SA_S7_PKT3_PKT4_S5_PT5_21rocsparse_index_base_b,comdat
	.globl	_ZN9rocsparseL20bsrxmvn_17_32_kernelILj30EdllfddEEvT2_20rocsparse_direction_NS_24const_host_device_scalarIT0_EES1_PKS1_PKT1_SA_S7_PKT3_PKT4_S5_PT5_21rocsparse_index_base_b ; -- Begin function _ZN9rocsparseL20bsrxmvn_17_32_kernelILj30EdllfddEEvT2_20rocsparse_direction_NS_24const_host_device_scalarIT0_EES1_PKS1_PKT1_SA_S7_PKT3_PKT4_S5_PT5_21rocsparse_index_base_b
	.p2align	8
	.type	_ZN9rocsparseL20bsrxmvn_17_32_kernelILj30EdllfddEEvT2_20rocsparse_direction_NS_24const_host_device_scalarIT0_EES1_PKS1_PKT1_SA_S7_PKT3_PKT4_S5_PT5_21rocsparse_index_base_b,@function
_ZN9rocsparseL20bsrxmvn_17_32_kernelILj30EdllfddEEvT2_20rocsparse_direction_NS_24const_host_device_scalarIT0_EES1_PKS1_PKT1_SA_S7_PKT3_PKT4_S5_PT5_21rocsparse_index_base_b: ; @_ZN9rocsparseL20bsrxmvn_17_32_kernelILj30EdllfddEEvT2_20rocsparse_direction_NS_24const_host_device_scalarIT0_EES1_PKS1_PKT1_SA_S7_PKT3_PKT4_S5_PT5_21rocsparse_index_base_b
; %bb.0:
	s_load_dwordx2 s[14:15], s[4:5], 0x60
	s_load_dwordx2 s[8:9], s[4:5], 0x10
	;; [unrolled: 1-line block ×3, first 2 shown]
	s_waitcnt lgkmcnt(0)
	s_bitcmp1_b32 s15, 0
	s_cselect_b64 s[10:11], -1, 0
	v_mov_b32_e32 v3, s8
	s_xor_b64 s[2:3], s[10:11], -1
	s_and_b64 vcc, exec, s[10:11]
	v_mov_b32_e32 v4, s9
	s_cbranch_vccnz .LBB525_2
; %bb.1:
	v_mov_b32_e32 v1, s8
	v_mov_b32_e32 v2, s9
	flat_load_dwordx2 v[3:4], v[1:2]
.LBB525_2:
	v_mov_b32_e32 v2, s1
	s_andn2_b64 vcc, exec, s[2:3]
	v_mov_b32_e32 v1, s0
	s_cbranch_vccnz .LBB525_4
; %bb.3:
	v_mov_b32_e32 v2, s1
	v_mov_b32_e32 v1, s0
	flat_load_dwordx2 v[1:2], v[1:2]
.LBB525_4:
	s_waitcnt vmcnt(0) lgkmcnt(0)
	v_cmp_neq_f64_e32 vcc, 0, v[3:4]
	v_cmp_neq_f64_e64 s[0:1], 1.0, v[1:2]
	s_or_b64 s[0:1], vcc, s[0:1]
	s_and_saveexec_b64 s[2:3], s[0:1]
	s_cbranch_execz .LBB525_41
; %bb.5:
	s_load_dwordx4 s[0:3], s[4:5], 0x20
	s_load_dwordx2 s[8:9], s[4:5], 0x30
	s_mov_b32 s7, 0
	s_waitcnt lgkmcnt(0)
	s_cmp_eq_u64 s[0:1], 0
	s_cbranch_scc1 .LBB525_7
; %bb.6:
	s_lshl_b64 s[6:7], s[6:7], 3
	s_add_u32 s0, s0, s6
	s_addc_u32 s1, s1, s7
	s_load_dwordx2 s[0:1], s[0:1], 0x0
	s_waitcnt lgkmcnt(0)
	s_sub_u32 s6, s0, s14
	s_subb_u32 s7, s1, 0
.LBB525_7:
	s_load_dword s10, s[4:5], 0x8
	s_load_dwordx2 s[12:13], s[4:5], 0x58
	v_mul_u32_u24_e32 v8, 0x889, v0
	v_mov_b32_e32 v5, 30
	v_mul_lo_u16_sdwa v5, v8, v5 dst_sel:DWORD dst_unused:UNUSED_PAD src0_sel:WORD_1 src1_sel:DWORD
	s_waitcnt lgkmcnt(0)
	s_cmp_eq_u32 s10, 1
	s_cselect_b64 s[0:1], -1, 0
	s_cmp_lg_u32 s10, 1
	s_cselect_b64 s[16:17], -1, 0
	s_lshl_b64 s[10:11], s[6:7], 3
	s_add_u32 s20, s2, s10
	s_addc_u32 s21, s3, s11
	s_add_u32 s2, s20, 8
	s_addc_u32 s3, s21, 0
	;; [unrolled: 2-line block ×3, first 2 shown]
	s_cmp_eq_u64 s[8:9], 0
	s_cselect_b32 s9, s3, s11
	s_cselect_b32 s8, s2, s10
	s_load_dwordx2 s[2:3], s[8:9], 0x0
	s_load_dwordx2 s[18:19], s[20:21], 0x0
	v_sub_u16_e32 v15, v0, v5
	v_mov_b32_e32 v7, 0
	s_waitcnt lgkmcnt(0)
	v_mov_b32_e32 v6, s3
	v_mov_b32_e32 v5, s2
	v_cmp_ge_i64_e32 vcc, s[18:19], v[5:6]
	v_mov_b32_e32 v5, 0
	v_mov_b32_e32 v6, 0
	s_cbranch_vccnz .LBB525_12
; %bb.8:
	s_load_dwordx4 s[8:11], s[4:5], 0x38
	s_load_dwordx2 s[20:21], s[4:5], 0x48
	s_mov_b32 s4, 0xffff
	s_movk_i32 s5, 0x384
	v_and_b32_sdwa v5, s4, v8 dst_sel:DWORD dst_unused:UNUSED_PAD src0_sel:DWORD src1_sel:WORD_1
	s_sub_u32 s2, s2, s14
	v_subrev_u32_e32 v6, 30, v5
	v_cmp_gt_u32_e32 vcc, s5, v0
	s_subb_u32 s3, s3, 0
	v_cndmask_b32_e32 v5, v6, v5, vcc
	s_sub_u32 s4, s18, s14
	v_cndmask_b32_e64 v6, v15, v5, s[0:1]
	s_subb_u32 s5, s19, 0
	v_lshlrev_b64 v[5:6], 3, v[6:7]
	s_mul_i32 s0, s5, 0xe10
	s_mul_hi_u32 s1, s4, 0xe10
	s_add_i32 s1, s1, s0
	s_mul_i32 s0, s4, 0xe10
	s_waitcnt lgkmcnt(0)
	v_mov_b32_e32 v8, s21
	v_add_co_u32_e32 v7, vcc, s20, v5
	s_add_u32 s0, s10, s0
	v_addc_co_u32_e32 v8, vcc, v8, v6, vcc
	s_addc_u32 s1, s11, s1
	v_lshlrev_b32_e32 v5, 2, v0
	v_mov_b32_e32 v6, s1
	v_add_co_u32_e32 v9, vcc, s0, v5
	v_addc_co_u32_e32 v10, vcc, 0, v6, vcc
	s_movk_i32 s0, 0x383
	v_cmp_lt_u32_e32 vcc, s0, v0
	v_cndmask_b32_e64 v16, 0, 1, vcc
	v_mov_b32_e32 v5, s19
	v_add_co_u32_e32 v6, vcc, s18, v16
	v_addc_co_u32_e32 v11, vcc, 0, v5, vcc
	v_subrev_co_u32_e32 v5, vcc, s14, v6
	v_subbrev_co_u32_e32 v6, vcc, 0, v11, vcc
	v_lshlrev_b64 v[5:6], 3, v[5:6]
	v_mov_b32_e32 v12, s9
	v_add_co_u32_e32 v11, vcc, s8, v5
	v_addc_co_u32_e32 v12, vcc, v12, v6, vcc
	v_mov_b32_e32 v5, 0
	v_mov_b32_e32 v14, s3
	;; [unrolled: 1-line block ×3, first 2 shown]
	s_movk_i32 s8, 0xf0
	v_mov_b32_e32 v13, s2
	s_branch .LBB525_10
.LBB525_9:                              ;   in Loop: Header=BB525_10 Depth=1
	s_or_b64 exec, exec, s[0:1]
	s_add_u32 s4, s4, 1
	s_addc_u32 s5, s5, 0
	v_cmp_lt_i64_e32 vcc, s[4:5], v[13:14]
	v_add_co_u32_e64 v11, s[0:1], 8, v11
	v_addc_co_u32_e64 v12, s[0:1], 0, v12, s[0:1]
	s_cbranch_vccz .LBB525_12
.LBB525_10:                             ; =>This Inner Loop Header: Depth=1
	v_mov_b32_e32 v18, s5
	v_add_co_u32_e32 v17, vcc, s4, v16
	v_addc_co_u32_e32 v18, vcc, 0, v18, vcc
	v_cmp_gt_i64_e32 vcc, s[2:3], v[17:18]
	s_and_saveexec_b64 s[0:1], vcc
	s_cbranch_execz .LBB525_9
; %bb.11:                               ;   in Loop: Header=BB525_10 Depth=1
	global_load_dwordx2 v[17:18], v[11:12], off
	s_waitcnt vmcnt(0)
	v_subrev_co_u32_e32 v17, vcc, s14, v17
	v_subbrev_co_u32_e32 v19, vcc, 0, v18, vcc
	v_mad_u64_u32 v[17:18], s[10:11], v17, s8, v[7:8]
	v_mad_u64_u32 v[18:19], s[10:11], v19, s8, v[18:19]
	global_load_dword v19, v[9:10], off
	s_nop 0
	global_load_dwordx2 v[17:18], v[17:18], off
	v_add_co_u32_e32 v9, vcc, 0xe10, v9
	v_addc_co_u32_e32 v10, vcc, 0, v10, vcc
	s_waitcnt vmcnt(1)
	v_cvt_f64_f32_e32 v[19:20], v19
	s_waitcnt vmcnt(0)
	v_fma_f64 v[5:6], v[19:20], v[17:18], v[5:6]
	s_branch .LBB525_9
.LBB525_12:
	v_lshlrev_b32_e32 v9, 3, v0
	s_and_b64 vcc, exec, s[16:17]
	ds_write_b64 v9, v[5:6]
	s_waitcnt lgkmcnt(0)
	s_barrier
	s_cbranch_vccz .LBB525_24
; %bb.13:
	v_cmp_gt_u16_e32 vcc, 14, v15
	s_and_saveexec_b64 s[0:1], vcc
	s_cbranch_execz .LBB525_15
; %bb.14:
	ds_read2_b64 v[10:13], v9 offset1:16
	s_waitcnt lgkmcnt(0)
	v_add_f64 v[7:8], v[12:13], v[10:11]
	ds_write_b64 v9, v[7:8]
.LBB525_15:
	s_or_b64 exec, exec, s[0:1]
	v_cmp_gt_u16_e32 vcc, 8, v15
	s_waitcnt lgkmcnt(0)
	s_barrier
	s_and_saveexec_b64 s[0:1], vcc
	s_cbranch_execz .LBB525_17
; %bb.16:
	ds_read2_b64 v[10:13], v9 offset1:8
	s_waitcnt lgkmcnt(0)
	v_add_f64 v[7:8], v[12:13], v[10:11]
	ds_write_b64 v9, v[7:8]
.LBB525_17:
	s_or_b64 exec, exec, s[0:1]
	v_cmp_gt_u16_e32 vcc, 4, v15
	s_waitcnt lgkmcnt(0)
	s_barrier
	;; [unrolled: 12-line block ×3, first 2 shown]
	s_and_saveexec_b64 s[0:1], vcc
	s_cbranch_execz .LBB525_21
; %bb.20:
	ds_read2_b64 v[10:13], v9 offset1:2
	s_waitcnt lgkmcnt(0)
	v_add_f64 v[7:8], v[12:13], v[10:11]
	ds_write_b64 v9, v[7:8]
.LBB525_21:
	s_or_b64 exec, exec, s[0:1]
	v_mov_b32_e32 v8, v6
	v_cmp_gt_u32_e32 vcc, 30, v0
	v_mov_b32_e32 v7, v5
	s_waitcnt lgkmcnt(0)
	s_barrier
	s_and_saveexec_b64 s[0:1], vcc
	s_cbranch_execz .LBB525_23
; %bb.22:
	s_movk_i32 s2, 0xe8
	v_mad_u32_u24 v7, v0, s2, v9
	ds_read_b128 v[10:13], v7
	s_waitcnt lgkmcnt(0)
	v_add_f64 v[7:8], v[10:11], v[12:13]
.LBB525_23:
	s_or_b64 exec, exec, s[0:1]
	s_branch .LBB525_36
.LBB525_24:
                                        ; implicit-def: $vgpr7_vgpr8
	s_cbranch_execz .LBB525_36
; %bb.25:
	s_movk_i32 s0, 0x1a4
	v_cmp_gt_u32_e32 vcc, s0, v0
	s_and_saveexec_b64 s[0:1], vcc
	s_cbranch_execz .LBB525_27
; %bb.26:
	ds_read_b64 v[7:8], v9 offset:3840
	ds_read_b64 v[10:11], v9
	s_waitcnt lgkmcnt(0)
	v_add_f64 v[7:8], v[7:8], v[10:11]
	ds_write_b64 v9, v[7:8]
.LBB525_27:
	s_or_b64 exec, exec, s[0:1]
	s_movk_i32 s0, 0xf0
	v_cmp_gt_u32_e32 vcc, s0, v0
	s_waitcnt lgkmcnt(0)
	s_barrier
	s_and_saveexec_b64 s[0:1], vcc
	s_cbranch_execz .LBB525_29
; %bb.28:
	ds_read2_b64 v[10:13], v9 offset1:240
	s_waitcnt lgkmcnt(0)
	v_add_f64 v[7:8], v[12:13], v[10:11]
	ds_write_b64 v9, v[7:8]
.LBB525_29:
	s_or_b64 exec, exec, s[0:1]
	s_movk_i32 s0, 0x78
	v_cmp_gt_u32_e32 vcc, s0, v0
	s_waitcnt lgkmcnt(0)
	s_barrier
	s_and_saveexec_b64 s[0:1], vcc
	s_cbranch_execz .LBB525_31
; %bb.30:
	ds_read2_b64 v[10:13], v9 offset1:120
	s_waitcnt lgkmcnt(0)
	v_add_f64 v[7:8], v[12:13], v[10:11]
	ds_write_b64 v9, v[7:8]
.LBB525_31:
	s_or_b64 exec, exec, s[0:1]
	v_cmp_gt_u32_e32 vcc, 60, v0
	s_waitcnt lgkmcnt(0)
	s_barrier
	s_and_saveexec_b64 s[0:1], vcc
	s_cbranch_execz .LBB525_33
; %bb.32:
	ds_read2_b64 v[10:13], v9 offset1:60
	s_waitcnt lgkmcnt(0)
	v_add_f64 v[7:8], v[12:13], v[10:11]
	ds_write_b64 v9, v[7:8]
.LBB525_33:
	s_or_b64 exec, exec, s[0:1]
	v_cmp_gt_u32_e32 vcc, 30, v0
	s_waitcnt lgkmcnt(0)
	s_and_saveexec_b64 s[0:1], vcc
	s_cbranch_execz .LBB525_35
; %bb.34:
	ds_read2_b64 v[5:8], v9 offset1:30
	s_waitcnt lgkmcnt(0)
	v_add_f64 v[5:6], v[5:6], v[7:8]
.LBB525_35:
	s_or_b64 exec, exec, s[0:1]
	v_mov_b32_e32 v8, v6
	v_mov_b32_e32 v7, v5
.LBB525_36:
	v_cmp_gt_u32_e32 vcc, 30, v0
	s_and_b64 exec, exec, vcc
	s_cbranch_execz .LBB525_41
; %bb.37:
	v_cmp_eq_f64_e32 vcc, 0, v[1:2]
	v_mul_f64 v[3:4], v[3:4], v[7:8]
	s_mul_i32 s2, s7, 0xf0
	s_mul_hi_u32 s3, s6, 0xf0
	s_mul_i32 s4, s6, 0xf0
	s_and_saveexec_b64 s[0:1], vcc
	s_xor_b64 s[0:1], exec, s[0:1]
	s_cbranch_execz .LBB525_39
; %bb.38:
	s_add_i32 s5, s3, s2
	s_add_u32 s6, s12, s4
	s_addc_u32 s7, s13, s5
	global_store_dwordx2 v9, v[3:4], s[6:7]
                                        ; implicit-def: $vgpr9
                                        ; implicit-def: $vgpr1_vgpr2
                                        ; implicit-def: $vgpr3_vgpr4
.LBB525_39:
	s_andn2_saveexec_b64 s[0:1], s[0:1]
	s_cbranch_execz .LBB525_41
; %bb.40:
	s_add_i32 s3, s3, s2
	s_add_u32 s0, s12, s4
	s_addc_u32 s1, s13, s3
	global_load_dwordx2 v[5:6], v9, s[0:1]
	s_waitcnt vmcnt(0)
	v_fma_f64 v[0:1], v[1:2], v[5:6], v[3:4]
	global_store_dwordx2 v9, v[0:1], s[0:1]
.LBB525_41:
	s_endpgm
	.section	.rodata,"a",@progbits
	.p2align	6, 0x0
	.amdhsa_kernel _ZN9rocsparseL20bsrxmvn_17_32_kernelILj30EdllfddEEvT2_20rocsparse_direction_NS_24const_host_device_scalarIT0_EES1_PKS1_PKT1_SA_S7_PKT3_PKT4_S5_PT5_21rocsparse_index_base_b
		.amdhsa_group_segment_fixed_size 7200
		.amdhsa_private_segment_fixed_size 0
		.amdhsa_kernarg_size 104
		.amdhsa_user_sgpr_count 6
		.amdhsa_user_sgpr_private_segment_buffer 1
		.amdhsa_user_sgpr_dispatch_ptr 0
		.amdhsa_user_sgpr_queue_ptr 0
		.amdhsa_user_sgpr_kernarg_segment_ptr 1
		.amdhsa_user_sgpr_dispatch_id 0
		.amdhsa_user_sgpr_flat_scratch_init 0
		.amdhsa_user_sgpr_private_segment_size 0
		.amdhsa_uses_dynamic_stack 0
		.amdhsa_system_sgpr_private_segment_wavefront_offset 0
		.amdhsa_system_sgpr_workgroup_id_x 1
		.amdhsa_system_sgpr_workgroup_id_y 0
		.amdhsa_system_sgpr_workgroup_id_z 0
		.amdhsa_system_sgpr_workgroup_info 0
		.amdhsa_system_vgpr_workitem_id 0
		.amdhsa_next_free_vgpr 29
		.amdhsa_next_free_sgpr 61
		.amdhsa_reserve_vcc 1
		.amdhsa_reserve_flat_scratch 0
		.amdhsa_float_round_mode_32 0
		.amdhsa_float_round_mode_16_64 0
		.amdhsa_float_denorm_mode_32 3
		.amdhsa_float_denorm_mode_16_64 3
		.amdhsa_dx10_clamp 1
		.amdhsa_ieee_mode 1
		.amdhsa_fp16_overflow 0
		.amdhsa_exception_fp_ieee_invalid_op 0
		.amdhsa_exception_fp_denorm_src 0
		.amdhsa_exception_fp_ieee_div_zero 0
		.amdhsa_exception_fp_ieee_overflow 0
		.amdhsa_exception_fp_ieee_underflow 0
		.amdhsa_exception_fp_ieee_inexact 0
		.amdhsa_exception_int_div_zero 0
	.end_amdhsa_kernel
	.section	.text._ZN9rocsparseL20bsrxmvn_17_32_kernelILj30EdllfddEEvT2_20rocsparse_direction_NS_24const_host_device_scalarIT0_EES1_PKS1_PKT1_SA_S7_PKT3_PKT4_S5_PT5_21rocsparse_index_base_b,"axG",@progbits,_ZN9rocsparseL20bsrxmvn_17_32_kernelILj30EdllfddEEvT2_20rocsparse_direction_NS_24const_host_device_scalarIT0_EES1_PKS1_PKT1_SA_S7_PKT3_PKT4_S5_PT5_21rocsparse_index_base_b,comdat
.Lfunc_end525:
	.size	_ZN9rocsparseL20bsrxmvn_17_32_kernelILj30EdllfddEEvT2_20rocsparse_direction_NS_24const_host_device_scalarIT0_EES1_PKS1_PKT1_SA_S7_PKT3_PKT4_S5_PT5_21rocsparse_index_base_b, .Lfunc_end525-_ZN9rocsparseL20bsrxmvn_17_32_kernelILj30EdllfddEEvT2_20rocsparse_direction_NS_24const_host_device_scalarIT0_EES1_PKS1_PKT1_SA_S7_PKT3_PKT4_S5_PT5_21rocsparse_index_base_b
                                        ; -- End function
	.set _ZN9rocsparseL20bsrxmvn_17_32_kernelILj30EdllfddEEvT2_20rocsparse_direction_NS_24const_host_device_scalarIT0_EES1_PKS1_PKT1_SA_S7_PKT3_PKT4_S5_PT5_21rocsparse_index_base_b.num_vgpr, 21
	.set _ZN9rocsparseL20bsrxmvn_17_32_kernelILj30EdllfddEEvT2_20rocsparse_direction_NS_24const_host_device_scalarIT0_EES1_PKS1_PKT1_SA_S7_PKT3_PKT4_S5_PT5_21rocsparse_index_base_b.num_agpr, 0
	.set _ZN9rocsparseL20bsrxmvn_17_32_kernelILj30EdllfddEEvT2_20rocsparse_direction_NS_24const_host_device_scalarIT0_EES1_PKS1_PKT1_SA_S7_PKT3_PKT4_S5_PT5_21rocsparse_index_base_b.numbered_sgpr, 22
	.set _ZN9rocsparseL20bsrxmvn_17_32_kernelILj30EdllfddEEvT2_20rocsparse_direction_NS_24const_host_device_scalarIT0_EES1_PKS1_PKT1_SA_S7_PKT3_PKT4_S5_PT5_21rocsparse_index_base_b.num_named_barrier, 0
	.set _ZN9rocsparseL20bsrxmvn_17_32_kernelILj30EdllfddEEvT2_20rocsparse_direction_NS_24const_host_device_scalarIT0_EES1_PKS1_PKT1_SA_S7_PKT3_PKT4_S5_PT5_21rocsparse_index_base_b.private_seg_size, 0
	.set _ZN9rocsparseL20bsrxmvn_17_32_kernelILj30EdllfddEEvT2_20rocsparse_direction_NS_24const_host_device_scalarIT0_EES1_PKS1_PKT1_SA_S7_PKT3_PKT4_S5_PT5_21rocsparse_index_base_b.uses_vcc, 1
	.set _ZN9rocsparseL20bsrxmvn_17_32_kernelILj30EdllfddEEvT2_20rocsparse_direction_NS_24const_host_device_scalarIT0_EES1_PKS1_PKT1_SA_S7_PKT3_PKT4_S5_PT5_21rocsparse_index_base_b.uses_flat_scratch, 0
	.set _ZN9rocsparseL20bsrxmvn_17_32_kernelILj30EdllfddEEvT2_20rocsparse_direction_NS_24const_host_device_scalarIT0_EES1_PKS1_PKT1_SA_S7_PKT3_PKT4_S5_PT5_21rocsparse_index_base_b.has_dyn_sized_stack, 0
	.set _ZN9rocsparseL20bsrxmvn_17_32_kernelILj30EdllfddEEvT2_20rocsparse_direction_NS_24const_host_device_scalarIT0_EES1_PKS1_PKT1_SA_S7_PKT3_PKT4_S5_PT5_21rocsparse_index_base_b.has_recursion, 0
	.set _ZN9rocsparseL20bsrxmvn_17_32_kernelILj30EdllfddEEvT2_20rocsparse_direction_NS_24const_host_device_scalarIT0_EES1_PKS1_PKT1_SA_S7_PKT3_PKT4_S5_PT5_21rocsparse_index_base_b.has_indirect_call, 0
	.section	.AMDGPU.csdata,"",@progbits
; Kernel info:
; codeLenInByte = 1424
; TotalNumSgprs: 26
; NumVgprs: 21
; ScratchSize: 0
; MemoryBound: 0
; FloatMode: 240
; IeeeMode: 1
; LDSByteSize: 7200 bytes/workgroup (compile time only)
; SGPRBlocks: 8
; VGPRBlocks: 7
; NumSGPRsForWavesPerEU: 65
; NumVGPRsForWavesPerEU: 29
; Occupancy: 8
; WaveLimiterHint : 1
; COMPUTE_PGM_RSRC2:SCRATCH_EN: 0
; COMPUTE_PGM_RSRC2:USER_SGPR: 6
; COMPUTE_PGM_RSRC2:TRAP_HANDLER: 0
; COMPUTE_PGM_RSRC2:TGID_X_EN: 1
; COMPUTE_PGM_RSRC2:TGID_Y_EN: 0
; COMPUTE_PGM_RSRC2:TGID_Z_EN: 0
; COMPUTE_PGM_RSRC2:TIDIG_COMP_CNT: 0
	.section	.text._ZN9rocsparseL20bsrxmvn_17_32_kernelILj31EdllfddEEvT2_20rocsparse_direction_NS_24const_host_device_scalarIT0_EES1_PKS1_PKT1_SA_S7_PKT3_PKT4_S5_PT5_21rocsparse_index_base_b,"axG",@progbits,_ZN9rocsparseL20bsrxmvn_17_32_kernelILj31EdllfddEEvT2_20rocsparse_direction_NS_24const_host_device_scalarIT0_EES1_PKS1_PKT1_SA_S7_PKT3_PKT4_S5_PT5_21rocsparse_index_base_b,comdat
	.globl	_ZN9rocsparseL20bsrxmvn_17_32_kernelILj31EdllfddEEvT2_20rocsparse_direction_NS_24const_host_device_scalarIT0_EES1_PKS1_PKT1_SA_S7_PKT3_PKT4_S5_PT5_21rocsparse_index_base_b ; -- Begin function _ZN9rocsparseL20bsrxmvn_17_32_kernelILj31EdllfddEEvT2_20rocsparse_direction_NS_24const_host_device_scalarIT0_EES1_PKS1_PKT1_SA_S7_PKT3_PKT4_S5_PT5_21rocsparse_index_base_b
	.p2align	8
	.type	_ZN9rocsparseL20bsrxmvn_17_32_kernelILj31EdllfddEEvT2_20rocsparse_direction_NS_24const_host_device_scalarIT0_EES1_PKS1_PKT1_SA_S7_PKT3_PKT4_S5_PT5_21rocsparse_index_base_b,@function
_ZN9rocsparseL20bsrxmvn_17_32_kernelILj31EdllfddEEvT2_20rocsparse_direction_NS_24const_host_device_scalarIT0_EES1_PKS1_PKT1_SA_S7_PKT3_PKT4_S5_PT5_21rocsparse_index_base_b: ; @_ZN9rocsparseL20bsrxmvn_17_32_kernelILj31EdllfddEEvT2_20rocsparse_direction_NS_24const_host_device_scalarIT0_EES1_PKS1_PKT1_SA_S7_PKT3_PKT4_S5_PT5_21rocsparse_index_base_b
; %bb.0:
	s_load_dwordx2 s[14:15], s[4:5], 0x60
	s_load_dwordx2 s[8:9], s[4:5], 0x10
	;; [unrolled: 1-line block ×3, first 2 shown]
	s_waitcnt lgkmcnt(0)
	s_bitcmp1_b32 s15, 0
	s_cselect_b64 s[10:11], -1, 0
	v_mov_b32_e32 v3, s8
	s_xor_b64 s[2:3], s[10:11], -1
	s_and_b64 vcc, exec, s[10:11]
	v_mov_b32_e32 v4, s9
	s_cbranch_vccnz .LBB526_2
; %bb.1:
	v_mov_b32_e32 v1, s8
	v_mov_b32_e32 v2, s9
	flat_load_dwordx2 v[3:4], v[1:2]
.LBB526_2:
	v_mov_b32_e32 v2, s1
	s_andn2_b64 vcc, exec, s[2:3]
	v_mov_b32_e32 v1, s0
	s_cbranch_vccnz .LBB526_4
; %bb.3:
	v_mov_b32_e32 v2, s1
	v_mov_b32_e32 v1, s0
	flat_load_dwordx2 v[1:2], v[1:2]
.LBB526_4:
	s_waitcnt vmcnt(0) lgkmcnt(0)
	v_cmp_neq_f64_e32 vcc, 0, v[3:4]
	v_cmp_neq_f64_e64 s[0:1], 1.0, v[1:2]
	s_or_b64 s[0:1], vcc, s[0:1]
	s_and_saveexec_b64 s[2:3], s[0:1]
	s_cbranch_execz .LBB526_41
; %bb.5:
	s_load_dwordx4 s[0:3], s[4:5], 0x20
	s_load_dwordx2 s[8:9], s[4:5], 0x30
	s_mov_b32 s7, 0
	s_waitcnt lgkmcnt(0)
	s_cmp_eq_u64 s[0:1], 0
	s_cbranch_scc1 .LBB526_7
; %bb.6:
	s_lshl_b64 s[6:7], s[6:7], 3
	s_add_u32 s0, s0, s6
	s_addc_u32 s1, s1, s7
	s_load_dwordx2 s[0:1], s[0:1], 0x0
	s_waitcnt lgkmcnt(0)
	s_sub_u32 s6, s0, s14
	s_subb_u32 s7, s1, 0
.LBB526_7:
	s_load_dword s10, s[4:5], 0x8
	s_load_dwordx2 s[12:13], s[4:5], 0x58
	v_mul_u32_u24_e32 v8, 0x843, v0
	v_mov_b32_e32 v5, 31
	v_mul_lo_u16_sdwa v5, v8, v5 dst_sel:DWORD dst_unused:UNUSED_PAD src0_sel:WORD_1 src1_sel:DWORD
	s_waitcnt lgkmcnt(0)
	s_cmp_eq_u32 s10, 1
	s_cselect_b64 s[0:1], -1, 0
	s_cmp_lg_u32 s10, 1
	s_cselect_b64 s[16:17], -1, 0
	s_lshl_b64 s[10:11], s[6:7], 3
	s_add_u32 s20, s2, s10
	s_addc_u32 s21, s3, s11
	s_add_u32 s2, s20, 8
	s_addc_u32 s3, s21, 0
	;; [unrolled: 2-line block ×3, first 2 shown]
	s_cmp_eq_u64 s[8:9], 0
	s_cselect_b32 s9, s3, s11
	s_cselect_b32 s8, s2, s10
	s_load_dwordx2 s[2:3], s[8:9], 0x0
	s_load_dwordx2 s[18:19], s[20:21], 0x0
	v_sub_u16_e32 v15, v0, v5
	v_mov_b32_e32 v7, 0
	s_waitcnt lgkmcnt(0)
	v_mov_b32_e32 v6, s3
	v_mov_b32_e32 v5, s2
	v_cmp_ge_i64_e32 vcc, s[18:19], v[5:6]
	v_mov_b32_e32 v5, 0
	v_mov_b32_e32 v6, 0
	s_cbranch_vccnz .LBB526_12
; %bb.8:
	s_load_dwordx4 s[8:11], s[4:5], 0x38
	s_load_dwordx2 s[20:21], s[4:5], 0x48
	s_mov_b32 s4, 0xffff
	s_movk_i32 s5, 0x3c1
	v_and_b32_sdwa v5, s4, v8 dst_sel:DWORD dst_unused:UNUSED_PAD src0_sel:DWORD src1_sel:WORD_1
	s_sub_u32 s2, s2, s14
	v_subrev_u32_e32 v6, 31, v5
	v_cmp_gt_u32_e32 vcc, s5, v0
	s_subb_u32 s3, s3, 0
	v_cndmask_b32_e32 v5, v6, v5, vcc
	s_sub_u32 s4, s18, s14
	v_cndmask_b32_e64 v6, v15, v5, s[0:1]
	s_subb_u32 s5, s19, 0
	v_lshlrev_b64 v[5:6], 3, v[6:7]
	s_mul_i32 s0, s5, 0xf04
	s_mul_hi_u32 s1, s4, 0xf04
	s_add_i32 s1, s1, s0
	s_mul_i32 s0, s4, 0xf04
	s_waitcnt lgkmcnt(0)
	v_mov_b32_e32 v8, s21
	v_add_co_u32_e32 v7, vcc, s20, v5
	s_add_u32 s0, s10, s0
	v_addc_co_u32_e32 v8, vcc, v8, v6, vcc
	s_addc_u32 s1, s11, s1
	v_lshlrev_b32_e32 v5, 2, v0
	v_mov_b32_e32 v6, s1
	v_add_co_u32_e32 v9, vcc, s0, v5
	v_addc_co_u32_e32 v10, vcc, 0, v6, vcc
	s_movk_i32 s0, 0x3c0
	v_cmp_lt_u32_e32 vcc, s0, v0
	v_cndmask_b32_e64 v16, 0, 1, vcc
	v_mov_b32_e32 v5, s19
	v_add_co_u32_e32 v6, vcc, s18, v16
	v_addc_co_u32_e32 v11, vcc, 0, v5, vcc
	v_subrev_co_u32_e32 v5, vcc, s14, v6
	v_subbrev_co_u32_e32 v6, vcc, 0, v11, vcc
	v_lshlrev_b64 v[5:6], 3, v[5:6]
	v_mov_b32_e32 v12, s9
	v_add_co_u32_e32 v11, vcc, s8, v5
	v_addc_co_u32_e32 v12, vcc, v12, v6, vcc
	v_mov_b32_e32 v5, 0
	v_mov_b32_e32 v14, s3
	;; [unrolled: 1-line block ×3, first 2 shown]
	s_movk_i32 s8, 0xf8
	v_mov_b32_e32 v13, s2
	s_branch .LBB526_10
.LBB526_9:                              ;   in Loop: Header=BB526_10 Depth=1
	s_or_b64 exec, exec, s[0:1]
	s_add_u32 s4, s4, 1
	s_addc_u32 s5, s5, 0
	v_cmp_lt_i64_e32 vcc, s[4:5], v[13:14]
	v_add_co_u32_e64 v11, s[0:1], 8, v11
	v_addc_co_u32_e64 v12, s[0:1], 0, v12, s[0:1]
	s_cbranch_vccz .LBB526_12
.LBB526_10:                             ; =>This Inner Loop Header: Depth=1
	v_mov_b32_e32 v18, s5
	v_add_co_u32_e32 v17, vcc, s4, v16
	v_addc_co_u32_e32 v18, vcc, 0, v18, vcc
	v_cmp_gt_i64_e32 vcc, s[2:3], v[17:18]
	s_and_saveexec_b64 s[0:1], vcc
	s_cbranch_execz .LBB526_9
; %bb.11:                               ;   in Loop: Header=BB526_10 Depth=1
	global_load_dwordx2 v[17:18], v[11:12], off
	s_waitcnt vmcnt(0)
	v_subrev_co_u32_e32 v17, vcc, s14, v17
	v_subbrev_co_u32_e32 v19, vcc, 0, v18, vcc
	v_mad_u64_u32 v[17:18], s[10:11], v17, s8, v[7:8]
	v_mad_u64_u32 v[18:19], s[10:11], v19, s8, v[18:19]
	global_load_dword v19, v[9:10], off
	s_nop 0
	global_load_dwordx2 v[17:18], v[17:18], off
	v_add_co_u32_e32 v9, vcc, 0xf04, v9
	v_addc_co_u32_e32 v10, vcc, 0, v10, vcc
	s_waitcnt vmcnt(1)
	v_cvt_f64_f32_e32 v[19:20], v19
	s_waitcnt vmcnt(0)
	v_fma_f64 v[5:6], v[19:20], v[17:18], v[5:6]
	s_branch .LBB526_9
.LBB526_12:
	v_lshlrev_b32_e32 v9, 3, v0
	s_and_b64 vcc, exec, s[16:17]
	ds_write_b64 v9, v[5:6]
	s_waitcnt lgkmcnt(0)
	s_barrier
	s_cbranch_vccz .LBB526_24
; %bb.13:
	v_cmp_gt_u16_e32 vcc, 15, v15
	s_and_saveexec_b64 s[0:1], vcc
	s_cbranch_execz .LBB526_15
; %bb.14:
	ds_read2_b64 v[10:13], v9 offset1:16
	s_waitcnt lgkmcnt(0)
	v_add_f64 v[7:8], v[12:13], v[10:11]
	ds_write_b64 v9, v[7:8]
.LBB526_15:
	s_or_b64 exec, exec, s[0:1]
	v_cmp_gt_u16_e32 vcc, 8, v15
	s_waitcnt lgkmcnt(0)
	s_barrier
	s_and_saveexec_b64 s[0:1], vcc
	s_cbranch_execz .LBB526_17
; %bb.16:
	ds_read2_b64 v[10:13], v9 offset1:8
	s_waitcnt lgkmcnt(0)
	v_add_f64 v[7:8], v[12:13], v[10:11]
	ds_write_b64 v9, v[7:8]
.LBB526_17:
	s_or_b64 exec, exec, s[0:1]
	v_cmp_gt_u16_e32 vcc, 4, v15
	s_waitcnt lgkmcnt(0)
	s_barrier
	;; [unrolled: 12-line block ×3, first 2 shown]
	s_and_saveexec_b64 s[0:1], vcc
	s_cbranch_execz .LBB526_21
; %bb.20:
	ds_read2_b64 v[10:13], v9 offset1:2
	s_waitcnt lgkmcnt(0)
	v_add_f64 v[7:8], v[12:13], v[10:11]
	ds_write_b64 v9, v[7:8]
.LBB526_21:
	s_or_b64 exec, exec, s[0:1]
	v_mov_b32_e32 v8, v6
	v_cmp_gt_u32_e32 vcc, 31, v0
	v_mov_b32_e32 v7, v5
	s_waitcnt lgkmcnt(0)
	s_barrier
	s_and_saveexec_b64 s[0:1], vcc
	s_cbranch_execz .LBB526_23
; %bb.22:
	s_movk_i32 s2, 0xf0
	v_mad_u32_u24 v7, v0, s2, v9
	ds_read2_b64 v[10:13], v7 offset1:1
	s_waitcnt lgkmcnt(0)
	v_add_f64 v[7:8], v[10:11], v[12:13]
.LBB526_23:
	s_or_b64 exec, exec, s[0:1]
	s_branch .LBB526_36
.LBB526_24:
                                        ; implicit-def: $vgpr7_vgpr8
	s_cbranch_execz .LBB526_36
; %bb.25:
	s_movk_i32 s0, 0x1d1
	v_cmp_gt_u32_e32 vcc, s0, v0
	s_and_saveexec_b64 s[0:1], vcc
	s_cbranch_execz .LBB526_27
; %bb.26:
	ds_read_b64 v[7:8], v9 offset:3968
	ds_read_b64 v[10:11], v9
	s_waitcnt lgkmcnt(0)
	v_add_f64 v[7:8], v[7:8], v[10:11]
	ds_write_b64 v9, v[7:8]
.LBB526_27:
	s_or_b64 exec, exec, s[0:1]
	s_movk_i32 s0, 0xf8
	v_cmp_gt_u32_e32 vcc, s0, v0
	s_waitcnt lgkmcnt(0)
	s_barrier
	s_and_saveexec_b64 s[0:1], vcc
	s_cbranch_execz .LBB526_29
; %bb.28:
	ds_read2_b64 v[10:13], v9 offset1:248
	s_waitcnt lgkmcnt(0)
	v_add_f64 v[7:8], v[12:13], v[10:11]
	ds_write_b64 v9, v[7:8]
.LBB526_29:
	s_or_b64 exec, exec, s[0:1]
	s_movk_i32 s0, 0x7c
	v_cmp_gt_u32_e32 vcc, s0, v0
	s_waitcnt lgkmcnt(0)
	s_barrier
	s_and_saveexec_b64 s[0:1], vcc
	s_cbranch_execz .LBB526_31
; %bb.30:
	ds_read2_b64 v[10:13], v9 offset1:124
	s_waitcnt lgkmcnt(0)
	v_add_f64 v[7:8], v[12:13], v[10:11]
	ds_write_b64 v9, v[7:8]
.LBB526_31:
	s_or_b64 exec, exec, s[0:1]
	v_cmp_gt_u32_e32 vcc, 62, v0
	s_waitcnt lgkmcnt(0)
	s_barrier
	s_and_saveexec_b64 s[0:1], vcc
	s_cbranch_execz .LBB526_33
; %bb.32:
	ds_read2_b64 v[10:13], v9 offset1:62
	s_waitcnt lgkmcnt(0)
	v_add_f64 v[7:8], v[12:13], v[10:11]
	ds_write_b64 v9, v[7:8]
.LBB526_33:
	s_or_b64 exec, exec, s[0:1]
	v_cmp_gt_u32_e32 vcc, 31, v0
	s_waitcnt lgkmcnt(0)
	s_and_saveexec_b64 s[0:1], vcc
	s_cbranch_execz .LBB526_35
; %bb.34:
	ds_read2_b64 v[5:8], v9 offset1:31
	s_waitcnt lgkmcnt(0)
	v_add_f64 v[5:6], v[5:6], v[7:8]
.LBB526_35:
	s_or_b64 exec, exec, s[0:1]
	v_mov_b32_e32 v8, v6
	v_mov_b32_e32 v7, v5
.LBB526_36:
	v_cmp_gt_u32_e32 vcc, 31, v0
	s_and_b64 exec, exec, vcc
	s_cbranch_execz .LBB526_41
; %bb.37:
	v_cmp_eq_f64_e32 vcc, 0, v[1:2]
	v_mul_f64 v[3:4], v[3:4], v[7:8]
	s_mul_i32 s2, s7, 0xf8
	s_mul_hi_u32 s3, s6, 0xf8
	s_mul_i32 s4, s6, 0xf8
	s_and_saveexec_b64 s[0:1], vcc
	s_xor_b64 s[0:1], exec, s[0:1]
	s_cbranch_execz .LBB526_39
; %bb.38:
	s_add_i32 s5, s3, s2
	s_add_u32 s6, s12, s4
	s_addc_u32 s7, s13, s5
	global_store_dwordx2 v9, v[3:4], s[6:7]
                                        ; implicit-def: $vgpr9
                                        ; implicit-def: $vgpr1_vgpr2
                                        ; implicit-def: $vgpr3_vgpr4
.LBB526_39:
	s_andn2_saveexec_b64 s[0:1], s[0:1]
	s_cbranch_execz .LBB526_41
; %bb.40:
	s_add_i32 s3, s3, s2
	s_add_u32 s0, s12, s4
	s_addc_u32 s1, s13, s3
	global_load_dwordx2 v[5:6], v9, s[0:1]
	s_waitcnt vmcnt(0)
	v_fma_f64 v[0:1], v[1:2], v[5:6], v[3:4]
	global_store_dwordx2 v9, v[0:1], s[0:1]
.LBB526_41:
	s_endpgm
	.section	.rodata,"a",@progbits
	.p2align	6, 0x0
	.amdhsa_kernel _ZN9rocsparseL20bsrxmvn_17_32_kernelILj31EdllfddEEvT2_20rocsparse_direction_NS_24const_host_device_scalarIT0_EES1_PKS1_PKT1_SA_S7_PKT3_PKT4_S5_PT5_21rocsparse_index_base_b
		.amdhsa_group_segment_fixed_size 7688
		.amdhsa_private_segment_fixed_size 0
		.amdhsa_kernarg_size 104
		.amdhsa_user_sgpr_count 6
		.amdhsa_user_sgpr_private_segment_buffer 1
		.amdhsa_user_sgpr_dispatch_ptr 0
		.amdhsa_user_sgpr_queue_ptr 0
		.amdhsa_user_sgpr_kernarg_segment_ptr 1
		.amdhsa_user_sgpr_dispatch_id 0
		.amdhsa_user_sgpr_flat_scratch_init 0
		.amdhsa_user_sgpr_private_segment_size 0
		.amdhsa_uses_dynamic_stack 0
		.amdhsa_system_sgpr_private_segment_wavefront_offset 0
		.amdhsa_system_sgpr_workgroup_id_x 1
		.amdhsa_system_sgpr_workgroup_id_y 0
		.amdhsa_system_sgpr_workgroup_id_z 0
		.amdhsa_system_sgpr_workgroup_info 0
		.amdhsa_system_vgpr_workitem_id 0
		.amdhsa_next_free_vgpr 29
		.amdhsa_next_free_sgpr 61
		.amdhsa_reserve_vcc 1
		.amdhsa_reserve_flat_scratch 0
		.amdhsa_float_round_mode_32 0
		.amdhsa_float_round_mode_16_64 0
		.amdhsa_float_denorm_mode_32 3
		.amdhsa_float_denorm_mode_16_64 3
		.amdhsa_dx10_clamp 1
		.amdhsa_ieee_mode 1
		.amdhsa_fp16_overflow 0
		.amdhsa_exception_fp_ieee_invalid_op 0
		.amdhsa_exception_fp_denorm_src 0
		.amdhsa_exception_fp_ieee_div_zero 0
		.amdhsa_exception_fp_ieee_overflow 0
		.amdhsa_exception_fp_ieee_underflow 0
		.amdhsa_exception_fp_ieee_inexact 0
		.amdhsa_exception_int_div_zero 0
	.end_amdhsa_kernel
	.section	.text._ZN9rocsparseL20bsrxmvn_17_32_kernelILj31EdllfddEEvT2_20rocsparse_direction_NS_24const_host_device_scalarIT0_EES1_PKS1_PKT1_SA_S7_PKT3_PKT4_S5_PT5_21rocsparse_index_base_b,"axG",@progbits,_ZN9rocsparseL20bsrxmvn_17_32_kernelILj31EdllfddEEvT2_20rocsparse_direction_NS_24const_host_device_scalarIT0_EES1_PKS1_PKT1_SA_S7_PKT3_PKT4_S5_PT5_21rocsparse_index_base_b,comdat
.Lfunc_end526:
	.size	_ZN9rocsparseL20bsrxmvn_17_32_kernelILj31EdllfddEEvT2_20rocsparse_direction_NS_24const_host_device_scalarIT0_EES1_PKS1_PKT1_SA_S7_PKT3_PKT4_S5_PT5_21rocsparse_index_base_b, .Lfunc_end526-_ZN9rocsparseL20bsrxmvn_17_32_kernelILj31EdllfddEEvT2_20rocsparse_direction_NS_24const_host_device_scalarIT0_EES1_PKS1_PKT1_SA_S7_PKT3_PKT4_S5_PT5_21rocsparse_index_base_b
                                        ; -- End function
	.set _ZN9rocsparseL20bsrxmvn_17_32_kernelILj31EdllfddEEvT2_20rocsparse_direction_NS_24const_host_device_scalarIT0_EES1_PKS1_PKT1_SA_S7_PKT3_PKT4_S5_PT5_21rocsparse_index_base_b.num_vgpr, 21
	.set _ZN9rocsparseL20bsrxmvn_17_32_kernelILj31EdllfddEEvT2_20rocsparse_direction_NS_24const_host_device_scalarIT0_EES1_PKS1_PKT1_SA_S7_PKT3_PKT4_S5_PT5_21rocsparse_index_base_b.num_agpr, 0
	.set _ZN9rocsparseL20bsrxmvn_17_32_kernelILj31EdllfddEEvT2_20rocsparse_direction_NS_24const_host_device_scalarIT0_EES1_PKS1_PKT1_SA_S7_PKT3_PKT4_S5_PT5_21rocsparse_index_base_b.numbered_sgpr, 22
	.set _ZN9rocsparseL20bsrxmvn_17_32_kernelILj31EdllfddEEvT2_20rocsparse_direction_NS_24const_host_device_scalarIT0_EES1_PKS1_PKT1_SA_S7_PKT3_PKT4_S5_PT5_21rocsparse_index_base_b.num_named_barrier, 0
	.set _ZN9rocsparseL20bsrxmvn_17_32_kernelILj31EdllfddEEvT2_20rocsparse_direction_NS_24const_host_device_scalarIT0_EES1_PKS1_PKT1_SA_S7_PKT3_PKT4_S5_PT5_21rocsparse_index_base_b.private_seg_size, 0
	.set _ZN9rocsparseL20bsrxmvn_17_32_kernelILj31EdllfddEEvT2_20rocsparse_direction_NS_24const_host_device_scalarIT0_EES1_PKS1_PKT1_SA_S7_PKT3_PKT4_S5_PT5_21rocsparse_index_base_b.uses_vcc, 1
	.set _ZN9rocsparseL20bsrxmvn_17_32_kernelILj31EdllfddEEvT2_20rocsparse_direction_NS_24const_host_device_scalarIT0_EES1_PKS1_PKT1_SA_S7_PKT3_PKT4_S5_PT5_21rocsparse_index_base_b.uses_flat_scratch, 0
	.set _ZN9rocsparseL20bsrxmvn_17_32_kernelILj31EdllfddEEvT2_20rocsparse_direction_NS_24const_host_device_scalarIT0_EES1_PKS1_PKT1_SA_S7_PKT3_PKT4_S5_PT5_21rocsparse_index_base_b.has_dyn_sized_stack, 0
	.set _ZN9rocsparseL20bsrxmvn_17_32_kernelILj31EdllfddEEvT2_20rocsparse_direction_NS_24const_host_device_scalarIT0_EES1_PKS1_PKT1_SA_S7_PKT3_PKT4_S5_PT5_21rocsparse_index_base_b.has_recursion, 0
	.set _ZN9rocsparseL20bsrxmvn_17_32_kernelILj31EdllfddEEvT2_20rocsparse_direction_NS_24const_host_device_scalarIT0_EES1_PKS1_PKT1_SA_S7_PKT3_PKT4_S5_PT5_21rocsparse_index_base_b.has_indirect_call, 0
	.section	.AMDGPU.csdata,"",@progbits
; Kernel info:
; codeLenInByte = 1424
; TotalNumSgprs: 26
; NumVgprs: 21
; ScratchSize: 0
; MemoryBound: 0
; FloatMode: 240
; IeeeMode: 1
; LDSByteSize: 7688 bytes/workgroup (compile time only)
; SGPRBlocks: 8
; VGPRBlocks: 7
; NumSGPRsForWavesPerEU: 65
; NumVGPRsForWavesPerEU: 29
; Occupancy: 8
; WaveLimiterHint : 1
; COMPUTE_PGM_RSRC2:SCRATCH_EN: 0
; COMPUTE_PGM_RSRC2:USER_SGPR: 6
; COMPUTE_PGM_RSRC2:TRAP_HANDLER: 0
; COMPUTE_PGM_RSRC2:TGID_X_EN: 1
; COMPUTE_PGM_RSRC2:TGID_Y_EN: 0
; COMPUTE_PGM_RSRC2:TGID_Z_EN: 0
; COMPUTE_PGM_RSRC2:TIDIG_COMP_CNT: 0
	.section	.text._ZN9rocsparseL20bsrxmvn_17_32_kernelILj32EdllfddEEvT2_20rocsparse_direction_NS_24const_host_device_scalarIT0_EES1_PKS1_PKT1_SA_S7_PKT3_PKT4_S5_PT5_21rocsparse_index_base_b,"axG",@progbits,_ZN9rocsparseL20bsrxmvn_17_32_kernelILj32EdllfddEEvT2_20rocsparse_direction_NS_24const_host_device_scalarIT0_EES1_PKS1_PKT1_SA_S7_PKT3_PKT4_S5_PT5_21rocsparse_index_base_b,comdat
	.globl	_ZN9rocsparseL20bsrxmvn_17_32_kernelILj32EdllfddEEvT2_20rocsparse_direction_NS_24const_host_device_scalarIT0_EES1_PKS1_PKT1_SA_S7_PKT3_PKT4_S5_PT5_21rocsparse_index_base_b ; -- Begin function _ZN9rocsparseL20bsrxmvn_17_32_kernelILj32EdllfddEEvT2_20rocsparse_direction_NS_24const_host_device_scalarIT0_EES1_PKS1_PKT1_SA_S7_PKT3_PKT4_S5_PT5_21rocsparse_index_base_b
	.p2align	8
	.type	_ZN9rocsparseL20bsrxmvn_17_32_kernelILj32EdllfddEEvT2_20rocsparse_direction_NS_24const_host_device_scalarIT0_EES1_PKS1_PKT1_SA_S7_PKT3_PKT4_S5_PT5_21rocsparse_index_base_b,@function
_ZN9rocsparseL20bsrxmvn_17_32_kernelILj32EdllfddEEvT2_20rocsparse_direction_NS_24const_host_device_scalarIT0_EES1_PKS1_PKT1_SA_S7_PKT3_PKT4_S5_PT5_21rocsparse_index_base_b: ; @_ZN9rocsparseL20bsrxmvn_17_32_kernelILj32EdllfddEEvT2_20rocsparse_direction_NS_24const_host_device_scalarIT0_EES1_PKS1_PKT1_SA_S7_PKT3_PKT4_S5_PT5_21rocsparse_index_base_b
; %bb.0:
	s_load_dwordx2 s[8:9], s[4:5], 0x60
	s_load_dwordx2 s[10:11], s[4:5], 0x10
	;; [unrolled: 1-line block ×3, first 2 shown]
	s_waitcnt lgkmcnt(0)
	s_bitcmp1_b32 s9, 0
	s_cselect_b64 s[12:13], -1, 0
	v_mov_b32_e32 v3, s10
	s_xor_b64 s[2:3], s[12:13], -1
	s_and_b64 vcc, exec, s[12:13]
	v_mov_b32_e32 v4, s11
	s_cbranch_vccnz .LBB527_2
; %bb.1:
	v_mov_b32_e32 v1, s10
	v_mov_b32_e32 v2, s11
	flat_load_dwordx2 v[3:4], v[1:2]
.LBB527_2:
	v_mov_b32_e32 v2, s1
	s_andn2_b64 vcc, exec, s[2:3]
	v_mov_b32_e32 v1, s0
	s_cbranch_vccnz .LBB527_4
; %bb.3:
	v_mov_b32_e32 v2, s1
	v_mov_b32_e32 v1, s0
	flat_load_dwordx2 v[1:2], v[1:2]
.LBB527_4:
	s_waitcnt vmcnt(0) lgkmcnt(0)
	v_cmp_neq_f64_e32 vcc, 0, v[3:4]
	v_cmp_neq_f64_e64 s[0:1], 1.0, v[1:2]
	s_or_b64 s[0:1], vcc, s[0:1]
	s_and_saveexec_b64 s[2:3], s[0:1]
	s_cbranch_execz .LBB527_39
; %bb.5:
	s_load_dwordx4 s[0:3], s[4:5], 0x20
	s_load_dwordx2 s[12:13], s[4:5], 0x30
	s_mov_b32 s7, 0
	s_mov_b32 s9, s7
	s_waitcnt lgkmcnt(0)
	s_cmp_eq_u64 s[0:1], 0
	s_cbranch_scc1 .LBB527_7
; %bb.6:
	s_lshl_b64 s[6:7], s[6:7], 3
	s_add_u32 s0, s0, s6
	s_addc_u32 s1, s1, s7
	s_load_dwordx2 s[0:1], s[0:1], 0x0
	s_waitcnt lgkmcnt(0)
	s_sub_u32 s6, s0, s8
	s_subb_u32 s7, s1, 0
.LBB527_7:
	s_load_dword s10, s[4:5], 0x8
	v_and_b32_e32 v11, 31, v0
	s_waitcnt lgkmcnt(0)
	s_cmp_eq_u32 s10, 1
	s_cselect_b64 s[0:1], -1, 0
	s_cmp_lg_u32 s10, 1
	s_cselect_b64 s[10:11], -1, 0
	s_lshl_b64 s[14:15], s[6:7], 3
	s_add_u32 s16, s2, s14
	s_addc_u32 s17, s3, s15
	s_add_u32 s2, s16, 8
	s_addc_u32 s3, s17, 0
	;; [unrolled: 2-line block ×3, first 2 shown]
	s_cmp_eq_u64 s[12:13], 0
	s_cselect_b32 s19, s3, s15
	s_cselect_b32 s18, s2, s14
	s_load_dwordx2 s[14:15], s[18:19], 0x0
	s_load_dwordx2 s[12:13], s[16:17], 0x0
	;; [unrolled: 1-line block ×3, first 2 shown]
	s_waitcnt lgkmcnt(0)
	v_mov_b32_e32 v5, s14
	v_mov_b32_e32 v6, s15
	v_cmp_ge_i64_e32 vcc, s[12:13], v[5:6]
	v_mov_b32_e32 v5, 0
	v_mov_b32_e32 v6, 0
	s_cbranch_vccnz .LBB527_10
; %bb.8:
	s_load_dwordx4 s[16:19], s[4:5], 0x38
	s_load_dwordx2 s[20:21], s[4:5], 0x48
	s_sub_u32 s14, s14, s8
	v_lshrrev_b32_e32 v5, 5, v0
	s_subb_u32 s15, s15, 0
	v_cndmask_b32_e64 v5, v11, v5, s[0:1]
	s_sub_u32 s0, s12, s8
	s_subb_u32 s1, s13, 0
	v_lshlrev_b32_e32 v5, 3, v5
	s_lshl_b64 s[4:5], s[0:1], 12
	s_waitcnt lgkmcnt(0)
	v_mov_b32_e32 v6, s21
	v_add_co_u32_e32 v12, vcc, s20, v5
	s_add_u32 s4, s18, s4
	v_addc_co_u32_e32 v13, vcc, 0, v6, vcc
	s_addc_u32 s5, s19, s5
	v_lshlrev_b32_e32 v5, 2, v0
	v_mov_b32_e32 v6, s5
	v_add_co_u32_e32 v7, vcc, s4, v5
	s_lshl_b64 s[4:5], s[12:13], 3
	s_lshl_b64 s[12:13], s[8:9], 3
	s_sub_u32 s4, s4, s12
	s_subb_u32 s5, s5, s13
	v_addc_co_u32_e32 v8, vcc, 0, v6, vcc
	s_add_u32 s4, s16, s4
	v_mov_b32_e32 v5, 0
	v_mov_b32_e32 v9, s14
	s_addc_u32 s5, s17, s5
	v_mov_b32_e32 v6, 0
	v_mov_b32_e32 v10, s15
.LBB527_9:                              ; =>This Inner Loop Header: Depth=1
	s_load_dwordx2 s[12:13], s[4:5], 0x0
	global_load_dword v16, v[7:8], off
	s_waitcnt lgkmcnt(0)
	s_sub_u32 s12, s12, s8
	s_subb_u32 s13, s13, 0
	s_lshl_b64 s[12:13], s[12:13], 8
	v_mov_b32_e32 v15, s13
	v_add_co_u32_e32 v14, vcc, s12, v12
	v_addc_co_u32_e32 v15, vcc, v13, v15, vcc
	global_load_dwordx2 v[14:15], v[14:15], off
	v_add_co_u32_e32 v7, vcc, 0x1000, v7
	s_add_u32 s0, s0, 1
	v_addc_co_u32_e32 v8, vcc, 0, v8, vcc
	s_addc_u32 s1, s1, 0
	v_cmp_lt_i64_e32 vcc, s[0:1], v[9:10]
	s_add_u32 s4, s4, 8
	s_addc_u32 s5, s5, 0
	s_and_b64 vcc, exec, vcc
	s_waitcnt vmcnt(1)
	v_cvt_f64_f32_e32 v[16:17], v16
	s_waitcnt vmcnt(0)
	v_fma_f64 v[5:6], v[16:17], v[14:15], v[5:6]
	s_cbranch_vccnz .LBB527_9
.LBB527_10:
	v_lshlrev_b32_e32 v9, 3, v0
	s_and_b64 vcc, exec, s[10:11]
	ds_write_b64 v9, v[5:6]
	s_waitcnt lgkmcnt(0)
	s_barrier
	s_cbranch_vccz .LBB527_22
; %bb.11:
	v_cmp_gt_u32_e32 vcc, 16, v11
	s_and_saveexec_b64 s[0:1], vcc
	s_cbranch_execz .LBB527_13
; %bb.12:
	ds_read2_b64 v[12:15], v9 offset1:16
	s_waitcnt lgkmcnt(0)
	v_add_f64 v[7:8], v[14:15], v[12:13]
	ds_write_b64 v9, v[7:8]
.LBB527_13:
	s_or_b64 exec, exec, s[0:1]
	v_cmp_gt_u32_e32 vcc, 8, v11
	s_waitcnt lgkmcnt(0)
	s_barrier
	s_and_saveexec_b64 s[0:1], vcc
	s_cbranch_execz .LBB527_15
; %bb.14:
	ds_read2_b64 v[12:15], v9 offset1:8
	s_waitcnt lgkmcnt(0)
	v_add_f64 v[7:8], v[14:15], v[12:13]
	ds_write_b64 v9, v[7:8]
.LBB527_15:
	s_or_b64 exec, exec, s[0:1]
	v_cmp_gt_u32_e32 vcc, 4, v11
	s_waitcnt lgkmcnt(0)
	s_barrier
	;; [unrolled: 12-line block ×3, first 2 shown]
	s_and_saveexec_b64 s[0:1], vcc
	s_cbranch_execz .LBB527_19
; %bb.18:
	ds_read2_b64 v[10:13], v9 offset1:2
	s_waitcnt lgkmcnt(0)
	v_add_f64 v[7:8], v[12:13], v[10:11]
	ds_write_b64 v9, v[7:8]
.LBB527_19:
	s_or_b64 exec, exec, s[0:1]
	v_mov_b32_e32 v8, v6
	v_cmp_gt_u32_e32 vcc, 32, v0
	v_mov_b32_e32 v7, v5
	s_waitcnt lgkmcnt(0)
	s_barrier
	s_and_saveexec_b64 s[0:1], vcc
	s_cbranch_execz .LBB527_21
; %bb.20:
	s_movk_i32 s4, 0xf8
	v_mad_u32_u24 v7, v0, s4, v9
	ds_read_b128 v[10:13], v7
	s_waitcnt lgkmcnt(0)
	v_add_f64 v[7:8], v[10:11], v[12:13]
.LBB527_21:
	s_or_b64 exec, exec, s[0:1]
	s_branch .LBB527_34
.LBB527_22:
                                        ; implicit-def: $vgpr7_vgpr8
	s_cbranch_execz .LBB527_34
; %bb.23:
	s_movk_i32 s0, 0x200
	v_cmp_gt_u32_e32 vcc, s0, v0
	s_and_saveexec_b64 s[0:1], vcc
	s_cbranch_execz .LBB527_25
; %bb.24:
	ds_read2st64_b64 v[10:13], v9 offset1:8
	s_waitcnt lgkmcnt(0)
	v_add_f64 v[7:8], v[12:13], v[10:11]
	ds_write_b64 v9, v[7:8]
.LBB527_25:
	s_or_b64 exec, exec, s[0:1]
	s_movk_i32 s0, 0x100
	v_cmp_gt_u32_e32 vcc, s0, v0
	s_waitcnt lgkmcnt(0)
	s_barrier
	s_and_saveexec_b64 s[0:1], vcc
	s_cbranch_execz .LBB527_27
; %bb.26:
	ds_read2st64_b64 v[10:13], v9 offset1:4
	s_waitcnt lgkmcnt(0)
	v_add_f64 v[7:8], v[12:13], v[10:11]
	ds_write_b64 v9, v[7:8]
.LBB527_27:
	s_or_b64 exec, exec, s[0:1]
	s_movk_i32 s0, 0x80
	v_cmp_gt_u32_e32 vcc, s0, v0
	s_waitcnt lgkmcnt(0)
	s_barrier
	s_and_saveexec_b64 s[0:1], vcc
	s_cbranch_execz .LBB527_29
; %bb.28:
	ds_read2st64_b64 v[10:13], v9 offset1:2
	s_waitcnt lgkmcnt(0)
	v_add_f64 v[7:8], v[12:13], v[10:11]
	ds_write_b64 v9, v[7:8]
.LBB527_29:
	s_or_b64 exec, exec, s[0:1]
	v_cmp_gt_u32_e32 vcc, 64, v0
	s_waitcnt lgkmcnt(0)
	s_barrier
	s_and_saveexec_b64 s[0:1], vcc
	s_cbranch_execz .LBB527_31
; %bb.30:
	ds_read2st64_b64 v[10:13], v9 offset1:1
	s_waitcnt lgkmcnt(0)
	v_add_f64 v[7:8], v[12:13], v[10:11]
	ds_write_b64 v9, v[7:8]
.LBB527_31:
	s_or_b64 exec, exec, s[0:1]
	v_cmp_gt_u32_e32 vcc, 32, v0
	s_waitcnt lgkmcnt(0)
	s_and_saveexec_b64 s[0:1], vcc
	s_cbranch_execz .LBB527_33
; %bb.32:
	ds_read2_b64 v[5:8], v9 offset1:32
	s_waitcnt lgkmcnt(0)
	v_add_f64 v[5:6], v[5:6], v[7:8]
.LBB527_33:
	s_or_b64 exec, exec, s[0:1]
	v_mov_b32_e32 v8, v6
	v_mov_b32_e32 v7, v5
.LBB527_34:
	v_cmp_gt_u32_e32 vcc, 32, v0
	s_and_b64 exec, exec, vcc
	s_cbranch_execz .LBB527_39
; %bb.35:
	v_cmp_eq_f64_e32 vcc, 0, v[1:2]
	v_mul_f64 v[3:4], v[3:4], v[7:8]
	s_and_saveexec_b64 s[0:1], vcc
	s_xor_b64 s[0:1], exec, s[0:1]
	s_cbranch_execz .LBB527_37
; %bb.36:
	s_lshl_b64 s[4:5], s[6:7], 8
	s_add_u32 s4, s2, s4
	s_addc_u32 s5, s3, s5
	global_store_dwordx2 v9, v[3:4], s[4:5]
                                        ; implicit-def: $vgpr9
                                        ; implicit-def: $vgpr1_vgpr2
                                        ; implicit-def: $vgpr3_vgpr4
.LBB527_37:
	s_andn2_saveexec_b64 s[0:1], s[0:1]
	s_cbranch_execz .LBB527_39
; %bb.38:
	s_lshl_b64 s[0:1], s[6:7], 8
	s_add_u32 s0, s2, s0
	s_addc_u32 s1, s3, s1
	global_load_dwordx2 v[5:6], v9, s[0:1]
	s_waitcnt vmcnt(0)
	v_fma_f64 v[0:1], v[1:2], v[5:6], v[3:4]
	global_store_dwordx2 v9, v[0:1], s[0:1]
.LBB527_39:
	s_endpgm
	.section	.rodata,"a",@progbits
	.p2align	6, 0x0
	.amdhsa_kernel _ZN9rocsparseL20bsrxmvn_17_32_kernelILj32EdllfddEEvT2_20rocsparse_direction_NS_24const_host_device_scalarIT0_EES1_PKS1_PKT1_SA_S7_PKT3_PKT4_S5_PT5_21rocsparse_index_base_b
		.amdhsa_group_segment_fixed_size 8192
		.amdhsa_private_segment_fixed_size 0
		.amdhsa_kernarg_size 104
		.amdhsa_user_sgpr_count 6
		.amdhsa_user_sgpr_private_segment_buffer 1
		.amdhsa_user_sgpr_dispatch_ptr 0
		.amdhsa_user_sgpr_queue_ptr 0
		.amdhsa_user_sgpr_kernarg_segment_ptr 1
		.amdhsa_user_sgpr_dispatch_id 0
		.amdhsa_user_sgpr_flat_scratch_init 0
		.amdhsa_user_sgpr_private_segment_size 0
		.amdhsa_uses_dynamic_stack 0
		.amdhsa_system_sgpr_private_segment_wavefront_offset 0
		.amdhsa_system_sgpr_workgroup_id_x 1
		.amdhsa_system_sgpr_workgroup_id_y 0
		.amdhsa_system_sgpr_workgroup_id_z 0
		.amdhsa_system_sgpr_workgroup_info 0
		.amdhsa_system_vgpr_workitem_id 0
		.amdhsa_next_free_vgpr 29
		.amdhsa_next_free_sgpr 61
		.amdhsa_reserve_vcc 1
		.amdhsa_reserve_flat_scratch 0
		.amdhsa_float_round_mode_32 0
		.amdhsa_float_round_mode_16_64 0
		.amdhsa_float_denorm_mode_32 3
		.amdhsa_float_denorm_mode_16_64 3
		.amdhsa_dx10_clamp 1
		.amdhsa_ieee_mode 1
		.amdhsa_fp16_overflow 0
		.amdhsa_exception_fp_ieee_invalid_op 0
		.amdhsa_exception_fp_denorm_src 0
		.amdhsa_exception_fp_ieee_div_zero 0
		.amdhsa_exception_fp_ieee_overflow 0
		.amdhsa_exception_fp_ieee_underflow 0
		.amdhsa_exception_fp_ieee_inexact 0
		.amdhsa_exception_int_div_zero 0
	.end_amdhsa_kernel
	.section	.text._ZN9rocsparseL20bsrxmvn_17_32_kernelILj32EdllfddEEvT2_20rocsparse_direction_NS_24const_host_device_scalarIT0_EES1_PKS1_PKT1_SA_S7_PKT3_PKT4_S5_PT5_21rocsparse_index_base_b,"axG",@progbits,_ZN9rocsparseL20bsrxmvn_17_32_kernelILj32EdllfddEEvT2_20rocsparse_direction_NS_24const_host_device_scalarIT0_EES1_PKS1_PKT1_SA_S7_PKT3_PKT4_S5_PT5_21rocsparse_index_base_b,comdat
.Lfunc_end527:
	.size	_ZN9rocsparseL20bsrxmvn_17_32_kernelILj32EdllfddEEvT2_20rocsparse_direction_NS_24const_host_device_scalarIT0_EES1_PKS1_PKT1_SA_S7_PKT3_PKT4_S5_PT5_21rocsparse_index_base_b, .Lfunc_end527-_ZN9rocsparseL20bsrxmvn_17_32_kernelILj32EdllfddEEvT2_20rocsparse_direction_NS_24const_host_device_scalarIT0_EES1_PKS1_PKT1_SA_S7_PKT3_PKT4_S5_PT5_21rocsparse_index_base_b
                                        ; -- End function
	.set _ZN9rocsparseL20bsrxmvn_17_32_kernelILj32EdllfddEEvT2_20rocsparse_direction_NS_24const_host_device_scalarIT0_EES1_PKS1_PKT1_SA_S7_PKT3_PKT4_S5_PT5_21rocsparse_index_base_b.num_vgpr, 18
	.set _ZN9rocsparseL20bsrxmvn_17_32_kernelILj32EdllfddEEvT2_20rocsparse_direction_NS_24const_host_device_scalarIT0_EES1_PKS1_PKT1_SA_S7_PKT3_PKT4_S5_PT5_21rocsparse_index_base_b.num_agpr, 0
	.set _ZN9rocsparseL20bsrxmvn_17_32_kernelILj32EdllfddEEvT2_20rocsparse_direction_NS_24const_host_device_scalarIT0_EES1_PKS1_PKT1_SA_S7_PKT3_PKT4_S5_PT5_21rocsparse_index_base_b.numbered_sgpr, 22
	.set _ZN9rocsparseL20bsrxmvn_17_32_kernelILj32EdllfddEEvT2_20rocsparse_direction_NS_24const_host_device_scalarIT0_EES1_PKS1_PKT1_SA_S7_PKT3_PKT4_S5_PT5_21rocsparse_index_base_b.num_named_barrier, 0
	.set _ZN9rocsparseL20bsrxmvn_17_32_kernelILj32EdllfddEEvT2_20rocsparse_direction_NS_24const_host_device_scalarIT0_EES1_PKS1_PKT1_SA_S7_PKT3_PKT4_S5_PT5_21rocsparse_index_base_b.private_seg_size, 0
	.set _ZN9rocsparseL20bsrxmvn_17_32_kernelILj32EdllfddEEvT2_20rocsparse_direction_NS_24const_host_device_scalarIT0_EES1_PKS1_PKT1_SA_S7_PKT3_PKT4_S5_PT5_21rocsparse_index_base_b.uses_vcc, 1
	.set _ZN9rocsparseL20bsrxmvn_17_32_kernelILj32EdllfddEEvT2_20rocsparse_direction_NS_24const_host_device_scalarIT0_EES1_PKS1_PKT1_SA_S7_PKT3_PKT4_S5_PT5_21rocsparse_index_base_b.uses_flat_scratch, 0
	.set _ZN9rocsparseL20bsrxmvn_17_32_kernelILj32EdllfddEEvT2_20rocsparse_direction_NS_24const_host_device_scalarIT0_EES1_PKS1_PKT1_SA_S7_PKT3_PKT4_S5_PT5_21rocsparse_index_base_b.has_dyn_sized_stack, 0
	.set _ZN9rocsparseL20bsrxmvn_17_32_kernelILj32EdllfddEEvT2_20rocsparse_direction_NS_24const_host_device_scalarIT0_EES1_PKS1_PKT1_SA_S7_PKT3_PKT4_S5_PT5_21rocsparse_index_base_b.has_recursion, 0
	.set _ZN9rocsparseL20bsrxmvn_17_32_kernelILj32EdllfddEEvT2_20rocsparse_direction_NS_24const_host_device_scalarIT0_EES1_PKS1_PKT1_SA_S7_PKT3_PKT4_S5_PT5_21rocsparse_index_base_b.has_indirect_call, 0
	.section	.AMDGPU.csdata,"",@progbits
; Kernel info:
; codeLenInByte = 1236
; TotalNumSgprs: 26
; NumVgprs: 18
; ScratchSize: 0
; MemoryBound: 0
; FloatMode: 240
; IeeeMode: 1
; LDSByteSize: 8192 bytes/workgroup (compile time only)
; SGPRBlocks: 8
; VGPRBlocks: 7
; NumSGPRsForWavesPerEU: 65
; NumVGPRsForWavesPerEU: 29
; Occupancy: 8
; WaveLimiterHint : 1
; COMPUTE_PGM_RSRC2:SCRATCH_EN: 0
; COMPUTE_PGM_RSRC2:USER_SGPR: 6
; COMPUTE_PGM_RSRC2:TRAP_HANDLER: 0
; COMPUTE_PGM_RSRC2:TGID_X_EN: 1
; COMPUTE_PGM_RSRC2:TGID_Y_EN: 0
; COMPUTE_PGM_RSRC2:TGID_Z_EN: 0
; COMPUTE_PGM_RSRC2:TIDIG_COMP_CNT: 0
	.section	.text._ZN9rocsparseL20bsrxmvn_17_32_kernelILj17E21rocsparse_complex_numIdEiiS1_IfES2_S2_EEvT2_20rocsparse_direction_NS_24const_host_device_scalarIT0_EES4_PKS4_PKT1_SD_SA_PKT3_PKT4_S8_PT5_21rocsparse_index_base_b,"axG",@progbits,_ZN9rocsparseL20bsrxmvn_17_32_kernelILj17E21rocsparse_complex_numIdEiiS1_IfES2_S2_EEvT2_20rocsparse_direction_NS_24const_host_device_scalarIT0_EES4_PKS4_PKT1_SD_SA_PKT3_PKT4_S8_PT5_21rocsparse_index_base_b,comdat
	.globl	_ZN9rocsparseL20bsrxmvn_17_32_kernelILj17E21rocsparse_complex_numIdEiiS1_IfES2_S2_EEvT2_20rocsparse_direction_NS_24const_host_device_scalarIT0_EES4_PKS4_PKT1_SD_SA_PKT3_PKT4_S8_PT5_21rocsparse_index_base_b ; -- Begin function _ZN9rocsparseL20bsrxmvn_17_32_kernelILj17E21rocsparse_complex_numIdEiiS1_IfES2_S2_EEvT2_20rocsparse_direction_NS_24const_host_device_scalarIT0_EES4_PKS4_PKT1_SD_SA_PKT3_PKT4_S8_PT5_21rocsparse_index_base_b
	.p2align	8
	.type	_ZN9rocsparseL20bsrxmvn_17_32_kernelILj17E21rocsparse_complex_numIdEiiS1_IfES2_S2_EEvT2_20rocsparse_direction_NS_24const_host_device_scalarIT0_EES4_PKS4_PKT1_SD_SA_PKT3_PKT4_S8_PT5_21rocsparse_index_base_b,@function
_ZN9rocsparseL20bsrxmvn_17_32_kernelILj17E21rocsparse_complex_numIdEiiS1_IfES2_S2_EEvT2_20rocsparse_direction_NS_24const_host_device_scalarIT0_EES4_PKS4_PKT1_SD_SA_PKT3_PKT4_S8_PT5_21rocsparse_index_base_b: ; @_ZN9rocsparseL20bsrxmvn_17_32_kernelILj17E21rocsparse_complex_numIdEiiS1_IfES2_S2_EEvT2_20rocsparse_direction_NS_24const_host_device_scalarIT0_EES4_PKS4_PKT1_SD_SA_PKT3_PKT4_S8_PT5_21rocsparse_index_base_b
; %bb.0:
	s_load_dwordx2 s[0:1], s[4:5], 0x8
	s_load_dwordx2 s[10:11], s[4:5], 0x68
	s_add_u32 s7, s4, 8
	s_addc_u32 s8, s5, 0
	s_add_u32 s9, s4, 0x50
	s_addc_u32 s12, s5, 0
	s_waitcnt lgkmcnt(0)
	s_bitcmp1_b32 s11, 0
	s_cselect_b32 s1, s8, s1
	s_cselect_b32 s0, s7, s0
	v_mov_b32_e32 v1, s0
	v_mov_b32_e32 v2, s1
	flat_load_dwordx4 v[5:8], v[1:2]
	s_load_dwordx2 s[2:3], s[4:5], 0x50
	s_waitcnt lgkmcnt(0)
	s_cselect_b32 s0, s12, s3
	s_cselect_b32 s1, s9, s2
	v_mov_b32_e32 v1, s1
	v_mov_b32_e32 v2, s0
	flat_load_dwordx4 v[1:4], v[1:2]
	s_waitcnt vmcnt(0)
	v_cmp_eq_f64_e32 vcc, 0, v[5:6]
	v_cmp_eq_f64_e64 s[0:1], 0, v[7:8]
	s_and_b64 s[8:9], vcc, s[0:1]
	s_mov_b64 s[0:1], -1
	s_and_saveexec_b64 s[2:3], s[8:9]
	s_cbranch_execz .LBB528_2
; %bb.1:
	s_waitcnt lgkmcnt(0)
	v_cmp_neq_f64_e32 vcc, 1.0, v[1:2]
	v_cmp_neq_f64_e64 s[0:1], 0, v[3:4]
	s_or_b64 s[0:1], vcc, s[0:1]
	s_orn2_b64 s[0:1], s[0:1], exec
.LBB528_2:
	s_or_b64 exec, exec, s[2:3]
	s_and_saveexec_b64 s[2:3], s[0:1]
	s_cbranch_execz .LBB528_39
; %bb.3:
	s_load_dwordx4 s[0:3], s[4:5], 0x20
	s_load_dwordx2 s[14:15], s[4:5], 0x30
	s_waitcnt lgkmcnt(0)
	s_cmp_eq_u64 s[0:1], 0
	s_cbranch_scc1 .LBB528_5
; %bb.4:
	s_ashr_i32 s7, s6, 31
	s_lshl_b64 s[6:7], s[6:7], 2
	s_add_u32 s0, s0, s6
	s_addc_u32 s1, s1, s7
	s_load_dword s0, s[0:1], 0x0
	s_waitcnt lgkmcnt(0)
	s_sub_i32 s6, s0, s10
.LBB528_5:
	s_load_dword s0, s[4:5], 0x4
	s_load_dwordx2 s[8:9], s[4:5], 0x60
	v_mul_u32_u24_e32 v13, 0xf10, v0
	v_mov_b32_e32 v9, 17
	v_mul_lo_u16_sdwa v14, v13, v9 dst_sel:DWORD dst_unused:UNUSED_PAD src0_sel:WORD_1 src1_sel:DWORD
	s_waitcnt lgkmcnt(0)
	s_cmp_eq_u32 s0, 1
	s_cselect_b64 vcc, -1, 0
	s_cmp_lg_u32 s0, 1
	s_cselect_b64 s[12:13], -1, 0
	s_ashr_i32 s7, s6, 31
	s_lshl_b64 s[0:1], s[6:7], 2
	s_add_u32 s2, s2, s0
	s_addc_u32 s3, s3, s1
	s_load_dword s7, s[2:3], 0x0
	s_add_u32 s2, s2, 4
	s_addc_u32 s3, s3, 0
	s_add_u32 s0, s14, s0
	s_addc_u32 s1, s15, s1
	s_cmp_eq_u64 s[14:15], 0
	s_cselect_b32 s1, s3, s1
	s_cselect_b32 s0, s2, s0
	s_load_dword s11, s[0:1], 0x0
	v_mov_b32_e32 v11, 0
	v_mov_b32_e32 v9, 0
	;; [unrolled: 1-line block ×4, first 2 shown]
	s_waitcnt lgkmcnt(0)
	s_cmp_ge_i32 s7, s11
	v_sub_u16_e32 v18, v0, v14
	s_cbranch_scc1 .LBB528_10
; %bb.6:
	s_load_dwordx2 s[14:15], s[4:5], 0x48
	s_load_dwordx4 s[0:3], s[4:5], 0x38
	v_mov_b32_e32 v9, 31
	v_mul_lo_u16_sdwa v9, v13, v9 dst_sel:DWORD dst_unused:UNUSED_PAD src0_sel:WORD_1 src1_sel:DWORD
	v_lshrrev_b16_e32 v9, 9, v9
	v_mul_lo_u16_e32 v9, 17, v9
	s_sub_i32 s5, s7, s10
	s_sub_i32 s4, s11, s10
	v_sub_u16_sdwa v9, v13, v9 dst_sel:DWORD dst_unused:UNUSED_PAD src0_sel:WORD_1 src1_sel:DWORD
	s_mul_i32 s11, s5, 0x908
	v_and_b32_e32 v9, 0xff, v9
	s_mul_hi_i32 s7, s5, 0x908
	s_waitcnt lgkmcnt(0)
	s_add_u32 s2, s2, s11
	v_cndmask_b32_e32 v13, v18, v9, vcc
	s_addc_u32 s3, s3, s7
	v_lshlrev_b32_e32 v9, 3, v0
	v_mov_b32_e32 v10, s3
	v_add_co_u32_e32 v14, vcc, s2, v9
	v_mov_b32_e32 v11, 0
	v_addc_co_u32_e32 v15, vcc, 0, v10, vcc
	s_movk_i32 s2, 0xe3
	v_mov_b32_e32 v12, 0
	v_mov_b32_e32 v9, v11
	v_mul_u32_u24_sdwa v19, v0, s2 dst_sel:DWORD dst_unused:UNUSED_PAD src0_sel:WORD_0 src1_sel:DWORD
	v_mov_b32_e32 v10, v12
	s_branch .LBB528_8
.LBB528_7:                              ;   in Loop: Header=BB528_8 Depth=1
	s_or_b64 exec, exec, s[2:3]
	s_add_i32 s5, s5, 1
	s_cmp_lt_i32 s5, s4
	s_cbranch_scc0 .LBB528_10
.LBB528_8:                              ; =>This Inner Loop Header: Depth=1
	v_add_u32_sdwa v16, v19, s5 dst_sel:DWORD dst_unused:UNUSED_PAD src0_sel:WORD_1 src1_sel:DWORD
	v_cmp_gt_i32_e32 vcc, s4, v16
	s_and_saveexec_b64 s[2:3], vcc
	s_cbranch_execz .LBB528_7
; %bb.9:                                ;   in Loop: Header=BB528_8 Depth=1
	v_ashrrev_i32_e32 v17, 31, v16
	v_lshlrev_b64 v[16:17], 2, v[16:17]
	v_mov_b32_e32 v20, s1
	v_add_co_u32_e32 v16, vcc, s0, v16
	v_addc_co_u32_e32 v17, vcc, v20, v17, vcc
	global_load_dword v16, v[16:17], off
	v_mov_b32_e32 v20, s15
	global_load_dwordx2 v[24:25], v[14:15], off
	s_waitcnt vmcnt(1)
	v_subrev_u32_e32 v16, s10, v16
	v_mad_u64_u32 v[16:17], s[16:17], v16, 17, v[13:14]
	v_ashrrev_i32_e32 v17, 31, v16
	v_lshlrev_b64 v[16:17], 4, v[16:17]
	v_add_co_u32_e32 v16, vcc, s14, v16
	v_addc_co_u32_e32 v17, vcc, v20, v17, vcc
	global_load_dwordx4 v[20:23], v[16:17], off
	s_waitcnt vmcnt(1)
	v_cvt_f64_f32_e32 v[16:17], v24
	v_cvt_f64_f32_e32 v[24:25], v25
	v_add_co_u32_e32 v14, vcc, 0x908, v14
	v_addc_co_u32_e32 v15, vcc, 0, v15, vcc
	s_waitcnt vmcnt(0)
	v_fma_f64 v[9:10], v[16:17], v[20:21], v[9:10]
	v_fma_f64 v[11:12], v[24:25], v[20:21], v[11:12]
	v_fma_f64 v[9:10], -v[24:25], v[22:23], v[9:10]
	v_fma_f64 v[11:12], v[16:17], v[22:23], v[11:12]
	s_branch .LBB528_7
.LBB528_10:
	v_lshlrev_b32_e32 v17, 4, v0
	s_and_b64 vcc, exec, s[12:13]
	ds_write_b128 v17, v[9:12]
	s_waitcnt lgkmcnt(0)
	s_barrier
	s_cbranch_vccz .LBB528_22
; %bb.11:
	v_cmp_eq_u16_e32 vcc, 0, v18
	s_and_saveexec_b64 s[0:1], vcc
	s_cbranch_execz .LBB528_13
; %bb.12:
	ds_read_b128 v[13:16], v17 offset:256
	ds_read_b128 v[19:22], v17
	s_waitcnt lgkmcnt(0)
	v_add_f64 v[13:14], v[13:14], v[19:20]
	v_add_f64 v[15:16], v[15:16], v[21:22]
	ds_write_b128 v17, v[13:16]
.LBB528_13:
	s_or_b64 exec, exec, s[0:1]
	v_cmp_gt_u16_e32 vcc, 8, v18
	s_waitcnt lgkmcnt(0)
	s_barrier
	s_and_saveexec_b64 s[0:1], vcc
	s_cbranch_execz .LBB528_15
; %bb.14:
	ds_read_b128 v[13:16], v17 offset:128
	ds_read_b128 v[19:22], v17
	s_waitcnt lgkmcnt(0)
	v_add_f64 v[13:14], v[13:14], v[19:20]
	v_add_f64 v[15:16], v[15:16], v[21:22]
	ds_write_b128 v17, v[13:16]
.LBB528_15:
	s_or_b64 exec, exec, s[0:1]
	v_cmp_gt_u16_e32 vcc, 4, v18
	s_waitcnt lgkmcnt(0)
	s_barrier
	;; [unrolled: 14-line block ×3, first 2 shown]
	s_and_saveexec_b64 s[0:1], vcc
	s_cbranch_execz .LBB528_19
; %bb.18:
	ds_read_b128 v[13:16], v17
	ds_read_b128 v[18:21], v17 offset:32
	s_waitcnt lgkmcnt(0)
	v_add_f64 v[13:14], v[18:19], v[13:14]
	v_add_f64 v[15:16], v[20:21], v[15:16]
	ds_write_b128 v17, v[13:16]
.LBB528_19:
	s_or_b64 exec, exec, s[0:1]
	v_mov_b32_e32 v16, v12
	v_mov_b32_e32 v14, v10
	v_cmp_gt_u32_e32 vcc, 17, v0
	v_mov_b32_e32 v15, v11
	v_mov_b32_e32 v13, v9
	s_waitcnt lgkmcnt(0)
	s_barrier
	s_and_saveexec_b64 s[0:1], vcc
	s_cbranch_execz .LBB528_21
; %bb.20:
	v_lshl_add_u32 v18, v0, 8, v17
	ds_read_b128 v[13:16], v18
	ds_read_b128 v[18:21], v18 offset:16
	s_waitcnt lgkmcnt(0)
	v_add_f64 v[13:14], v[18:19], v[13:14]
	v_add_f64 v[15:16], v[20:21], v[15:16]
.LBB528_21:
	s_or_b64 exec, exec, s[0:1]
	v_cmp_gt_u32_e64 s[0:1], 17, v0
	s_branch .LBB528_34
.LBB528_22:
                                        ; implicit-def: $vgpr15_vgpr16
                                        ; implicit-def: $vgpr13_vgpr14
	v_cmp_gt_u32_e64 s[0:1], 17, v0
	s_cbranch_execz .LBB528_34
; %bb.23:
	s_and_saveexec_b64 s[2:3], s[0:1]
	s_cbranch_execz .LBB528_25
; %bb.24:
	ds_read_b128 v[13:16], v17 offset:4352
	ds_read_b128 v[18:21], v17
	s_waitcnt lgkmcnt(0)
	v_add_f64 v[13:14], v[13:14], v[18:19]
	v_add_f64 v[15:16], v[15:16], v[20:21]
	ds_write_b128 v17, v[13:16]
.LBB528_25:
	s_or_b64 exec, exec, s[2:3]
	s_movk_i32 s2, 0x88
	v_cmp_gt_u32_e32 vcc, s2, v0
	s_waitcnt lgkmcnt(0)
	s_barrier
	s_and_saveexec_b64 s[2:3], vcc
	s_cbranch_execz .LBB528_27
; %bb.26:
	ds_read_b128 v[13:16], v17 offset:2176
	ds_read_b128 v[18:21], v17
	s_waitcnt lgkmcnt(0)
	v_add_f64 v[13:14], v[13:14], v[18:19]
	v_add_f64 v[15:16], v[15:16], v[20:21]
	ds_write_b128 v17, v[13:16]
.LBB528_27:
	s_or_b64 exec, exec, s[2:3]
	s_movk_i32 s2, 0x44
	v_cmp_gt_u32_e32 vcc, s2, v0
	s_waitcnt lgkmcnt(0)
	s_barrier
	s_and_saveexec_b64 s[2:3], vcc
	s_cbranch_execz .LBB528_29
; %bb.28:
	ds_read_b128 v[13:16], v17 offset:1088
	ds_read_b128 v[18:21], v17
	s_waitcnt lgkmcnt(0)
	v_add_f64 v[13:14], v[13:14], v[18:19]
	v_add_f64 v[15:16], v[15:16], v[20:21]
	ds_write_b128 v17, v[13:16]
.LBB528_29:
	s_or_b64 exec, exec, s[2:3]
	v_cmp_gt_u32_e32 vcc, 34, v0
	s_waitcnt lgkmcnt(0)
	s_barrier
	s_and_saveexec_b64 s[2:3], vcc
	s_cbranch_execz .LBB528_31
; %bb.30:
	ds_read_b128 v[13:16], v17 offset:544
	ds_read_b128 v[18:21], v17
	s_waitcnt lgkmcnt(0)
	v_add_f64 v[13:14], v[13:14], v[18:19]
	v_add_f64 v[15:16], v[15:16], v[20:21]
	ds_write_b128 v17, v[13:16]
.LBB528_31:
	s_or_b64 exec, exec, s[2:3]
	s_waitcnt lgkmcnt(0)
	s_and_saveexec_b64 s[2:3], s[0:1]
	s_cbranch_execz .LBB528_33
; %bb.32:
	ds_read_b128 v[9:12], v17 offset:272
	ds_read_b128 v[13:16], v17
	s_waitcnt lgkmcnt(0)
	v_add_f64 v[9:10], v[9:10], v[13:14]
	v_add_f64 v[11:12], v[11:12], v[15:16]
.LBB528_33:
	s_or_b64 exec, exec, s[2:3]
	v_mov_b32_e32 v16, v12
	v_mov_b32_e32 v14, v10
	;; [unrolled: 1-line block ×4, first 2 shown]
.LBB528_34:
	v_cmp_gt_u32_e32 vcc, 17, v0
	s_and_b64 exec, exec, vcc
	s_cbranch_execz .LBB528_39
; %bb.35:
	v_mul_f64 v[9:10], v[15:16], -v[7:8]
	v_mul_f64 v[11:12], v[5:6], v[15:16]
	v_cmp_eq_f64_e32 vcc, 0, v[1:2]
	v_cmp_eq_f64_e64 s[0:1], 0, v[3:4]
	v_fma_f64 v[5:6], v[5:6], v[13:14], v[9:10]
	v_fma_f64 v[7:8], v[7:8], v[13:14], v[11:12]
	s_and_b64 s[0:1], vcc, s[0:1]
	s_and_saveexec_b64 s[2:3], s[0:1]
	s_xor_b64 s[0:1], exec, s[2:3]
	s_cbranch_execz .LBB528_37
; %bb.36:
	v_mad_u64_u32 v[0:1], s[2:3], s6, 17, v[0:1]
	v_mov_b32_e32 v1, 0
	v_mov_b32_e32 v2, s9
	v_lshlrev_b64 v[0:1], 4, v[0:1]
	v_add_co_u32_e32 v0, vcc, s8, v0
	v_addc_co_u32_e32 v1, vcc, v2, v1, vcc
	global_store_dwordx4 v[0:1], v[5:8], off
                                        ; implicit-def: $vgpr0
                                        ; implicit-def: $vgpr1_vgpr2
                                        ; implicit-def: $vgpr5_vgpr6
.LBB528_37:
	s_andn2_saveexec_b64 s[0:1], s[0:1]
	s_cbranch_execz .LBB528_39
; %bb.38:
	v_mad_u64_u32 v[9:10], s[0:1], s6, 17, v[0:1]
	v_mov_b32_e32 v10, 0
	v_mov_b32_e32 v0, s9
	v_lshlrev_b64 v[9:10], 4, v[9:10]
	v_add_co_u32_e32 v13, vcc, s8, v9
	v_addc_co_u32_e32 v14, vcc, v0, v10, vcc
	global_load_dwordx4 v[9:12], v[13:14], off
	s_waitcnt vmcnt(0)
	v_fma_f64 v[5:6], v[1:2], v[9:10], v[5:6]
	v_fma_f64 v[7:8], v[3:4], v[9:10], v[7:8]
	v_fma_f64 v[3:4], -v[3:4], v[11:12], v[5:6]
	v_fma_f64 v[5:6], v[1:2], v[11:12], v[7:8]
	global_store_dwordx4 v[13:14], v[3:6], off
.LBB528_39:
	s_endpgm
	.section	.rodata,"a",@progbits
	.p2align	6, 0x0
	.amdhsa_kernel _ZN9rocsparseL20bsrxmvn_17_32_kernelILj17E21rocsparse_complex_numIdEiiS1_IfES2_S2_EEvT2_20rocsparse_direction_NS_24const_host_device_scalarIT0_EES4_PKS4_PKT1_SD_SA_PKT3_PKT4_S8_PT5_21rocsparse_index_base_b
		.amdhsa_group_segment_fixed_size 4624
		.amdhsa_private_segment_fixed_size 0
		.amdhsa_kernarg_size 112
		.amdhsa_user_sgpr_count 6
		.amdhsa_user_sgpr_private_segment_buffer 1
		.amdhsa_user_sgpr_dispatch_ptr 0
		.amdhsa_user_sgpr_queue_ptr 0
		.amdhsa_user_sgpr_kernarg_segment_ptr 1
		.amdhsa_user_sgpr_dispatch_id 0
		.amdhsa_user_sgpr_flat_scratch_init 0
		.amdhsa_user_sgpr_private_segment_size 0
		.amdhsa_uses_dynamic_stack 0
		.amdhsa_system_sgpr_private_segment_wavefront_offset 0
		.amdhsa_system_sgpr_workgroup_id_x 1
		.amdhsa_system_sgpr_workgroup_id_y 0
		.amdhsa_system_sgpr_workgroup_id_z 0
		.amdhsa_system_sgpr_workgroup_info 0
		.amdhsa_system_vgpr_workitem_id 0
		.amdhsa_next_free_vgpr 26
		.amdhsa_next_free_sgpr 18
		.amdhsa_reserve_vcc 1
		.amdhsa_reserve_flat_scratch 0
		.amdhsa_float_round_mode_32 0
		.amdhsa_float_round_mode_16_64 0
		.amdhsa_float_denorm_mode_32 3
		.amdhsa_float_denorm_mode_16_64 3
		.amdhsa_dx10_clamp 1
		.amdhsa_ieee_mode 1
		.amdhsa_fp16_overflow 0
		.amdhsa_exception_fp_ieee_invalid_op 0
		.amdhsa_exception_fp_denorm_src 0
		.amdhsa_exception_fp_ieee_div_zero 0
		.amdhsa_exception_fp_ieee_overflow 0
		.amdhsa_exception_fp_ieee_underflow 0
		.amdhsa_exception_fp_ieee_inexact 0
		.amdhsa_exception_int_div_zero 0
	.end_amdhsa_kernel
	.section	.text._ZN9rocsparseL20bsrxmvn_17_32_kernelILj17E21rocsparse_complex_numIdEiiS1_IfES2_S2_EEvT2_20rocsparse_direction_NS_24const_host_device_scalarIT0_EES4_PKS4_PKT1_SD_SA_PKT3_PKT4_S8_PT5_21rocsparse_index_base_b,"axG",@progbits,_ZN9rocsparseL20bsrxmvn_17_32_kernelILj17E21rocsparse_complex_numIdEiiS1_IfES2_S2_EEvT2_20rocsparse_direction_NS_24const_host_device_scalarIT0_EES4_PKS4_PKT1_SD_SA_PKT3_PKT4_S8_PT5_21rocsparse_index_base_b,comdat
.Lfunc_end528:
	.size	_ZN9rocsparseL20bsrxmvn_17_32_kernelILj17E21rocsparse_complex_numIdEiiS1_IfES2_S2_EEvT2_20rocsparse_direction_NS_24const_host_device_scalarIT0_EES4_PKS4_PKT1_SD_SA_PKT3_PKT4_S8_PT5_21rocsparse_index_base_b, .Lfunc_end528-_ZN9rocsparseL20bsrxmvn_17_32_kernelILj17E21rocsparse_complex_numIdEiiS1_IfES2_S2_EEvT2_20rocsparse_direction_NS_24const_host_device_scalarIT0_EES4_PKS4_PKT1_SD_SA_PKT3_PKT4_S8_PT5_21rocsparse_index_base_b
                                        ; -- End function
	.set _ZN9rocsparseL20bsrxmvn_17_32_kernelILj17E21rocsparse_complex_numIdEiiS1_IfES2_S2_EEvT2_20rocsparse_direction_NS_24const_host_device_scalarIT0_EES4_PKS4_PKT1_SD_SA_PKT3_PKT4_S8_PT5_21rocsparse_index_base_b.num_vgpr, 26
	.set _ZN9rocsparseL20bsrxmvn_17_32_kernelILj17E21rocsparse_complex_numIdEiiS1_IfES2_S2_EEvT2_20rocsparse_direction_NS_24const_host_device_scalarIT0_EES4_PKS4_PKT1_SD_SA_PKT3_PKT4_S8_PT5_21rocsparse_index_base_b.num_agpr, 0
	.set _ZN9rocsparseL20bsrxmvn_17_32_kernelILj17E21rocsparse_complex_numIdEiiS1_IfES2_S2_EEvT2_20rocsparse_direction_NS_24const_host_device_scalarIT0_EES4_PKS4_PKT1_SD_SA_PKT3_PKT4_S8_PT5_21rocsparse_index_base_b.numbered_sgpr, 18
	.set _ZN9rocsparseL20bsrxmvn_17_32_kernelILj17E21rocsparse_complex_numIdEiiS1_IfES2_S2_EEvT2_20rocsparse_direction_NS_24const_host_device_scalarIT0_EES4_PKS4_PKT1_SD_SA_PKT3_PKT4_S8_PT5_21rocsparse_index_base_b.num_named_barrier, 0
	.set _ZN9rocsparseL20bsrxmvn_17_32_kernelILj17E21rocsparse_complex_numIdEiiS1_IfES2_S2_EEvT2_20rocsparse_direction_NS_24const_host_device_scalarIT0_EES4_PKS4_PKT1_SD_SA_PKT3_PKT4_S8_PT5_21rocsparse_index_base_b.private_seg_size, 0
	.set _ZN9rocsparseL20bsrxmvn_17_32_kernelILj17E21rocsparse_complex_numIdEiiS1_IfES2_S2_EEvT2_20rocsparse_direction_NS_24const_host_device_scalarIT0_EES4_PKS4_PKT1_SD_SA_PKT3_PKT4_S8_PT5_21rocsparse_index_base_b.uses_vcc, 1
	.set _ZN9rocsparseL20bsrxmvn_17_32_kernelILj17E21rocsparse_complex_numIdEiiS1_IfES2_S2_EEvT2_20rocsparse_direction_NS_24const_host_device_scalarIT0_EES4_PKS4_PKT1_SD_SA_PKT3_PKT4_S8_PT5_21rocsparse_index_base_b.uses_flat_scratch, 0
	.set _ZN9rocsparseL20bsrxmvn_17_32_kernelILj17E21rocsparse_complex_numIdEiiS1_IfES2_S2_EEvT2_20rocsparse_direction_NS_24const_host_device_scalarIT0_EES4_PKS4_PKT1_SD_SA_PKT3_PKT4_S8_PT5_21rocsparse_index_base_b.has_dyn_sized_stack, 0
	.set _ZN9rocsparseL20bsrxmvn_17_32_kernelILj17E21rocsparse_complex_numIdEiiS1_IfES2_S2_EEvT2_20rocsparse_direction_NS_24const_host_device_scalarIT0_EES4_PKS4_PKT1_SD_SA_PKT3_PKT4_S8_PT5_21rocsparse_index_base_b.has_recursion, 0
	.set _ZN9rocsparseL20bsrxmvn_17_32_kernelILj17E21rocsparse_complex_numIdEiiS1_IfES2_S2_EEvT2_20rocsparse_direction_NS_24const_host_device_scalarIT0_EES4_PKS4_PKT1_SD_SA_PKT3_PKT4_S8_PT5_21rocsparse_index_base_b.has_indirect_call, 0
	.section	.AMDGPU.csdata,"",@progbits
; Kernel info:
; codeLenInByte = 1652
; TotalNumSgprs: 22
; NumVgprs: 26
; ScratchSize: 0
; MemoryBound: 0
; FloatMode: 240
; IeeeMode: 1
; LDSByteSize: 4624 bytes/workgroup (compile time only)
; SGPRBlocks: 2
; VGPRBlocks: 6
; NumSGPRsForWavesPerEU: 22
; NumVGPRsForWavesPerEU: 26
; Occupancy: 9
; WaveLimiterHint : 1
; COMPUTE_PGM_RSRC2:SCRATCH_EN: 0
; COMPUTE_PGM_RSRC2:USER_SGPR: 6
; COMPUTE_PGM_RSRC2:TRAP_HANDLER: 0
; COMPUTE_PGM_RSRC2:TGID_X_EN: 1
; COMPUTE_PGM_RSRC2:TGID_Y_EN: 0
; COMPUTE_PGM_RSRC2:TGID_Z_EN: 0
; COMPUTE_PGM_RSRC2:TIDIG_COMP_CNT: 0
	.section	.text._ZN9rocsparseL20bsrxmvn_17_32_kernelILj18E21rocsparse_complex_numIdEiiS1_IfES2_S2_EEvT2_20rocsparse_direction_NS_24const_host_device_scalarIT0_EES4_PKS4_PKT1_SD_SA_PKT3_PKT4_S8_PT5_21rocsparse_index_base_b,"axG",@progbits,_ZN9rocsparseL20bsrxmvn_17_32_kernelILj18E21rocsparse_complex_numIdEiiS1_IfES2_S2_EEvT2_20rocsparse_direction_NS_24const_host_device_scalarIT0_EES4_PKS4_PKT1_SD_SA_PKT3_PKT4_S8_PT5_21rocsparse_index_base_b,comdat
	.globl	_ZN9rocsparseL20bsrxmvn_17_32_kernelILj18E21rocsparse_complex_numIdEiiS1_IfES2_S2_EEvT2_20rocsparse_direction_NS_24const_host_device_scalarIT0_EES4_PKS4_PKT1_SD_SA_PKT3_PKT4_S8_PT5_21rocsparse_index_base_b ; -- Begin function _ZN9rocsparseL20bsrxmvn_17_32_kernelILj18E21rocsparse_complex_numIdEiiS1_IfES2_S2_EEvT2_20rocsparse_direction_NS_24const_host_device_scalarIT0_EES4_PKS4_PKT1_SD_SA_PKT3_PKT4_S8_PT5_21rocsparse_index_base_b
	.p2align	8
	.type	_ZN9rocsparseL20bsrxmvn_17_32_kernelILj18E21rocsparse_complex_numIdEiiS1_IfES2_S2_EEvT2_20rocsparse_direction_NS_24const_host_device_scalarIT0_EES4_PKS4_PKT1_SD_SA_PKT3_PKT4_S8_PT5_21rocsparse_index_base_b,@function
_ZN9rocsparseL20bsrxmvn_17_32_kernelILj18E21rocsparse_complex_numIdEiiS1_IfES2_S2_EEvT2_20rocsparse_direction_NS_24const_host_device_scalarIT0_EES4_PKS4_PKT1_SD_SA_PKT3_PKT4_S8_PT5_21rocsparse_index_base_b: ; @_ZN9rocsparseL20bsrxmvn_17_32_kernelILj18E21rocsparse_complex_numIdEiiS1_IfES2_S2_EEvT2_20rocsparse_direction_NS_24const_host_device_scalarIT0_EES4_PKS4_PKT1_SD_SA_PKT3_PKT4_S8_PT5_21rocsparse_index_base_b
; %bb.0:
	s_load_dwordx2 s[0:1], s[4:5], 0x8
	s_load_dwordx2 s[10:11], s[4:5], 0x68
	s_add_u32 s7, s4, 8
	s_addc_u32 s8, s5, 0
	s_add_u32 s9, s4, 0x50
	s_addc_u32 s12, s5, 0
	s_waitcnt lgkmcnt(0)
	s_bitcmp1_b32 s11, 0
	s_cselect_b32 s1, s8, s1
	s_cselect_b32 s0, s7, s0
	v_mov_b32_e32 v1, s0
	v_mov_b32_e32 v2, s1
	flat_load_dwordx4 v[5:8], v[1:2]
	s_load_dwordx2 s[2:3], s[4:5], 0x50
	s_waitcnt lgkmcnt(0)
	s_cselect_b32 s0, s12, s3
	s_cselect_b32 s1, s9, s2
	v_mov_b32_e32 v1, s1
	v_mov_b32_e32 v2, s0
	flat_load_dwordx4 v[1:4], v[1:2]
	s_waitcnt vmcnt(0)
	v_cmp_eq_f64_e32 vcc, 0, v[5:6]
	v_cmp_eq_f64_e64 s[0:1], 0, v[7:8]
	s_and_b64 s[8:9], vcc, s[0:1]
	s_mov_b64 s[0:1], -1
	s_and_saveexec_b64 s[2:3], s[8:9]
	s_cbranch_execz .LBB529_2
; %bb.1:
	s_waitcnt lgkmcnt(0)
	v_cmp_neq_f64_e32 vcc, 1.0, v[1:2]
	v_cmp_neq_f64_e64 s[0:1], 0, v[3:4]
	s_or_b64 s[0:1], vcc, s[0:1]
	s_orn2_b64 s[0:1], s[0:1], exec
.LBB529_2:
	s_or_b64 exec, exec, s[2:3]
	s_and_saveexec_b64 s[2:3], s[0:1]
	s_cbranch_execz .LBB529_39
; %bb.3:
	s_load_dwordx4 s[0:3], s[4:5], 0x20
	s_load_dwordx2 s[14:15], s[4:5], 0x30
	s_waitcnt lgkmcnt(0)
	s_cmp_eq_u64 s[0:1], 0
	s_cbranch_scc1 .LBB529_5
; %bb.4:
	s_ashr_i32 s7, s6, 31
	s_lshl_b64 s[6:7], s[6:7], 2
	s_add_u32 s0, s0, s6
	s_addc_u32 s1, s1, s7
	s_load_dword s0, s[0:1], 0x0
	s_waitcnt lgkmcnt(0)
	s_sub_i32 s6, s0, s10
.LBB529_5:
	s_load_dword s0, s[4:5], 0x4
	s_load_dwordx2 s[8:9], s[4:5], 0x60
	v_mul_u32_u24_e32 v13, 0xe39, v0
	v_mov_b32_e32 v14, 18
	v_mul_lo_u16_sdwa v15, v13, v14 dst_sel:DWORD dst_unused:UNUSED_PAD src0_sel:WORD_1 src1_sel:DWORD
	s_waitcnt lgkmcnt(0)
	s_cmp_eq_u32 s0, 1
	s_cselect_b64 vcc, -1, 0
	s_cmp_lg_u32 s0, 1
	s_cselect_b64 s[12:13], -1, 0
	s_ashr_i32 s7, s6, 31
	s_lshl_b64 s[0:1], s[6:7], 2
	s_add_u32 s2, s2, s0
	s_addc_u32 s3, s3, s1
	s_load_dword s7, s[2:3], 0x0
	s_add_u32 s2, s2, 4
	s_addc_u32 s3, s3, 0
	s_add_u32 s0, s14, s0
	s_addc_u32 s1, s15, s1
	s_cmp_eq_u64 s[14:15], 0
	s_cselect_b32 s1, s3, s1
	s_cselect_b32 s0, s2, s0
	s_load_dword s11, s[0:1], 0x0
	v_mov_b32_e32 v11, 0
	v_mov_b32_e32 v9, 0
	;; [unrolled: 1-line block ×4, first 2 shown]
	s_waitcnt lgkmcnt(0)
	s_cmp_ge_i32 s7, s11
	v_sub_u16_e32 v18, v0, v15
	s_cbranch_scc1 .LBB529_10
; %bb.6:
	s_load_dwordx2 s[14:15], s[4:5], 0x48
	s_load_dwordx4 s[0:3], s[4:5], 0x38
	v_mov_b32_e32 v9, 15
	v_mul_lo_u16_sdwa v9, v13, v9 dst_sel:DWORD dst_unused:UNUSED_PAD src0_sel:WORD_1 src1_sel:DWORD
	v_mul_lo_u16_sdwa v9, v9, v14 dst_sel:DWORD dst_unused:UNUSED_PAD src0_sel:BYTE_1 src1_sel:DWORD
	v_sub_u16_sdwa v9, v13, v9 dst_sel:DWORD dst_unused:UNUSED_PAD src0_sel:WORD_1 src1_sel:DWORD
	s_sub_i32 s5, s7, s10
	s_sub_i32 s4, s11, s10
	v_and_b32_e32 v9, 0xff, v9
	s_mul_i32 s11, s5, 0xa20
	v_cndmask_b32_e32 v13, v18, v9, vcc
	s_mul_hi_i32 s7, s5, 0xa20
	s_waitcnt lgkmcnt(0)
	s_add_u32 s2, s2, s11
	v_lshlrev_b32_e32 v9, 3, v0
	s_addc_u32 s3, s3, s7
	v_add_co_u32_e32 v14, vcc, s2, v9
	s_movk_i32 s2, 0x195
	v_mov_b32_e32 v10, s3
	v_mul_u32_u24_sdwa v9, v0, s2 dst_sel:DWORD dst_unused:UNUSED_PAD src0_sel:WORD_0 src1_sel:DWORD
	v_mov_b32_e32 v11, 0
	v_addc_co_u32_e32 v15, vcc, 0, v10, vcc
	v_mov_b32_e32 v12, 0
	v_lshrrev_b32_e32 v19, 17, v9
	v_mov_b32_e32 v9, v11
	v_mov_b32_e32 v10, v12
	s_branch .LBB529_8
.LBB529_7:                              ;   in Loop: Header=BB529_8 Depth=1
	s_or_b64 exec, exec, s[2:3]
	s_add_i32 s5, s5, 1
	s_cmp_lt_i32 s5, s4
	s_cbranch_scc0 .LBB529_10
.LBB529_8:                              ; =>This Inner Loop Header: Depth=1
	v_add_u32_e32 v16, s5, v19
	v_cmp_gt_i32_e32 vcc, s4, v16
	s_and_saveexec_b64 s[2:3], vcc
	s_cbranch_execz .LBB529_7
; %bb.9:                                ;   in Loop: Header=BB529_8 Depth=1
	v_ashrrev_i32_e32 v17, 31, v16
	v_lshlrev_b64 v[16:17], 2, v[16:17]
	v_mov_b32_e32 v20, s1
	v_add_co_u32_e32 v16, vcc, s0, v16
	v_addc_co_u32_e32 v17, vcc, v20, v17, vcc
	global_load_dword v16, v[16:17], off
	v_mov_b32_e32 v20, s15
	global_load_dwordx2 v[24:25], v[14:15], off
	s_waitcnt vmcnt(1)
	v_subrev_u32_e32 v16, s10, v16
	v_mad_u64_u32 v[16:17], s[16:17], v16, 18, v[13:14]
	v_ashrrev_i32_e32 v17, 31, v16
	v_lshlrev_b64 v[16:17], 4, v[16:17]
	v_add_co_u32_e32 v16, vcc, s14, v16
	v_addc_co_u32_e32 v17, vcc, v20, v17, vcc
	global_load_dwordx4 v[20:23], v[16:17], off
	s_waitcnt vmcnt(1)
	v_cvt_f64_f32_e32 v[16:17], v24
	v_cvt_f64_f32_e32 v[24:25], v25
	v_add_co_u32_e32 v14, vcc, 0xa20, v14
	v_addc_co_u32_e32 v15, vcc, 0, v15, vcc
	s_waitcnt vmcnt(0)
	v_fma_f64 v[9:10], v[16:17], v[20:21], v[9:10]
	v_fma_f64 v[11:12], v[24:25], v[20:21], v[11:12]
	v_fma_f64 v[9:10], -v[24:25], v[22:23], v[9:10]
	v_fma_f64 v[11:12], v[16:17], v[22:23], v[11:12]
	s_branch .LBB529_7
.LBB529_10:
	v_lshlrev_b32_e32 v17, 4, v0
	s_and_b64 vcc, exec, s[12:13]
	ds_write_b128 v17, v[9:12]
	s_waitcnt lgkmcnt(0)
	s_barrier
	s_cbranch_vccz .LBB529_22
; %bb.11:
	v_cmp_gt_u16_e32 vcc, 2, v18
	s_and_saveexec_b64 s[0:1], vcc
	s_cbranch_execz .LBB529_13
; %bb.12:
	ds_read_b128 v[13:16], v17 offset:256
	ds_read_b128 v[19:22], v17
	s_waitcnt lgkmcnt(0)
	v_add_f64 v[13:14], v[13:14], v[19:20]
	v_add_f64 v[15:16], v[15:16], v[21:22]
	ds_write_b128 v17, v[13:16]
.LBB529_13:
	s_or_b64 exec, exec, s[0:1]
	v_cmp_gt_u16_e64 s[0:1], 8, v18
	s_waitcnt lgkmcnt(0)
	s_barrier
	s_and_saveexec_b64 s[2:3], s[0:1]
	s_cbranch_execz .LBB529_15
; %bb.14:
	ds_read_b128 v[13:16], v17 offset:128
	ds_read_b128 v[19:22], v17
	s_waitcnt lgkmcnt(0)
	v_add_f64 v[13:14], v[13:14], v[19:20]
	v_add_f64 v[15:16], v[15:16], v[21:22]
	ds_write_b128 v17, v[13:16]
.LBB529_15:
	s_or_b64 exec, exec, s[2:3]
	v_cmp_gt_u16_e64 s[0:1], 4, v18
	s_waitcnt lgkmcnt(0)
	s_barrier
	s_and_saveexec_b64 s[2:3], s[0:1]
	s_cbranch_execz .LBB529_17
; %bb.16:
	ds_read_b128 v[13:16], v17 offset:64
	ds_read_b128 v[18:21], v17
	s_waitcnt lgkmcnt(0)
	v_add_f64 v[13:14], v[13:14], v[18:19]
	v_add_f64 v[15:16], v[15:16], v[20:21]
	ds_write_b128 v17, v[13:16]
.LBB529_17:
	s_or_b64 exec, exec, s[2:3]
	s_waitcnt lgkmcnt(0)
	s_barrier
	s_and_saveexec_b64 s[0:1], vcc
	s_cbranch_execz .LBB529_19
; %bb.18:
	ds_read_b128 v[13:16], v17
	ds_read_b128 v[18:21], v17 offset:32
	s_waitcnt lgkmcnt(0)
	v_add_f64 v[13:14], v[18:19], v[13:14]
	v_add_f64 v[15:16], v[20:21], v[15:16]
	ds_write_b128 v17, v[13:16]
.LBB529_19:
	s_or_b64 exec, exec, s[0:1]
	v_mov_b32_e32 v16, v12
	v_mov_b32_e32 v14, v10
	v_cmp_gt_u32_e32 vcc, 18, v0
	v_mov_b32_e32 v15, v11
	v_mov_b32_e32 v13, v9
	s_waitcnt lgkmcnt(0)
	s_barrier
	s_and_saveexec_b64 s[0:1], vcc
	s_cbranch_execz .LBB529_21
; %bb.20:
	s_movk_i32 s2, 0x110
	v_mad_u32_u24 v18, v0, s2, v17
	ds_read_b128 v[13:16], v18
	ds_read_b128 v[18:21], v18 offset:16
	s_waitcnt lgkmcnt(0)
	v_add_f64 v[13:14], v[18:19], v[13:14]
	v_add_f64 v[15:16], v[20:21], v[15:16]
.LBB529_21:
	s_or_b64 exec, exec, s[0:1]
	s_branch .LBB529_34
.LBB529_22:
                                        ; implicit-def: $vgpr15_vgpr16
                                        ; implicit-def: $vgpr13_vgpr14
	s_cbranch_execz .LBB529_34
; %bb.23:
	v_cmp_gt_u32_e32 vcc, 36, v0
	s_and_saveexec_b64 s[0:1], vcc
	s_cbranch_execz .LBB529_25
; %bb.24:
	ds_read_b128 v[13:16], v17 offset:4608
	ds_read_b128 v[18:21], v17
	s_waitcnt lgkmcnt(0)
	v_add_f64 v[13:14], v[13:14], v[18:19]
	v_add_f64 v[15:16], v[15:16], v[20:21]
	ds_write_b128 v17, v[13:16]
.LBB529_25:
	s_or_b64 exec, exec, s[0:1]
	s_movk_i32 s0, 0x90
	v_cmp_gt_u32_e64 s[0:1], s0, v0
	s_waitcnt lgkmcnt(0)
	s_barrier
	s_and_saveexec_b64 s[2:3], s[0:1]
	s_cbranch_execz .LBB529_27
; %bb.26:
	ds_read_b128 v[13:16], v17 offset:2304
	ds_read_b128 v[18:21], v17
	s_waitcnt lgkmcnt(0)
	v_add_f64 v[13:14], v[13:14], v[18:19]
	v_add_f64 v[15:16], v[15:16], v[20:21]
	ds_write_b128 v17, v[13:16]
.LBB529_27:
	s_or_b64 exec, exec, s[2:3]
	s_movk_i32 s0, 0x48
	v_cmp_gt_u32_e64 s[0:1], s0, v0
	s_waitcnt lgkmcnt(0)
	s_barrier
	s_and_saveexec_b64 s[2:3], s[0:1]
	s_cbranch_execz .LBB529_29
; %bb.28:
	ds_read_b128 v[13:16], v17 offset:1152
	ds_read_b128 v[18:21], v17
	s_waitcnt lgkmcnt(0)
	v_add_f64 v[13:14], v[13:14], v[18:19]
	v_add_f64 v[15:16], v[15:16], v[20:21]
	ds_write_b128 v17, v[13:16]
.LBB529_29:
	s_or_b64 exec, exec, s[2:3]
	s_waitcnt lgkmcnt(0)
	s_barrier
	s_and_saveexec_b64 s[0:1], vcc
	s_cbranch_execz .LBB529_31
; %bb.30:
	ds_read_b128 v[13:16], v17 offset:576
	ds_read_b128 v[18:21], v17
	s_waitcnt lgkmcnt(0)
	v_add_f64 v[13:14], v[13:14], v[18:19]
	v_add_f64 v[15:16], v[15:16], v[20:21]
	ds_write_b128 v17, v[13:16]
.LBB529_31:
	s_or_b64 exec, exec, s[0:1]
	v_cmp_gt_u32_e32 vcc, 18, v0
	s_waitcnt lgkmcnt(0)
	s_and_saveexec_b64 s[0:1], vcc
	s_cbranch_execz .LBB529_33
; %bb.32:
	ds_read_b128 v[9:12], v17 offset:288
	ds_read_b128 v[13:16], v17
	s_waitcnt lgkmcnt(0)
	v_add_f64 v[9:10], v[9:10], v[13:14]
	v_add_f64 v[11:12], v[11:12], v[15:16]
.LBB529_33:
	s_or_b64 exec, exec, s[0:1]
	v_mov_b32_e32 v16, v12
	v_mov_b32_e32 v14, v10
	;; [unrolled: 1-line block ×4, first 2 shown]
.LBB529_34:
	v_cmp_gt_u32_e32 vcc, 18, v0
	s_and_b64 exec, exec, vcc
	s_cbranch_execz .LBB529_39
; %bb.35:
	v_mul_f64 v[9:10], v[15:16], -v[7:8]
	v_mul_f64 v[11:12], v[5:6], v[15:16]
	v_cmp_eq_f64_e32 vcc, 0, v[1:2]
	v_cmp_eq_f64_e64 s[0:1], 0, v[3:4]
	v_fma_f64 v[5:6], v[5:6], v[13:14], v[9:10]
	v_fma_f64 v[7:8], v[7:8], v[13:14], v[11:12]
	s_and_b64 s[0:1], vcc, s[0:1]
	s_and_saveexec_b64 s[2:3], s[0:1]
	s_xor_b64 s[0:1], exec, s[2:3]
	s_cbranch_execz .LBB529_37
; %bb.36:
	v_mad_u64_u32 v[0:1], s[2:3], s6, 18, v[0:1]
	v_mov_b32_e32 v1, 0
	v_mov_b32_e32 v2, s9
	v_lshlrev_b64 v[0:1], 4, v[0:1]
	v_add_co_u32_e32 v0, vcc, s8, v0
	v_addc_co_u32_e32 v1, vcc, v2, v1, vcc
	global_store_dwordx4 v[0:1], v[5:8], off
                                        ; implicit-def: $vgpr0
                                        ; implicit-def: $vgpr1_vgpr2
                                        ; implicit-def: $vgpr5_vgpr6
.LBB529_37:
	s_andn2_saveexec_b64 s[0:1], s[0:1]
	s_cbranch_execz .LBB529_39
; %bb.38:
	v_mad_u64_u32 v[9:10], s[0:1], s6, 18, v[0:1]
	v_mov_b32_e32 v10, 0
	v_mov_b32_e32 v0, s9
	v_lshlrev_b64 v[9:10], 4, v[9:10]
	v_add_co_u32_e32 v13, vcc, s8, v9
	v_addc_co_u32_e32 v14, vcc, v0, v10, vcc
	global_load_dwordx4 v[9:12], v[13:14], off
	s_waitcnt vmcnt(0)
	v_fma_f64 v[5:6], v[1:2], v[9:10], v[5:6]
	v_fma_f64 v[7:8], v[3:4], v[9:10], v[7:8]
	v_fma_f64 v[3:4], -v[3:4], v[11:12], v[5:6]
	v_fma_f64 v[5:6], v[1:2], v[11:12], v[7:8]
	global_store_dwordx4 v[13:14], v[3:6], off
.LBB529_39:
	s_endpgm
	.section	.rodata,"a",@progbits
	.p2align	6, 0x0
	.amdhsa_kernel _ZN9rocsparseL20bsrxmvn_17_32_kernelILj18E21rocsparse_complex_numIdEiiS1_IfES2_S2_EEvT2_20rocsparse_direction_NS_24const_host_device_scalarIT0_EES4_PKS4_PKT1_SD_SA_PKT3_PKT4_S8_PT5_21rocsparse_index_base_b
		.amdhsa_group_segment_fixed_size 5184
		.amdhsa_private_segment_fixed_size 0
		.amdhsa_kernarg_size 112
		.amdhsa_user_sgpr_count 6
		.amdhsa_user_sgpr_private_segment_buffer 1
		.amdhsa_user_sgpr_dispatch_ptr 0
		.amdhsa_user_sgpr_queue_ptr 0
		.amdhsa_user_sgpr_kernarg_segment_ptr 1
		.amdhsa_user_sgpr_dispatch_id 0
		.amdhsa_user_sgpr_flat_scratch_init 0
		.amdhsa_user_sgpr_private_segment_size 0
		.amdhsa_uses_dynamic_stack 0
		.amdhsa_system_sgpr_private_segment_wavefront_offset 0
		.amdhsa_system_sgpr_workgroup_id_x 1
		.amdhsa_system_sgpr_workgroup_id_y 0
		.amdhsa_system_sgpr_workgroup_id_z 0
		.amdhsa_system_sgpr_workgroup_info 0
		.amdhsa_system_vgpr_workitem_id 0
		.amdhsa_next_free_vgpr 26
		.amdhsa_next_free_sgpr 61
		.amdhsa_reserve_vcc 1
		.amdhsa_reserve_flat_scratch 0
		.amdhsa_float_round_mode_32 0
		.amdhsa_float_round_mode_16_64 0
		.amdhsa_float_denorm_mode_32 3
		.amdhsa_float_denorm_mode_16_64 3
		.amdhsa_dx10_clamp 1
		.amdhsa_ieee_mode 1
		.amdhsa_fp16_overflow 0
		.amdhsa_exception_fp_ieee_invalid_op 0
		.amdhsa_exception_fp_denorm_src 0
		.amdhsa_exception_fp_ieee_div_zero 0
		.amdhsa_exception_fp_ieee_overflow 0
		.amdhsa_exception_fp_ieee_underflow 0
		.amdhsa_exception_fp_ieee_inexact 0
		.amdhsa_exception_int_div_zero 0
	.end_amdhsa_kernel
	.section	.text._ZN9rocsparseL20bsrxmvn_17_32_kernelILj18E21rocsparse_complex_numIdEiiS1_IfES2_S2_EEvT2_20rocsparse_direction_NS_24const_host_device_scalarIT0_EES4_PKS4_PKT1_SD_SA_PKT3_PKT4_S8_PT5_21rocsparse_index_base_b,"axG",@progbits,_ZN9rocsparseL20bsrxmvn_17_32_kernelILj18E21rocsparse_complex_numIdEiiS1_IfES2_S2_EEvT2_20rocsparse_direction_NS_24const_host_device_scalarIT0_EES4_PKS4_PKT1_SD_SA_PKT3_PKT4_S8_PT5_21rocsparse_index_base_b,comdat
.Lfunc_end529:
	.size	_ZN9rocsparseL20bsrxmvn_17_32_kernelILj18E21rocsparse_complex_numIdEiiS1_IfES2_S2_EEvT2_20rocsparse_direction_NS_24const_host_device_scalarIT0_EES4_PKS4_PKT1_SD_SA_PKT3_PKT4_S8_PT5_21rocsparse_index_base_b, .Lfunc_end529-_ZN9rocsparseL20bsrxmvn_17_32_kernelILj18E21rocsparse_complex_numIdEiiS1_IfES2_S2_EEvT2_20rocsparse_direction_NS_24const_host_device_scalarIT0_EES4_PKS4_PKT1_SD_SA_PKT3_PKT4_S8_PT5_21rocsparse_index_base_b
                                        ; -- End function
	.set _ZN9rocsparseL20bsrxmvn_17_32_kernelILj18E21rocsparse_complex_numIdEiiS1_IfES2_S2_EEvT2_20rocsparse_direction_NS_24const_host_device_scalarIT0_EES4_PKS4_PKT1_SD_SA_PKT3_PKT4_S8_PT5_21rocsparse_index_base_b.num_vgpr, 26
	.set _ZN9rocsparseL20bsrxmvn_17_32_kernelILj18E21rocsparse_complex_numIdEiiS1_IfES2_S2_EEvT2_20rocsparse_direction_NS_24const_host_device_scalarIT0_EES4_PKS4_PKT1_SD_SA_PKT3_PKT4_S8_PT5_21rocsparse_index_base_b.num_agpr, 0
	.set _ZN9rocsparseL20bsrxmvn_17_32_kernelILj18E21rocsparse_complex_numIdEiiS1_IfES2_S2_EEvT2_20rocsparse_direction_NS_24const_host_device_scalarIT0_EES4_PKS4_PKT1_SD_SA_PKT3_PKT4_S8_PT5_21rocsparse_index_base_b.numbered_sgpr, 18
	.set _ZN9rocsparseL20bsrxmvn_17_32_kernelILj18E21rocsparse_complex_numIdEiiS1_IfES2_S2_EEvT2_20rocsparse_direction_NS_24const_host_device_scalarIT0_EES4_PKS4_PKT1_SD_SA_PKT3_PKT4_S8_PT5_21rocsparse_index_base_b.num_named_barrier, 0
	.set _ZN9rocsparseL20bsrxmvn_17_32_kernelILj18E21rocsparse_complex_numIdEiiS1_IfES2_S2_EEvT2_20rocsparse_direction_NS_24const_host_device_scalarIT0_EES4_PKS4_PKT1_SD_SA_PKT3_PKT4_S8_PT5_21rocsparse_index_base_b.private_seg_size, 0
	.set _ZN9rocsparseL20bsrxmvn_17_32_kernelILj18E21rocsparse_complex_numIdEiiS1_IfES2_S2_EEvT2_20rocsparse_direction_NS_24const_host_device_scalarIT0_EES4_PKS4_PKT1_SD_SA_PKT3_PKT4_S8_PT5_21rocsparse_index_base_b.uses_vcc, 1
	.set _ZN9rocsparseL20bsrxmvn_17_32_kernelILj18E21rocsparse_complex_numIdEiiS1_IfES2_S2_EEvT2_20rocsparse_direction_NS_24const_host_device_scalarIT0_EES4_PKS4_PKT1_SD_SA_PKT3_PKT4_S8_PT5_21rocsparse_index_base_b.uses_flat_scratch, 0
	.set _ZN9rocsparseL20bsrxmvn_17_32_kernelILj18E21rocsparse_complex_numIdEiiS1_IfES2_S2_EEvT2_20rocsparse_direction_NS_24const_host_device_scalarIT0_EES4_PKS4_PKT1_SD_SA_PKT3_PKT4_S8_PT5_21rocsparse_index_base_b.has_dyn_sized_stack, 0
	.set _ZN9rocsparseL20bsrxmvn_17_32_kernelILj18E21rocsparse_complex_numIdEiiS1_IfES2_S2_EEvT2_20rocsparse_direction_NS_24const_host_device_scalarIT0_EES4_PKS4_PKT1_SD_SA_PKT3_PKT4_S8_PT5_21rocsparse_index_base_b.has_recursion, 0
	.set _ZN9rocsparseL20bsrxmvn_17_32_kernelILj18E21rocsparse_complex_numIdEiiS1_IfES2_S2_EEvT2_20rocsparse_direction_NS_24const_host_device_scalarIT0_EES4_PKS4_PKT1_SD_SA_PKT3_PKT4_S8_PT5_21rocsparse_index_base_b.has_indirect_call, 0
	.section	.AMDGPU.csdata,"",@progbits
; Kernel info:
; codeLenInByte = 1656
; TotalNumSgprs: 22
; NumVgprs: 26
; ScratchSize: 0
; MemoryBound: 0
; FloatMode: 240
; IeeeMode: 1
; LDSByteSize: 5184 bytes/workgroup (compile time only)
; SGPRBlocks: 8
; VGPRBlocks: 6
; NumSGPRsForWavesPerEU: 65
; NumVGPRsForWavesPerEU: 26
; Occupancy: 9
; WaveLimiterHint : 1
; COMPUTE_PGM_RSRC2:SCRATCH_EN: 0
; COMPUTE_PGM_RSRC2:USER_SGPR: 6
; COMPUTE_PGM_RSRC2:TRAP_HANDLER: 0
; COMPUTE_PGM_RSRC2:TGID_X_EN: 1
; COMPUTE_PGM_RSRC2:TGID_Y_EN: 0
; COMPUTE_PGM_RSRC2:TGID_Z_EN: 0
; COMPUTE_PGM_RSRC2:TIDIG_COMP_CNT: 0
	.section	.text._ZN9rocsparseL20bsrxmvn_17_32_kernelILj19E21rocsparse_complex_numIdEiiS1_IfES2_S2_EEvT2_20rocsparse_direction_NS_24const_host_device_scalarIT0_EES4_PKS4_PKT1_SD_SA_PKT3_PKT4_S8_PT5_21rocsparse_index_base_b,"axG",@progbits,_ZN9rocsparseL20bsrxmvn_17_32_kernelILj19E21rocsparse_complex_numIdEiiS1_IfES2_S2_EEvT2_20rocsparse_direction_NS_24const_host_device_scalarIT0_EES4_PKS4_PKT1_SD_SA_PKT3_PKT4_S8_PT5_21rocsparse_index_base_b,comdat
	.globl	_ZN9rocsparseL20bsrxmvn_17_32_kernelILj19E21rocsparse_complex_numIdEiiS1_IfES2_S2_EEvT2_20rocsparse_direction_NS_24const_host_device_scalarIT0_EES4_PKS4_PKT1_SD_SA_PKT3_PKT4_S8_PT5_21rocsparse_index_base_b ; -- Begin function _ZN9rocsparseL20bsrxmvn_17_32_kernelILj19E21rocsparse_complex_numIdEiiS1_IfES2_S2_EEvT2_20rocsparse_direction_NS_24const_host_device_scalarIT0_EES4_PKS4_PKT1_SD_SA_PKT3_PKT4_S8_PT5_21rocsparse_index_base_b
	.p2align	8
	.type	_ZN9rocsparseL20bsrxmvn_17_32_kernelILj19E21rocsparse_complex_numIdEiiS1_IfES2_S2_EEvT2_20rocsparse_direction_NS_24const_host_device_scalarIT0_EES4_PKS4_PKT1_SD_SA_PKT3_PKT4_S8_PT5_21rocsparse_index_base_b,@function
_ZN9rocsparseL20bsrxmvn_17_32_kernelILj19E21rocsparse_complex_numIdEiiS1_IfES2_S2_EEvT2_20rocsparse_direction_NS_24const_host_device_scalarIT0_EES4_PKS4_PKT1_SD_SA_PKT3_PKT4_S8_PT5_21rocsparse_index_base_b: ; @_ZN9rocsparseL20bsrxmvn_17_32_kernelILj19E21rocsparse_complex_numIdEiiS1_IfES2_S2_EEvT2_20rocsparse_direction_NS_24const_host_device_scalarIT0_EES4_PKS4_PKT1_SD_SA_PKT3_PKT4_S8_PT5_21rocsparse_index_base_b
; %bb.0:
	s_load_dwordx2 s[0:1], s[4:5], 0x8
	s_load_dwordx2 s[10:11], s[4:5], 0x68
	s_add_u32 s7, s4, 8
	s_addc_u32 s8, s5, 0
	s_add_u32 s9, s4, 0x50
	s_addc_u32 s12, s5, 0
	s_waitcnt lgkmcnt(0)
	s_bitcmp1_b32 s11, 0
	s_cselect_b32 s1, s8, s1
	s_cselect_b32 s0, s7, s0
	v_mov_b32_e32 v1, s0
	v_mov_b32_e32 v2, s1
	flat_load_dwordx4 v[5:8], v[1:2]
	s_load_dwordx2 s[2:3], s[4:5], 0x50
	s_waitcnt lgkmcnt(0)
	s_cselect_b32 s0, s12, s3
	s_cselect_b32 s1, s9, s2
	v_mov_b32_e32 v1, s1
	v_mov_b32_e32 v2, s0
	flat_load_dwordx4 v[1:4], v[1:2]
	s_waitcnt vmcnt(0)
	v_cmp_eq_f64_e32 vcc, 0, v[5:6]
	v_cmp_eq_f64_e64 s[0:1], 0, v[7:8]
	s_and_b64 s[8:9], vcc, s[0:1]
	s_mov_b64 s[0:1], -1
	s_and_saveexec_b64 s[2:3], s[8:9]
	s_cbranch_execz .LBB530_2
; %bb.1:
	s_waitcnt lgkmcnt(0)
	v_cmp_neq_f64_e32 vcc, 1.0, v[1:2]
	v_cmp_neq_f64_e64 s[0:1], 0, v[3:4]
	s_or_b64 s[0:1], vcc, s[0:1]
	s_orn2_b64 s[0:1], s[0:1], exec
.LBB530_2:
	s_or_b64 exec, exec, s[2:3]
	s_and_saveexec_b64 s[2:3], s[0:1]
	s_cbranch_execz .LBB530_39
; %bb.3:
	s_load_dwordx4 s[0:3], s[4:5], 0x20
	s_load_dwordx2 s[14:15], s[4:5], 0x30
	s_waitcnt lgkmcnt(0)
	s_cmp_eq_u64 s[0:1], 0
	s_cbranch_scc1 .LBB530_5
; %bb.4:
	s_ashr_i32 s7, s6, 31
	s_lshl_b64 s[6:7], s[6:7], 2
	s_add_u32 s0, s0, s6
	s_addc_u32 s1, s1, s7
	s_load_dword s0, s[0:1], 0x0
	s_waitcnt lgkmcnt(0)
	s_sub_i32 s6, s0, s10
.LBB530_5:
	s_load_dword s0, s[4:5], 0x4
	s_load_dwordx2 s[8:9], s[4:5], 0x60
	v_mul_u32_u24_e32 v13, 0xd7a, v0
	v_mov_b32_e32 v14, 19
	v_mul_lo_u16_sdwa v15, v13, v14 dst_sel:DWORD dst_unused:UNUSED_PAD src0_sel:WORD_1 src1_sel:DWORD
	s_waitcnt lgkmcnt(0)
	s_cmp_eq_u32 s0, 1
	s_cselect_b64 vcc, -1, 0
	s_cmp_lg_u32 s0, 1
	s_cselect_b64 s[12:13], -1, 0
	s_ashr_i32 s7, s6, 31
	s_lshl_b64 s[0:1], s[6:7], 2
	s_add_u32 s2, s2, s0
	s_addc_u32 s3, s3, s1
	s_load_dword s7, s[2:3], 0x0
	s_add_u32 s2, s2, 4
	s_addc_u32 s3, s3, 0
	s_add_u32 s0, s14, s0
	s_addc_u32 s1, s15, s1
	s_cmp_eq_u64 s[14:15], 0
	s_cselect_b32 s1, s3, s1
	s_cselect_b32 s0, s2, s0
	s_load_dword s11, s[0:1], 0x0
	v_mov_b32_e32 v11, 0
	v_mov_b32_e32 v9, 0
	;; [unrolled: 1-line block ×4, first 2 shown]
	s_waitcnt lgkmcnt(0)
	s_cmp_ge_i32 s7, s11
	v_sub_u16_e32 v18, v0, v15
	s_cbranch_scc1 .LBB530_10
; %bb.6:
	s_load_dwordx2 s[14:15], s[4:5], 0x48
	s_load_dwordx4 s[0:3], s[4:5], 0x38
	v_mov_b32_e32 v9, 14
	v_mul_lo_u16_sdwa v9, v13, v9 dst_sel:DWORD dst_unused:UNUSED_PAD src0_sel:WORD_1 src1_sel:DWORD
	v_mul_lo_u16_sdwa v9, v9, v14 dst_sel:DWORD dst_unused:UNUSED_PAD src0_sel:BYTE_1 src1_sel:DWORD
	s_sub_i32 s5, s7, s10
	s_sub_i32 s4, s11, s10
	v_sub_u16_sdwa v9, v13, v9 dst_sel:DWORD dst_unused:UNUSED_PAD src0_sel:WORD_1 src1_sel:DWORD
	s_mul_i32 s11, s5, 0xb48
	v_and_b32_e32 v9, 0xff, v9
	s_mul_hi_i32 s7, s5, 0xb48
	s_waitcnt lgkmcnt(0)
	s_add_u32 s2, s2, s11
	v_cndmask_b32_e32 v13, v18, v9, vcc
	s_addc_u32 s3, s3, s7
	v_lshlrev_b32_e32 v9, 3, v0
	v_mov_b32_e32 v10, s3
	v_add_co_u32_e32 v14, vcc, s2, v9
	v_mov_b32_e32 v11, 0
	v_addc_co_u32_e32 v15, vcc, 0, v10, vcc
	s_movk_i32 s2, 0xb6
	v_mov_b32_e32 v12, 0
	v_mov_b32_e32 v9, v11
	v_mul_u32_u24_sdwa v19, v0, s2 dst_sel:DWORD dst_unused:UNUSED_PAD src0_sel:WORD_0 src1_sel:DWORD
	v_mov_b32_e32 v10, v12
	s_branch .LBB530_8
.LBB530_7:                              ;   in Loop: Header=BB530_8 Depth=1
	s_or_b64 exec, exec, s[2:3]
	s_add_i32 s5, s5, 1
	s_cmp_lt_i32 s5, s4
	s_cbranch_scc0 .LBB530_10
.LBB530_8:                              ; =>This Inner Loop Header: Depth=1
	v_add_u32_sdwa v16, v19, s5 dst_sel:DWORD dst_unused:UNUSED_PAD src0_sel:WORD_1 src1_sel:DWORD
	v_cmp_gt_i32_e32 vcc, s4, v16
	s_and_saveexec_b64 s[2:3], vcc
	s_cbranch_execz .LBB530_7
; %bb.9:                                ;   in Loop: Header=BB530_8 Depth=1
	v_ashrrev_i32_e32 v17, 31, v16
	v_lshlrev_b64 v[16:17], 2, v[16:17]
	v_mov_b32_e32 v20, s1
	v_add_co_u32_e32 v16, vcc, s0, v16
	v_addc_co_u32_e32 v17, vcc, v20, v17, vcc
	global_load_dword v16, v[16:17], off
	v_mov_b32_e32 v20, s15
	global_load_dwordx2 v[24:25], v[14:15], off
	s_waitcnt vmcnt(1)
	v_subrev_u32_e32 v16, s10, v16
	v_mad_u64_u32 v[16:17], s[16:17], v16, 19, v[13:14]
	v_ashrrev_i32_e32 v17, 31, v16
	v_lshlrev_b64 v[16:17], 4, v[16:17]
	v_add_co_u32_e32 v16, vcc, s14, v16
	v_addc_co_u32_e32 v17, vcc, v20, v17, vcc
	global_load_dwordx4 v[20:23], v[16:17], off
	s_waitcnt vmcnt(1)
	v_cvt_f64_f32_e32 v[16:17], v24
	v_cvt_f64_f32_e32 v[24:25], v25
	v_add_co_u32_e32 v14, vcc, 0xb48, v14
	v_addc_co_u32_e32 v15, vcc, 0, v15, vcc
	s_waitcnt vmcnt(0)
	v_fma_f64 v[9:10], v[16:17], v[20:21], v[9:10]
	v_fma_f64 v[11:12], v[24:25], v[20:21], v[11:12]
	v_fma_f64 v[9:10], -v[24:25], v[22:23], v[9:10]
	v_fma_f64 v[11:12], v[16:17], v[22:23], v[11:12]
	s_branch .LBB530_7
.LBB530_10:
	v_lshlrev_b32_e32 v17, 4, v0
	s_and_b64 vcc, exec, s[12:13]
	ds_write_b128 v17, v[9:12]
	s_waitcnt lgkmcnt(0)
	s_barrier
	s_cbranch_vccz .LBB530_22
; %bb.11:
	v_cmp_gt_u16_e32 vcc, 3, v18
	s_and_saveexec_b64 s[0:1], vcc
	s_cbranch_execz .LBB530_13
; %bb.12:
	ds_read_b128 v[13:16], v17 offset:256
	ds_read_b128 v[19:22], v17
	s_waitcnt lgkmcnt(0)
	v_add_f64 v[13:14], v[13:14], v[19:20]
	v_add_f64 v[15:16], v[15:16], v[21:22]
	ds_write_b128 v17, v[13:16]
.LBB530_13:
	s_or_b64 exec, exec, s[0:1]
	v_cmp_gt_u16_e32 vcc, 8, v18
	s_waitcnt lgkmcnt(0)
	s_barrier
	s_and_saveexec_b64 s[0:1], vcc
	s_cbranch_execz .LBB530_15
; %bb.14:
	ds_read_b128 v[13:16], v17 offset:128
	ds_read_b128 v[19:22], v17
	s_waitcnt lgkmcnt(0)
	v_add_f64 v[13:14], v[13:14], v[19:20]
	v_add_f64 v[15:16], v[15:16], v[21:22]
	ds_write_b128 v17, v[13:16]
.LBB530_15:
	s_or_b64 exec, exec, s[0:1]
	v_cmp_gt_u16_e32 vcc, 4, v18
	s_waitcnt lgkmcnt(0)
	s_barrier
	;; [unrolled: 14-line block ×3, first 2 shown]
	s_and_saveexec_b64 s[0:1], vcc
	s_cbranch_execz .LBB530_19
; %bb.18:
	ds_read_b128 v[13:16], v17
	ds_read_b128 v[18:21], v17 offset:32
	s_waitcnt lgkmcnt(0)
	v_add_f64 v[13:14], v[18:19], v[13:14]
	v_add_f64 v[15:16], v[20:21], v[15:16]
	ds_write_b128 v17, v[13:16]
.LBB530_19:
	s_or_b64 exec, exec, s[0:1]
	v_mov_b32_e32 v16, v12
	v_mov_b32_e32 v14, v10
	v_cmp_gt_u32_e32 vcc, 19, v0
	v_mov_b32_e32 v15, v11
	v_mov_b32_e32 v13, v9
	s_waitcnt lgkmcnt(0)
	s_barrier
	s_and_saveexec_b64 s[0:1], vcc
	s_cbranch_execz .LBB530_21
; %bb.20:
	s_movk_i32 s2, 0x120
	v_mad_u32_u24 v18, v0, s2, v17
	ds_read_b128 v[13:16], v18
	ds_read_b128 v[18:21], v18 offset:16
	s_waitcnt lgkmcnt(0)
	v_add_f64 v[13:14], v[18:19], v[13:14]
	v_add_f64 v[15:16], v[20:21], v[15:16]
.LBB530_21:
	s_or_b64 exec, exec, s[0:1]
	s_branch .LBB530_34
.LBB530_22:
                                        ; implicit-def: $vgpr15_vgpr16
                                        ; implicit-def: $vgpr13_vgpr14
	s_cbranch_execz .LBB530_34
; %bb.23:
	v_cmp_gt_u32_e32 vcc, 57, v0
	s_and_saveexec_b64 s[0:1], vcc
	s_cbranch_execz .LBB530_25
; %bb.24:
	ds_read_b128 v[13:16], v17 offset:4864
	ds_read_b128 v[18:21], v17
	s_waitcnt lgkmcnt(0)
	v_add_f64 v[13:14], v[13:14], v[18:19]
	v_add_f64 v[15:16], v[15:16], v[20:21]
	ds_write_b128 v17, v[13:16]
.LBB530_25:
	s_or_b64 exec, exec, s[0:1]
	s_movk_i32 s0, 0x98
	v_cmp_gt_u32_e32 vcc, s0, v0
	s_waitcnt lgkmcnt(0)
	s_barrier
	s_and_saveexec_b64 s[0:1], vcc
	s_cbranch_execz .LBB530_27
; %bb.26:
	ds_read_b128 v[13:16], v17 offset:2432
	ds_read_b128 v[18:21], v17
	s_waitcnt lgkmcnt(0)
	v_add_f64 v[13:14], v[13:14], v[18:19]
	v_add_f64 v[15:16], v[15:16], v[20:21]
	ds_write_b128 v17, v[13:16]
.LBB530_27:
	s_or_b64 exec, exec, s[0:1]
	s_movk_i32 s0, 0x4c
	v_cmp_gt_u32_e32 vcc, s0, v0
	s_waitcnt lgkmcnt(0)
	s_barrier
	s_and_saveexec_b64 s[0:1], vcc
	s_cbranch_execz .LBB530_29
; %bb.28:
	ds_read_b128 v[13:16], v17 offset:1216
	ds_read_b128 v[18:21], v17
	s_waitcnt lgkmcnt(0)
	v_add_f64 v[13:14], v[13:14], v[18:19]
	v_add_f64 v[15:16], v[15:16], v[20:21]
	ds_write_b128 v17, v[13:16]
.LBB530_29:
	s_or_b64 exec, exec, s[0:1]
	v_cmp_gt_u32_e32 vcc, 38, v0
	s_waitcnt lgkmcnt(0)
	s_barrier
	s_and_saveexec_b64 s[0:1], vcc
	s_cbranch_execz .LBB530_31
; %bb.30:
	ds_read_b128 v[13:16], v17 offset:608
	ds_read_b128 v[18:21], v17
	s_waitcnt lgkmcnt(0)
	v_add_f64 v[13:14], v[13:14], v[18:19]
	v_add_f64 v[15:16], v[15:16], v[20:21]
	ds_write_b128 v17, v[13:16]
.LBB530_31:
	s_or_b64 exec, exec, s[0:1]
	v_cmp_gt_u32_e32 vcc, 19, v0
	s_waitcnt lgkmcnt(0)
	s_and_saveexec_b64 s[0:1], vcc
	s_cbranch_execz .LBB530_33
; %bb.32:
	ds_read_b128 v[9:12], v17 offset:304
	ds_read_b128 v[13:16], v17
	s_waitcnt lgkmcnt(0)
	v_add_f64 v[9:10], v[9:10], v[13:14]
	v_add_f64 v[11:12], v[11:12], v[15:16]
.LBB530_33:
	s_or_b64 exec, exec, s[0:1]
	v_mov_b32_e32 v16, v12
	v_mov_b32_e32 v14, v10
	;; [unrolled: 1-line block ×4, first 2 shown]
.LBB530_34:
	v_cmp_gt_u32_e32 vcc, 19, v0
	s_and_b64 exec, exec, vcc
	s_cbranch_execz .LBB530_39
; %bb.35:
	v_mul_f64 v[9:10], v[15:16], -v[7:8]
	v_mul_f64 v[11:12], v[5:6], v[15:16]
	v_cmp_eq_f64_e32 vcc, 0, v[1:2]
	v_cmp_eq_f64_e64 s[0:1], 0, v[3:4]
	v_fma_f64 v[5:6], v[5:6], v[13:14], v[9:10]
	v_fma_f64 v[7:8], v[7:8], v[13:14], v[11:12]
	s_and_b64 s[0:1], vcc, s[0:1]
	s_and_saveexec_b64 s[2:3], s[0:1]
	s_xor_b64 s[0:1], exec, s[2:3]
	s_cbranch_execz .LBB530_37
; %bb.36:
	v_mad_u64_u32 v[0:1], s[2:3], s6, 19, v[0:1]
	v_mov_b32_e32 v1, 0
	v_mov_b32_e32 v2, s9
	v_lshlrev_b64 v[0:1], 4, v[0:1]
	v_add_co_u32_e32 v0, vcc, s8, v0
	v_addc_co_u32_e32 v1, vcc, v2, v1, vcc
	global_store_dwordx4 v[0:1], v[5:8], off
                                        ; implicit-def: $vgpr0
                                        ; implicit-def: $vgpr1_vgpr2
                                        ; implicit-def: $vgpr5_vgpr6
.LBB530_37:
	s_andn2_saveexec_b64 s[0:1], s[0:1]
	s_cbranch_execz .LBB530_39
; %bb.38:
	v_mad_u64_u32 v[9:10], s[0:1], s6, 19, v[0:1]
	v_mov_b32_e32 v10, 0
	v_mov_b32_e32 v0, s9
	v_lshlrev_b64 v[9:10], 4, v[9:10]
	v_add_co_u32_e32 v13, vcc, s8, v9
	v_addc_co_u32_e32 v14, vcc, v0, v10, vcc
	global_load_dwordx4 v[9:12], v[13:14], off
	s_waitcnt vmcnt(0)
	v_fma_f64 v[5:6], v[1:2], v[9:10], v[5:6]
	v_fma_f64 v[7:8], v[3:4], v[9:10], v[7:8]
	v_fma_f64 v[3:4], -v[3:4], v[11:12], v[5:6]
	v_fma_f64 v[5:6], v[1:2], v[11:12], v[7:8]
	global_store_dwordx4 v[13:14], v[3:6], off
.LBB530_39:
	s_endpgm
	.section	.rodata,"a",@progbits
	.p2align	6, 0x0
	.amdhsa_kernel _ZN9rocsparseL20bsrxmvn_17_32_kernelILj19E21rocsparse_complex_numIdEiiS1_IfES2_S2_EEvT2_20rocsparse_direction_NS_24const_host_device_scalarIT0_EES4_PKS4_PKT1_SD_SA_PKT3_PKT4_S8_PT5_21rocsparse_index_base_b
		.amdhsa_group_segment_fixed_size 5776
		.amdhsa_private_segment_fixed_size 0
		.amdhsa_kernarg_size 112
		.amdhsa_user_sgpr_count 6
		.amdhsa_user_sgpr_private_segment_buffer 1
		.amdhsa_user_sgpr_dispatch_ptr 0
		.amdhsa_user_sgpr_queue_ptr 0
		.amdhsa_user_sgpr_kernarg_segment_ptr 1
		.amdhsa_user_sgpr_dispatch_id 0
		.amdhsa_user_sgpr_flat_scratch_init 0
		.amdhsa_user_sgpr_private_segment_size 0
		.amdhsa_uses_dynamic_stack 0
		.amdhsa_system_sgpr_private_segment_wavefront_offset 0
		.amdhsa_system_sgpr_workgroup_id_x 1
		.amdhsa_system_sgpr_workgroup_id_y 0
		.amdhsa_system_sgpr_workgroup_id_z 0
		.amdhsa_system_sgpr_workgroup_info 0
		.amdhsa_system_vgpr_workitem_id 0
		.amdhsa_next_free_vgpr 26
		.amdhsa_next_free_sgpr 61
		.amdhsa_reserve_vcc 1
		.amdhsa_reserve_flat_scratch 0
		.amdhsa_float_round_mode_32 0
		.amdhsa_float_round_mode_16_64 0
		.amdhsa_float_denorm_mode_32 3
		.amdhsa_float_denorm_mode_16_64 3
		.amdhsa_dx10_clamp 1
		.amdhsa_ieee_mode 1
		.amdhsa_fp16_overflow 0
		.amdhsa_exception_fp_ieee_invalid_op 0
		.amdhsa_exception_fp_denorm_src 0
		.amdhsa_exception_fp_ieee_div_zero 0
		.amdhsa_exception_fp_ieee_overflow 0
		.amdhsa_exception_fp_ieee_underflow 0
		.amdhsa_exception_fp_ieee_inexact 0
		.amdhsa_exception_int_div_zero 0
	.end_amdhsa_kernel
	.section	.text._ZN9rocsparseL20bsrxmvn_17_32_kernelILj19E21rocsparse_complex_numIdEiiS1_IfES2_S2_EEvT2_20rocsparse_direction_NS_24const_host_device_scalarIT0_EES4_PKS4_PKT1_SD_SA_PKT3_PKT4_S8_PT5_21rocsparse_index_base_b,"axG",@progbits,_ZN9rocsparseL20bsrxmvn_17_32_kernelILj19E21rocsparse_complex_numIdEiiS1_IfES2_S2_EEvT2_20rocsparse_direction_NS_24const_host_device_scalarIT0_EES4_PKS4_PKT1_SD_SA_PKT3_PKT4_S8_PT5_21rocsparse_index_base_b,comdat
.Lfunc_end530:
	.size	_ZN9rocsparseL20bsrxmvn_17_32_kernelILj19E21rocsparse_complex_numIdEiiS1_IfES2_S2_EEvT2_20rocsparse_direction_NS_24const_host_device_scalarIT0_EES4_PKS4_PKT1_SD_SA_PKT3_PKT4_S8_PT5_21rocsparse_index_base_b, .Lfunc_end530-_ZN9rocsparseL20bsrxmvn_17_32_kernelILj19E21rocsparse_complex_numIdEiiS1_IfES2_S2_EEvT2_20rocsparse_direction_NS_24const_host_device_scalarIT0_EES4_PKS4_PKT1_SD_SA_PKT3_PKT4_S8_PT5_21rocsparse_index_base_b
                                        ; -- End function
	.set _ZN9rocsparseL20bsrxmvn_17_32_kernelILj19E21rocsparse_complex_numIdEiiS1_IfES2_S2_EEvT2_20rocsparse_direction_NS_24const_host_device_scalarIT0_EES4_PKS4_PKT1_SD_SA_PKT3_PKT4_S8_PT5_21rocsparse_index_base_b.num_vgpr, 26
	.set _ZN9rocsparseL20bsrxmvn_17_32_kernelILj19E21rocsparse_complex_numIdEiiS1_IfES2_S2_EEvT2_20rocsparse_direction_NS_24const_host_device_scalarIT0_EES4_PKS4_PKT1_SD_SA_PKT3_PKT4_S8_PT5_21rocsparse_index_base_b.num_agpr, 0
	.set _ZN9rocsparseL20bsrxmvn_17_32_kernelILj19E21rocsparse_complex_numIdEiiS1_IfES2_S2_EEvT2_20rocsparse_direction_NS_24const_host_device_scalarIT0_EES4_PKS4_PKT1_SD_SA_PKT3_PKT4_S8_PT5_21rocsparse_index_base_b.numbered_sgpr, 18
	.set _ZN9rocsparseL20bsrxmvn_17_32_kernelILj19E21rocsparse_complex_numIdEiiS1_IfES2_S2_EEvT2_20rocsparse_direction_NS_24const_host_device_scalarIT0_EES4_PKS4_PKT1_SD_SA_PKT3_PKT4_S8_PT5_21rocsparse_index_base_b.num_named_barrier, 0
	.set _ZN9rocsparseL20bsrxmvn_17_32_kernelILj19E21rocsparse_complex_numIdEiiS1_IfES2_S2_EEvT2_20rocsparse_direction_NS_24const_host_device_scalarIT0_EES4_PKS4_PKT1_SD_SA_PKT3_PKT4_S8_PT5_21rocsparse_index_base_b.private_seg_size, 0
	.set _ZN9rocsparseL20bsrxmvn_17_32_kernelILj19E21rocsparse_complex_numIdEiiS1_IfES2_S2_EEvT2_20rocsparse_direction_NS_24const_host_device_scalarIT0_EES4_PKS4_PKT1_SD_SA_PKT3_PKT4_S8_PT5_21rocsparse_index_base_b.uses_vcc, 1
	.set _ZN9rocsparseL20bsrxmvn_17_32_kernelILj19E21rocsparse_complex_numIdEiiS1_IfES2_S2_EEvT2_20rocsparse_direction_NS_24const_host_device_scalarIT0_EES4_PKS4_PKT1_SD_SA_PKT3_PKT4_S8_PT5_21rocsparse_index_base_b.uses_flat_scratch, 0
	.set _ZN9rocsparseL20bsrxmvn_17_32_kernelILj19E21rocsparse_complex_numIdEiiS1_IfES2_S2_EEvT2_20rocsparse_direction_NS_24const_host_device_scalarIT0_EES4_PKS4_PKT1_SD_SA_PKT3_PKT4_S8_PT5_21rocsparse_index_base_b.has_dyn_sized_stack, 0
	.set _ZN9rocsparseL20bsrxmvn_17_32_kernelILj19E21rocsparse_complex_numIdEiiS1_IfES2_S2_EEvT2_20rocsparse_direction_NS_24const_host_device_scalarIT0_EES4_PKS4_PKT1_SD_SA_PKT3_PKT4_S8_PT5_21rocsparse_index_base_b.has_recursion, 0
	.set _ZN9rocsparseL20bsrxmvn_17_32_kernelILj19E21rocsparse_complex_numIdEiiS1_IfES2_S2_EEvT2_20rocsparse_direction_NS_24const_host_device_scalarIT0_EES4_PKS4_PKT1_SD_SA_PKT3_PKT4_S8_PT5_21rocsparse_index_base_b.has_indirect_call, 0
	.section	.AMDGPU.csdata,"",@progbits
; Kernel info:
; codeLenInByte = 1648
; TotalNumSgprs: 22
; NumVgprs: 26
; ScratchSize: 0
; MemoryBound: 0
; FloatMode: 240
; IeeeMode: 1
; LDSByteSize: 5776 bytes/workgroup (compile time only)
; SGPRBlocks: 8
; VGPRBlocks: 6
; NumSGPRsForWavesPerEU: 65
; NumVGPRsForWavesPerEU: 26
; Occupancy: 9
; WaveLimiterHint : 1
; COMPUTE_PGM_RSRC2:SCRATCH_EN: 0
; COMPUTE_PGM_RSRC2:USER_SGPR: 6
; COMPUTE_PGM_RSRC2:TRAP_HANDLER: 0
; COMPUTE_PGM_RSRC2:TGID_X_EN: 1
; COMPUTE_PGM_RSRC2:TGID_Y_EN: 0
; COMPUTE_PGM_RSRC2:TGID_Z_EN: 0
; COMPUTE_PGM_RSRC2:TIDIG_COMP_CNT: 0
	.section	.text._ZN9rocsparseL20bsrxmvn_17_32_kernelILj20E21rocsparse_complex_numIdEiiS1_IfES2_S2_EEvT2_20rocsparse_direction_NS_24const_host_device_scalarIT0_EES4_PKS4_PKT1_SD_SA_PKT3_PKT4_S8_PT5_21rocsparse_index_base_b,"axG",@progbits,_ZN9rocsparseL20bsrxmvn_17_32_kernelILj20E21rocsparse_complex_numIdEiiS1_IfES2_S2_EEvT2_20rocsparse_direction_NS_24const_host_device_scalarIT0_EES4_PKS4_PKT1_SD_SA_PKT3_PKT4_S8_PT5_21rocsparse_index_base_b,comdat
	.globl	_ZN9rocsparseL20bsrxmvn_17_32_kernelILj20E21rocsparse_complex_numIdEiiS1_IfES2_S2_EEvT2_20rocsparse_direction_NS_24const_host_device_scalarIT0_EES4_PKS4_PKT1_SD_SA_PKT3_PKT4_S8_PT5_21rocsparse_index_base_b ; -- Begin function _ZN9rocsparseL20bsrxmvn_17_32_kernelILj20E21rocsparse_complex_numIdEiiS1_IfES2_S2_EEvT2_20rocsparse_direction_NS_24const_host_device_scalarIT0_EES4_PKS4_PKT1_SD_SA_PKT3_PKT4_S8_PT5_21rocsparse_index_base_b
	.p2align	8
	.type	_ZN9rocsparseL20bsrxmvn_17_32_kernelILj20E21rocsparse_complex_numIdEiiS1_IfES2_S2_EEvT2_20rocsparse_direction_NS_24const_host_device_scalarIT0_EES4_PKS4_PKT1_SD_SA_PKT3_PKT4_S8_PT5_21rocsparse_index_base_b,@function
_ZN9rocsparseL20bsrxmvn_17_32_kernelILj20E21rocsparse_complex_numIdEiiS1_IfES2_S2_EEvT2_20rocsparse_direction_NS_24const_host_device_scalarIT0_EES4_PKS4_PKT1_SD_SA_PKT3_PKT4_S8_PT5_21rocsparse_index_base_b: ; @_ZN9rocsparseL20bsrxmvn_17_32_kernelILj20E21rocsparse_complex_numIdEiiS1_IfES2_S2_EEvT2_20rocsparse_direction_NS_24const_host_device_scalarIT0_EES4_PKS4_PKT1_SD_SA_PKT3_PKT4_S8_PT5_21rocsparse_index_base_b
; %bb.0:
	s_load_dwordx2 s[0:1], s[4:5], 0x8
	s_load_dwordx2 s[10:11], s[4:5], 0x68
	s_add_u32 s7, s4, 8
	s_addc_u32 s8, s5, 0
	s_add_u32 s9, s4, 0x50
	s_addc_u32 s12, s5, 0
	s_waitcnt lgkmcnt(0)
	s_bitcmp1_b32 s11, 0
	s_cselect_b32 s1, s8, s1
	s_cselect_b32 s0, s7, s0
	v_mov_b32_e32 v1, s0
	v_mov_b32_e32 v2, s1
	flat_load_dwordx4 v[5:8], v[1:2]
	s_load_dwordx2 s[2:3], s[4:5], 0x50
	s_waitcnt lgkmcnt(0)
	s_cselect_b32 s0, s12, s3
	s_cselect_b32 s1, s9, s2
	v_mov_b32_e32 v1, s1
	v_mov_b32_e32 v2, s0
	flat_load_dwordx4 v[1:4], v[1:2]
	s_waitcnt vmcnt(0)
	v_cmp_eq_f64_e32 vcc, 0, v[5:6]
	v_cmp_eq_f64_e64 s[0:1], 0, v[7:8]
	s_and_b64 s[8:9], vcc, s[0:1]
	s_mov_b64 s[0:1], -1
	s_and_saveexec_b64 s[2:3], s[8:9]
	s_cbranch_execz .LBB531_2
; %bb.1:
	s_waitcnt lgkmcnt(0)
	v_cmp_neq_f64_e32 vcc, 1.0, v[1:2]
	v_cmp_neq_f64_e64 s[0:1], 0, v[3:4]
	s_or_b64 s[0:1], vcc, s[0:1]
	s_orn2_b64 s[0:1], s[0:1], exec
.LBB531_2:
	s_or_b64 exec, exec, s[2:3]
	s_and_saveexec_b64 s[2:3], s[0:1]
	s_cbranch_execz .LBB531_39
; %bb.3:
	s_load_dwordx4 s[0:3], s[4:5], 0x20
	s_load_dwordx2 s[14:15], s[4:5], 0x30
	s_waitcnt lgkmcnt(0)
	s_cmp_eq_u64 s[0:1], 0
	s_cbranch_scc1 .LBB531_5
; %bb.4:
	s_ashr_i32 s7, s6, 31
	s_lshl_b64 s[6:7], s[6:7], 2
	s_add_u32 s0, s0, s6
	s_addc_u32 s1, s1, s7
	s_load_dword s0, s[0:1], 0x0
	s_waitcnt lgkmcnt(0)
	s_sub_i32 s6, s0, s10
.LBB531_5:
	s_load_dword s0, s[4:5], 0x4
	s_load_dwordx2 s[8:9], s[4:5], 0x60
	v_mul_u32_u24_e32 v13, 0xccd, v0
	v_mov_b32_e32 v14, 20
	v_mul_lo_u16_sdwa v15, v13, v14 dst_sel:DWORD dst_unused:UNUSED_PAD src0_sel:WORD_1 src1_sel:DWORD
	s_waitcnt lgkmcnt(0)
	s_cmp_eq_u32 s0, 1
	s_cselect_b64 vcc, -1, 0
	s_cmp_lg_u32 s0, 1
	s_cselect_b64 s[12:13], -1, 0
	s_ashr_i32 s7, s6, 31
	s_lshl_b64 s[0:1], s[6:7], 2
	s_add_u32 s2, s2, s0
	s_addc_u32 s3, s3, s1
	s_load_dword s7, s[2:3], 0x0
	s_add_u32 s2, s2, 4
	s_addc_u32 s3, s3, 0
	s_add_u32 s0, s14, s0
	s_addc_u32 s1, s15, s1
	s_cmp_eq_u64 s[14:15], 0
	s_cselect_b32 s1, s3, s1
	s_cselect_b32 s0, s2, s0
	s_load_dword s11, s[0:1], 0x0
	v_mov_b32_e32 v11, 0
	v_mov_b32_e32 v9, 0
	v_mov_b32_e32 v12, 0
	v_mov_b32_e32 v10, 0
	s_waitcnt lgkmcnt(0)
	s_cmp_ge_i32 s7, s11
	v_sub_u16_e32 v18, v0, v15
	s_cbranch_scc1 .LBB531_10
; %bb.6:
	s_load_dwordx2 s[14:15], s[4:5], 0x48
	s_load_dwordx4 s[0:3], s[4:5], 0x38
	v_mov_b32_e32 v9, 13
	v_mul_lo_u16_sdwa v9, v13, v9 dst_sel:DWORD dst_unused:UNUSED_PAD src0_sel:WORD_1 src1_sel:DWORD
	v_mul_lo_u16_sdwa v9, v9, v14 dst_sel:DWORD dst_unused:UNUSED_PAD src0_sel:BYTE_1 src1_sel:DWORD
	s_sub_i32 s5, s7, s10
	s_sub_i32 s4, s11, s10
	v_sub_u16_sdwa v9, v13, v9 dst_sel:DWORD dst_unused:UNUSED_PAD src0_sel:WORD_1 src1_sel:DWORD
	s_mul_i32 s11, s5, 0xc80
	v_and_b32_e32 v9, 0xff, v9
	s_mul_hi_i32 s7, s5, 0xc80
	s_waitcnt lgkmcnt(0)
	s_add_u32 s2, s2, s11
	v_cndmask_b32_e32 v13, v18, v9, vcc
	s_addc_u32 s3, s3, s7
	v_lshlrev_b32_e32 v9, 3, v0
	v_mov_b32_e32 v10, s3
	v_add_co_u32_e32 v14, vcc, s2, v9
	v_mov_b32_e32 v11, 0
	v_addc_co_u32_e32 v15, vcc, 0, v10, vcc
	s_movk_i32 s2, 0xa4
	v_mov_b32_e32 v12, 0
	v_mov_b32_e32 v9, v11
	v_mul_u32_u24_sdwa v19, v0, s2 dst_sel:DWORD dst_unused:UNUSED_PAD src0_sel:WORD_0 src1_sel:DWORD
	v_mov_b32_e32 v10, v12
	s_branch .LBB531_8
.LBB531_7:                              ;   in Loop: Header=BB531_8 Depth=1
	s_or_b64 exec, exec, s[2:3]
	s_add_i32 s5, s5, 1
	s_cmp_lt_i32 s5, s4
	s_cbranch_scc0 .LBB531_10
.LBB531_8:                              ; =>This Inner Loop Header: Depth=1
	v_add_u32_sdwa v16, v19, s5 dst_sel:DWORD dst_unused:UNUSED_PAD src0_sel:WORD_1 src1_sel:DWORD
	v_cmp_gt_i32_e32 vcc, s4, v16
	s_and_saveexec_b64 s[2:3], vcc
	s_cbranch_execz .LBB531_7
; %bb.9:                                ;   in Loop: Header=BB531_8 Depth=1
	v_ashrrev_i32_e32 v17, 31, v16
	v_lshlrev_b64 v[16:17], 2, v[16:17]
	v_mov_b32_e32 v20, s1
	v_add_co_u32_e32 v16, vcc, s0, v16
	v_addc_co_u32_e32 v17, vcc, v20, v17, vcc
	global_load_dword v16, v[16:17], off
	v_mov_b32_e32 v20, s15
	global_load_dwordx2 v[24:25], v[14:15], off
	s_waitcnt vmcnt(1)
	v_subrev_u32_e32 v16, s10, v16
	v_mad_u64_u32 v[16:17], s[16:17], v16, 20, v[13:14]
	v_ashrrev_i32_e32 v17, 31, v16
	v_lshlrev_b64 v[16:17], 4, v[16:17]
	v_add_co_u32_e32 v16, vcc, s14, v16
	v_addc_co_u32_e32 v17, vcc, v20, v17, vcc
	global_load_dwordx4 v[20:23], v[16:17], off
	s_waitcnt vmcnt(1)
	v_cvt_f64_f32_e32 v[16:17], v24
	v_cvt_f64_f32_e32 v[24:25], v25
	v_add_co_u32_e32 v14, vcc, 0xc80, v14
	v_addc_co_u32_e32 v15, vcc, 0, v15, vcc
	s_waitcnt vmcnt(0)
	v_fma_f64 v[9:10], v[16:17], v[20:21], v[9:10]
	v_fma_f64 v[11:12], v[24:25], v[20:21], v[11:12]
	v_fma_f64 v[9:10], -v[24:25], v[22:23], v[9:10]
	v_fma_f64 v[11:12], v[16:17], v[22:23], v[11:12]
	s_branch .LBB531_7
.LBB531_10:
	v_lshlrev_b32_e32 v17, 4, v0
	s_and_b64 vcc, exec, s[12:13]
	ds_write_b128 v17, v[9:12]
	s_waitcnt lgkmcnt(0)
	s_barrier
	s_cbranch_vccz .LBB531_22
; %bb.11:
	v_cmp_gt_u16_e32 vcc, 4, v18
	s_and_saveexec_b64 s[0:1], vcc
	s_cbranch_execz .LBB531_13
; %bb.12:
	ds_read_b128 v[13:16], v17 offset:256
	ds_read_b128 v[19:22], v17
	s_waitcnt lgkmcnt(0)
	v_add_f64 v[13:14], v[13:14], v[19:20]
	v_add_f64 v[15:16], v[15:16], v[21:22]
	ds_write_b128 v17, v[13:16]
.LBB531_13:
	s_or_b64 exec, exec, s[0:1]
	v_cmp_gt_u16_e64 s[0:1], 8, v18
	s_waitcnt lgkmcnt(0)
	s_barrier
	s_and_saveexec_b64 s[2:3], s[0:1]
	s_cbranch_execz .LBB531_15
; %bb.14:
	ds_read_b128 v[13:16], v17 offset:128
	ds_read_b128 v[19:22], v17
	s_waitcnt lgkmcnt(0)
	v_add_f64 v[13:14], v[13:14], v[19:20]
	v_add_f64 v[15:16], v[15:16], v[21:22]
	ds_write_b128 v17, v[13:16]
.LBB531_15:
	s_or_b64 exec, exec, s[2:3]
	s_waitcnt lgkmcnt(0)
	s_barrier
	s_and_saveexec_b64 s[0:1], vcc
	s_cbranch_execz .LBB531_17
; %bb.16:
	ds_read_b128 v[13:16], v17 offset:64
	ds_read_b128 v[19:22], v17
	s_waitcnt lgkmcnt(0)
	v_add_f64 v[13:14], v[13:14], v[19:20]
	v_add_f64 v[15:16], v[15:16], v[21:22]
	ds_write_b128 v17, v[13:16]
.LBB531_17:
	s_or_b64 exec, exec, s[0:1]
	v_cmp_gt_u16_e32 vcc, 2, v18
	s_waitcnt lgkmcnt(0)
	s_barrier
	s_and_saveexec_b64 s[0:1], vcc
	s_cbranch_execz .LBB531_19
; %bb.18:
	ds_read_b128 v[13:16], v17
	ds_read_b128 v[18:21], v17 offset:32
	s_waitcnt lgkmcnt(0)
	v_add_f64 v[13:14], v[18:19], v[13:14]
	v_add_f64 v[15:16], v[20:21], v[15:16]
	ds_write_b128 v17, v[13:16]
.LBB531_19:
	s_or_b64 exec, exec, s[0:1]
	v_mov_b32_e32 v16, v12
	v_mov_b32_e32 v14, v10
	v_cmp_gt_u32_e32 vcc, 20, v0
	v_mov_b32_e32 v15, v11
	v_mov_b32_e32 v13, v9
	s_waitcnt lgkmcnt(0)
	s_barrier
	s_and_saveexec_b64 s[0:1], vcc
	s_cbranch_execz .LBB531_21
; %bb.20:
	s_movk_i32 s2, 0x130
	v_mad_u32_u24 v18, v0, s2, v17
	ds_read_b128 v[13:16], v18
	ds_read_b128 v[18:21], v18 offset:16
	s_waitcnt lgkmcnt(0)
	v_add_f64 v[13:14], v[18:19], v[13:14]
	v_add_f64 v[15:16], v[20:21], v[15:16]
.LBB531_21:
	s_or_b64 exec, exec, s[0:1]
	s_branch .LBB531_34
.LBB531_22:
                                        ; implicit-def: $vgpr15_vgpr16
                                        ; implicit-def: $vgpr13_vgpr14
	s_cbranch_execz .LBB531_34
; %bb.23:
	s_movk_i32 s0, 0x50
	v_cmp_gt_u32_e32 vcc, s0, v0
	s_and_saveexec_b64 s[0:1], vcc
	s_cbranch_execz .LBB531_25
; %bb.24:
	ds_read_b128 v[13:16], v17 offset:5120
	ds_read_b128 v[18:21], v17
	s_waitcnt lgkmcnt(0)
	v_add_f64 v[13:14], v[13:14], v[18:19]
	v_add_f64 v[15:16], v[15:16], v[20:21]
	ds_write_b128 v17, v[13:16]
.LBB531_25:
	s_or_b64 exec, exec, s[0:1]
	s_movk_i32 s0, 0xa0
	v_cmp_gt_u32_e64 s[0:1], s0, v0
	s_waitcnt lgkmcnt(0)
	s_barrier
	s_and_saveexec_b64 s[2:3], s[0:1]
	s_cbranch_execz .LBB531_27
; %bb.26:
	ds_read_b128 v[13:16], v17 offset:2560
	ds_read_b128 v[18:21], v17
	s_waitcnt lgkmcnt(0)
	v_add_f64 v[13:14], v[13:14], v[18:19]
	v_add_f64 v[15:16], v[15:16], v[20:21]
	ds_write_b128 v17, v[13:16]
.LBB531_27:
	s_or_b64 exec, exec, s[2:3]
	s_waitcnt lgkmcnt(0)
	s_barrier
	s_and_saveexec_b64 s[0:1], vcc
	s_cbranch_execz .LBB531_29
; %bb.28:
	ds_read_b128 v[13:16], v17 offset:1280
	ds_read_b128 v[18:21], v17
	s_waitcnt lgkmcnt(0)
	v_add_f64 v[13:14], v[13:14], v[18:19]
	v_add_f64 v[15:16], v[15:16], v[20:21]
	ds_write_b128 v17, v[13:16]
.LBB531_29:
	s_or_b64 exec, exec, s[0:1]
	v_cmp_gt_u32_e32 vcc, 40, v0
	s_waitcnt lgkmcnt(0)
	s_barrier
	s_and_saveexec_b64 s[0:1], vcc
	s_cbranch_execz .LBB531_31
; %bb.30:
	ds_read_b128 v[13:16], v17 offset:640
	ds_read_b128 v[18:21], v17
	s_waitcnt lgkmcnt(0)
	v_add_f64 v[13:14], v[13:14], v[18:19]
	v_add_f64 v[15:16], v[15:16], v[20:21]
	ds_write_b128 v17, v[13:16]
.LBB531_31:
	s_or_b64 exec, exec, s[0:1]
	v_cmp_gt_u32_e32 vcc, 20, v0
	s_waitcnt lgkmcnt(0)
	s_and_saveexec_b64 s[0:1], vcc
	s_cbranch_execz .LBB531_33
; %bb.32:
	ds_read_b128 v[9:12], v17 offset:320
	ds_read_b128 v[13:16], v17
	s_waitcnt lgkmcnt(0)
	v_add_f64 v[9:10], v[9:10], v[13:14]
	v_add_f64 v[11:12], v[11:12], v[15:16]
.LBB531_33:
	s_or_b64 exec, exec, s[0:1]
	v_mov_b32_e32 v16, v12
	v_mov_b32_e32 v14, v10
	;; [unrolled: 1-line block ×4, first 2 shown]
.LBB531_34:
	v_cmp_gt_u32_e32 vcc, 20, v0
	s_and_b64 exec, exec, vcc
	s_cbranch_execz .LBB531_39
; %bb.35:
	v_mul_f64 v[9:10], v[15:16], -v[7:8]
	v_mul_f64 v[11:12], v[5:6], v[15:16]
	v_cmp_eq_f64_e32 vcc, 0, v[1:2]
	v_cmp_eq_f64_e64 s[0:1], 0, v[3:4]
	v_fma_f64 v[5:6], v[5:6], v[13:14], v[9:10]
	v_fma_f64 v[7:8], v[7:8], v[13:14], v[11:12]
	s_and_b64 s[0:1], vcc, s[0:1]
	s_and_saveexec_b64 s[2:3], s[0:1]
	s_xor_b64 s[0:1], exec, s[2:3]
	s_cbranch_execz .LBB531_37
; %bb.36:
	v_mad_u64_u32 v[0:1], s[2:3], s6, 20, v[0:1]
	v_mov_b32_e32 v1, 0
	v_mov_b32_e32 v2, s9
	v_lshlrev_b64 v[0:1], 4, v[0:1]
	v_add_co_u32_e32 v0, vcc, s8, v0
	v_addc_co_u32_e32 v1, vcc, v2, v1, vcc
	global_store_dwordx4 v[0:1], v[5:8], off
                                        ; implicit-def: $vgpr0
                                        ; implicit-def: $vgpr1_vgpr2
                                        ; implicit-def: $vgpr5_vgpr6
.LBB531_37:
	s_andn2_saveexec_b64 s[0:1], s[0:1]
	s_cbranch_execz .LBB531_39
; %bb.38:
	v_mad_u64_u32 v[9:10], s[0:1], s6, 20, v[0:1]
	v_mov_b32_e32 v10, 0
	v_mov_b32_e32 v0, s9
	v_lshlrev_b64 v[9:10], 4, v[9:10]
	v_add_co_u32_e32 v13, vcc, s8, v9
	v_addc_co_u32_e32 v14, vcc, v0, v10, vcc
	global_load_dwordx4 v[9:12], v[13:14], off
	s_waitcnt vmcnt(0)
	v_fma_f64 v[5:6], v[1:2], v[9:10], v[5:6]
	v_fma_f64 v[7:8], v[3:4], v[9:10], v[7:8]
	v_fma_f64 v[3:4], -v[3:4], v[11:12], v[5:6]
	v_fma_f64 v[5:6], v[1:2], v[11:12], v[7:8]
	global_store_dwordx4 v[13:14], v[3:6], off
.LBB531_39:
	s_endpgm
	.section	.rodata,"a",@progbits
	.p2align	6, 0x0
	.amdhsa_kernel _ZN9rocsparseL20bsrxmvn_17_32_kernelILj20E21rocsparse_complex_numIdEiiS1_IfES2_S2_EEvT2_20rocsparse_direction_NS_24const_host_device_scalarIT0_EES4_PKS4_PKT1_SD_SA_PKT3_PKT4_S8_PT5_21rocsparse_index_base_b
		.amdhsa_group_segment_fixed_size 6400
		.amdhsa_private_segment_fixed_size 0
		.amdhsa_kernarg_size 112
		.amdhsa_user_sgpr_count 6
		.amdhsa_user_sgpr_private_segment_buffer 1
		.amdhsa_user_sgpr_dispatch_ptr 0
		.amdhsa_user_sgpr_queue_ptr 0
		.amdhsa_user_sgpr_kernarg_segment_ptr 1
		.amdhsa_user_sgpr_dispatch_id 0
		.amdhsa_user_sgpr_flat_scratch_init 0
		.amdhsa_user_sgpr_private_segment_size 0
		.amdhsa_uses_dynamic_stack 0
		.amdhsa_system_sgpr_private_segment_wavefront_offset 0
		.amdhsa_system_sgpr_workgroup_id_x 1
		.amdhsa_system_sgpr_workgroup_id_y 0
		.amdhsa_system_sgpr_workgroup_id_z 0
		.amdhsa_system_sgpr_workgroup_info 0
		.amdhsa_system_vgpr_workitem_id 0
		.amdhsa_next_free_vgpr 26
		.amdhsa_next_free_sgpr 61
		.amdhsa_reserve_vcc 1
		.amdhsa_reserve_flat_scratch 0
		.amdhsa_float_round_mode_32 0
		.amdhsa_float_round_mode_16_64 0
		.amdhsa_float_denorm_mode_32 3
		.amdhsa_float_denorm_mode_16_64 3
		.amdhsa_dx10_clamp 1
		.amdhsa_ieee_mode 1
		.amdhsa_fp16_overflow 0
		.amdhsa_exception_fp_ieee_invalid_op 0
		.amdhsa_exception_fp_denorm_src 0
		.amdhsa_exception_fp_ieee_div_zero 0
		.amdhsa_exception_fp_ieee_overflow 0
		.amdhsa_exception_fp_ieee_underflow 0
		.amdhsa_exception_fp_ieee_inexact 0
		.amdhsa_exception_int_div_zero 0
	.end_amdhsa_kernel
	.section	.text._ZN9rocsparseL20bsrxmvn_17_32_kernelILj20E21rocsparse_complex_numIdEiiS1_IfES2_S2_EEvT2_20rocsparse_direction_NS_24const_host_device_scalarIT0_EES4_PKS4_PKT1_SD_SA_PKT3_PKT4_S8_PT5_21rocsparse_index_base_b,"axG",@progbits,_ZN9rocsparseL20bsrxmvn_17_32_kernelILj20E21rocsparse_complex_numIdEiiS1_IfES2_S2_EEvT2_20rocsparse_direction_NS_24const_host_device_scalarIT0_EES4_PKS4_PKT1_SD_SA_PKT3_PKT4_S8_PT5_21rocsparse_index_base_b,comdat
.Lfunc_end531:
	.size	_ZN9rocsparseL20bsrxmvn_17_32_kernelILj20E21rocsparse_complex_numIdEiiS1_IfES2_S2_EEvT2_20rocsparse_direction_NS_24const_host_device_scalarIT0_EES4_PKS4_PKT1_SD_SA_PKT3_PKT4_S8_PT5_21rocsparse_index_base_b, .Lfunc_end531-_ZN9rocsparseL20bsrxmvn_17_32_kernelILj20E21rocsparse_complex_numIdEiiS1_IfES2_S2_EEvT2_20rocsparse_direction_NS_24const_host_device_scalarIT0_EES4_PKS4_PKT1_SD_SA_PKT3_PKT4_S8_PT5_21rocsparse_index_base_b
                                        ; -- End function
	.set _ZN9rocsparseL20bsrxmvn_17_32_kernelILj20E21rocsparse_complex_numIdEiiS1_IfES2_S2_EEvT2_20rocsparse_direction_NS_24const_host_device_scalarIT0_EES4_PKS4_PKT1_SD_SA_PKT3_PKT4_S8_PT5_21rocsparse_index_base_b.num_vgpr, 26
	.set _ZN9rocsparseL20bsrxmvn_17_32_kernelILj20E21rocsparse_complex_numIdEiiS1_IfES2_S2_EEvT2_20rocsparse_direction_NS_24const_host_device_scalarIT0_EES4_PKS4_PKT1_SD_SA_PKT3_PKT4_S8_PT5_21rocsparse_index_base_b.num_agpr, 0
	.set _ZN9rocsparseL20bsrxmvn_17_32_kernelILj20E21rocsparse_complex_numIdEiiS1_IfES2_S2_EEvT2_20rocsparse_direction_NS_24const_host_device_scalarIT0_EES4_PKS4_PKT1_SD_SA_PKT3_PKT4_S8_PT5_21rocsparse_index_base_b.numbered_sgpr, 18
	.set _ZN9rocsparseL20bsrxmvn_17_32_kernelILj20E21rocsparse_complex_numIdEiiS1_IfES2_S2_EEvT2_20rocsparse_direction_NS_24const_host_device_scalarIT0_EES4_PKS4_PKT1_SD_SA_PKT3_PKT4_S8_PT5_21rocsparse_index_base_b.num_named_barrier, 0
	.set _ZN9rocsparseL20bsrxmvn_17_32_kernelILj20E21rocsparse_complex_numIdEiiS1_IfES2_S2_EEvT2_20rocsparse_direction_NS_24const_host_device_scalarIT0_EES4_PKS4_PKT1_SD_SA_PKT3_PKT4_S8_PT5_21rocsparse_index_base_b.private_seg_size, 0
	.set _ZN9rocsparseL20bsrxmvn_17_32_kernelILj20E21rocsparse_complex_numIdEiiS1_IfES2_S2_EEvT2_20rocsparse_direction_NS_24const_host_device_scalarIT0_EES4_PKS4_PKT1_SD_SA_PKT3_PKT4_S8_PT5_21rocsparse_index_base_b.uses_vcc, 1
	.set _ZN9rocsparseL20bsrxmvn_17_32_kernelILj20E21rocsparse_complex_numIdEiiS1_IfES2_S2_EEvT2_20rocsparse_direction_NS_24const_host_device_scalarIT0_EES4_PKS4_PKT1_SD_SA_PKT3_PKT4_S8_PT5_21rocsparse_index_base_b.uses_flat_scratch, 0
	.set _ZN9rocsparseL20bsrxmvn_17_32_kernelILj20E21rocsparse_complex_numIdEiiS1_IfES2_S2_EEvT2_20rocsparse_direction_NS_24const_host_device_scalarIT0_EES4_PKS4_PKT1_SD_SA_PKT3_PKT4_S8_PT5_21rocsparse_index_base_b.has_dyn_sized_stack, 0
	.set _ZN9rocsparseL20bsrxmvn_17_32_kernelILj20E21rocsparse_complex_numIdEiiS1_IfES2_S2_EEvT2_20rocsparse_direction_NS_24const_host_device_scalarIT0_EES4_PKS4_PKT1_SD_SA_PKT3_PKT4_S8_PT5_21rocsparse_index_base_b.has_recursion, 0
	.set _ZN9rocsparseL20bsrxmvn_17_32_kernelILj20E21rocsparse_complex_numIdEiiS1_IfES2_S2_EEvT2_20rocsparse_direction_NS_24const_host_device_scalarIT0_EES4_PKS4_PKT1_SD_SA_PKT3_PKT4_S8_PT5_21rocsparse_index_base_b.has_indirect_call, 0
	.section	.AMDGPU.csdata,"",@progbits
; Kernel info:
; codeLenInByte = 1648
; TotalNumSgprs: 22
; NumVgprs: 26
; ScratchSize: 0
; MemoryBound: 0
; FloatMode: 240
; IeeeMode: 1
; LDSByteSize: 6400 bytes/workgroup (compile time only)
; SGPRBlocks: 8
; VGPRBlocks: 6
; NumSGPRsForWavesPerEU: 65
; NumVGPRsForWavesPerEU: 26
; Occupancy: 9
; WaveLimiterHint : 1
; COMPUTE_PGM_RSRC2:SCRATCH_EN: 0
; COMPUTE_PGM_RSRC2:USER_SGPR: 6
; COMPUTE_PGM_RSRC2:TRAP_HANDLER: 0
; COMPUTE_PGM_RSRC2:TGID_X_EN: 1
; COMPUTE_PGM_RSRC2:TGID_Y_EN: 0
; COMPUTE_PGM_RSRC2:TGID_Z_EN: 0
; COMPUTE_PGM_RSRC2:TIDIG_COMP_CNT: 0
	.section	.text._ZN9rocsparseL20bsrxmvn_17_32_kernelILj21E21rocsparse_complex_numIdEiiS1_IfES2_S2_EEvT2_20rocsparse_direction_NS_24const_host_device_scalarIT0_EES4_PKS4_PKT1_SD_SA_PKT3_PKT4_S8_PT5_21rocsparse_index_base_b,"axG",@progbits,_ZN9rocsparseL20bsrxmvn_17_32_kernelILj21E21rocsparse_complex_numIdEiiS1_IfES2_S2_EEvT2_20rocsparse_direction_NS_24const_host_device_scalarIT0_EES4_PKS4_PKT1_SD_SA_PKT3_PKT4_S8_PT5_21rocsparse_index_base_b,comdat
	.globl	_ZN9rocsparseL20bsrxmvn_17_32_kernelILj21E21rocsparse_complex_numIdEiiS1_IfES2_S2_EEvT2_20rocsparse_direction_NS_24const_host_device_scalarIT0_EES4_PKS4_PKT1_SD_SA_PKT3_PKT4_S8_PT5_21rocsparse_index_base_b ; -- Begin function _ZN9rocsparseL20bsrxmvn_17_32_kernelILj21E21rocsparse_complex_numIdEiiS1_IfES2_S2_EEvT2_20rocsparse_direction_NS_24const_host_device_scalarIT0_EES4_PKS4_PKT1_SD_SA_PKT3_PKT4_S8_PT5_21rocsparse_index_base_b
	.p2align	8
	.type	_ZN9rocsparseL20bsrxmvn_17_32_kernelILj21E21rocsparse_complex_numIdEiiS1_IfES2_S2_EEvT2_20rocsparse_direction_NS_24const_host_device_scalarIT0_EES4_PKS4_PKT1_SD_SA_PKT3_PKT4_S8_PT5_21rocsparse_index_base_b,@function
_ZN9rocsparseL20bsrxmvn_17_32_kernelILj21E21rocsparse_complex_numIdEiiS1_IfES2_S2_EEvT2_20rocsparse_direction_NS_24const_host_device_scalarIT0_EES4_PKS4_PKT1_SD_SA_PKT3_PKT4_S8_PT5_21rocsparse_index_base_b: ; @_ZN9rocsparseL20bsrxmvn_17_32_kernelILj21E21rocsparse_complex_numIdEiiS1_IfES2_S2_EEvT2_20rocsparse_direction_NS_24const_host_device_scalarIT0_EES4_PKS4_PKT1_SD_SA_PKT3_PKT4_S8_PT5_21rocsparse_index_base_b
; %bb.0:
	s_load_dwordx2 s[0:1], s[4:5], 0x8
	s_load_dwordx2 s[10:11], s[4:5], 0x68
	s_add_u32 s7, s4, 8
	s_addc_u32 s8, s5, 0
	s_add_u32 s9, s4, 0x50
	s_addc_u32 s12, s5, 0
	s_waitcnt lgkmcnt(0)
	s_bitcmp1_b32 s11, 0
	s_cselect_b32 s1, s8, s1
	s_cselect_b32 s0, s7, s0
	v_mov_b32_e32 v1, s0
	v_mov_b32_e32 v2, s1
	flat_load_dwordx4 v[5:8], v[1:2]
	s_load_dwordx2 s[2:3], s[4:5], 0x50
	s_waitcnt lgkmcnt(0)
	s_cselect_b32 s0, s12, s3
	s_cselect_b32 s1, s9, s2
	v_mov_b32_e32 v1, s1
	v_mov_b32_e32 v2, s0
	flat_load_dwordx4 v[1:4], v[1:2]
	s_waitcnt vmcnt(0)
	v_cmp_eq_f64_e32 vcc, 0, v[5:6]
	v_cmp_eq_f64_e64 s[0:1], 0, v[7:8]
	s_and_b64 s[8:9], vcc, s[0:1]
	s_mov_b64 s[0:1], -1
	s_and_saveexec_b64 s[2:3], s[8:9]
	s_cbranch_execz .LBB532_2
; %bb.1:
	s_waitcnt lgkmcnt(0)
	v_cmp_neq_f64_e32 vcc, 1.0, v[1:2]
	v_cmp_neq_f64_e64 s[0:1], 0, v[3:4]
	s_or_b64 s[0:1], vcc, s[0:1]
	s_orn2_b64 s[0:1], s[0:1], exec
.LBB532_2:
	s_or_b64 exec, exec, s[2:3]
	s_and_saveexec_b64 s[2:3], s[0:1]
	s_cbranch_execz .LBB532_39
; %bb.3:
	s_load_dwordx4 s[0:3], s[4:5], 0x20
	s_load_dwordx2 s[14:15], s[4:5], 0x30
	s_waitcnt lgkmcnt(0)
	s_cmp_eq_u64 s[0:1], 0
	s_cbranch_scc1 .LBB532_5
; %bb.4:
	s_ashr_i32 s7, s6, 31
	s_lshl_b64 s[6:7], s[6:7], 2
	s_add_u32 s0, s0, s6
	s_addc_u32 s1, s1, s7
	s_load_dword s0, s[0:1], 0x0
	s_waitcnt lgkmcnt(0)
	s_sub_i32 s6, s0, s10
.LBB532_5:
	s_load_dword s0, s[4:5], 0x4
	s_load_dwordx2 s[8:9], s[4:5], 0x60
	v_mul_u32_u24_e32 v13, 0xc31, v0
	v_mov_b32_e32 v9, 21
	v_mul_lo_u16_sdwa v14, v13, v9 dst_sel:DWORD dst_unused:UNUSED_PAD src0_sel:WORD_1 src1_sel:DWORD
	s_waitcnt lgkmcnt(0)
	s_cmp_eq_u32 s0, 1
	s_cselect_b64 vcc, -1, 0
	s_cmp_lg_u32 s0, 1
	s_cselect_b64 s[12:13], -1, 0
	s_ashr_i32 s7, s6, 31
	s_lshl_b64 s[0:1], s[6:7], 2
	s_add_u32 s2, s2, s0
	s_addc_u32 s3, s3, s1
	s_load_dword s7, s[2:3], 0x0
	s_add_u32 s2, s2, 4
	s_addc_u32 s3, s3, 0
	s_add_u32 s0, s14, s0
	s_addc_u32 s1, s15, s1
	s_cmp_eq_u64 s[14:15], 0
	s_cselect_b32 s1, s3, s1
	s_cselect_b32 s0, s2, s0
	s_load_dword s11, s[0:1], 0x0
	v_mov_b32_e32 v11, 0
	v_mov_b32_e32 v9, 0
	;; [unrolled: 1-line block ×4, first 2 shown]
	s_waitcnt lgkmcnt(0)
	s_cmp_ge_i32 s7, s11
	v_sub_u16_e32 v18, v0, v14
	s_cbranch_scc1 .LBB532_10
; %bb.6:
	v_mov_b32_e32 v9, 25
	s_load_dwordx2 s[14:15], s[4:5], 0x48
	s_load_dwordx4 s[0:3], s[4:5], 0x38
	v_mul_lo_u16_sdwa v9, v13, v9 dst_sel:DWORD dst_unused:UNUSED_PAD src0_sel:WORD_1 src1_sel:DWORD
	v_lshrrev_b16_e32 v9, 9, v9
	v_mul_lo_u16_e32 v9, 21, v9
	v_sub_u16_sdwa v9, v13, v9 dst_sel:DWORD dst_unused:UNUSED_PAD src0_sel:WORD_1 src1_sel:DWORD
	s_sub_i32 s5, s7, s10
	s_sub_i32 s4, s11, s10
	v_and_b32_e32 v9, 0xff, v9
	s_mul_i32 s11, s5, 0xdc8
	v_cndmask_b32_e32 v13, v18, v9, vcc
	s_mul_hi_i32 s7, s5, 0xdc8
	s_waitcnt lgkmcnt(0)
	s_add_u32 s2, s2, s11
	v_lshlrev_b32_e32 v9, 3, v0
	s_addc_u32 s3, s3, s7
	v_add_co_u32_e32 v14, vcc, s2, v9
	s_movk_i32 s2, 0x253
	v_mov_b32_e32 v10, s3
	v_mul_u32_u24_sdwa v9, v0, s2 dst_sel:DWORD dst_unused:UNUSED_PAD src0_sel:WORD_0 src1_sel:DWORD
	v_mov_b32_e32 v11, 0
	v_addc_co_u32_e32 v15, vcc, 0, v10, vcc
	v_mov_b32_e32 v12, 0
	v_lshrrev_b32_e32 v19, 18, v9
	v_mov_b32_e32 v9, v11
	v_mov_b32_e32 v10, v12
	s_branch .LBB532_8
.LBB532_7:                              ;   in Loop: Header=BB532_8 Depth=1
	s_or_b64 exec, exec, s[2:3]
	s_add_i32 s5, s5, 1
	s_cmp_lt_i32 s5, s4
	s_cbranch_scc0 .LBB532_10
.LBB532_8:                              ; =>This Inner Loop Header: Depth=1
	v_add_u32_e32 v16, s5, v19
	v_cmp_gt_i32_e32 vcc, s4, v16
	s_and_saveexec_b64 s[2:3], vcc
	s_cbranch_execz .LBB532_7
; %bb.9:                                ;   in Loop: Header=BB532_8 Depth=1
	v_ashrrev_i32_e32 v17, 31, v16
	v_lshlrev_b64 v[16:17], 2, v[16:17]
	v_mov_b32_e32 v20, s1
	v_add_co_u32_e32 v16, vcc, s0, v16
	v_addc_co_u32_e32 v17, vcc, v20, v17, vcc
	global_load_dword v16, v[16:17], off
	v_mov_b32_e32 v20, s15
	global_load_dwordx2 v[24:25], v[14:15], off
	s_waitcnt vmcnt(1)
	v_subrev_u32_e32 v16, s10, v16
	v_mad_u64_u32 v[16:17], s[16:17], v16, 21, v[13:14]
	v_ashrrev_i32_e32 v17, 31, v16
	v_lshlrev_b64 v[16:17], 4, v[16:17]
	v_add_co_u32_e32 v16, vcc, s14, v16
	v_addc_co_u32_e32 v17, vcc, v20, v17, vcc
	global_load_dwordx4 v[20:23], v[16:17], off
	s_waitcnt vmcnt(1)
	v_cvt_f64_f32_e32 v[16:17], v24
	v_cvt_f64_f32_e32 v[24:25], v25
	v_add_co_u32_e32 v14, vcc, 0xdc8, v14
	v_addc_co_u32_e32 v15, vcc, 0, v15, vcc
	s_waitcnt vmcnt(0)
	v_fma_f64 v[9:10], v[16:17], v[20:21], v[9:10]
	v_fma_f64 v[11:12], v[24:25], v[20:21], v[11:12]
	v_fma_f64 v[9:10], -v[24:25], v[22:23], v[9:10]
	v_fma_f64 v[11:12], v[16:17], v[22:23], v[11:12]
	s_branch .LBB532_7
.LBB532_10:
	v_lshlrev_b32_e32 v17, 4, v0
	s_and_b64 vcc, exec, s[12:13]
	ds_write_b128 v17, v[9:12]
	s_waitcnt lgkmcnt(0)
	s_barrier
	s_cbranch_vccz .LBB532_22
; %bb.11:
	v_cmp_gt_u16_e32 vcc, 5, v18
	s_and_saveexec_b64 s[0:1], vcc
	s_cbranch_execz .LBB532_13
; %bb.12:
	ds_read_b128 v[13:16], v17 offset:256
	ds_read_b128 v[19:22], v17
	s_waitcnt lgkmcnt(0)
	v_add_f64 v[13:14], v[13:14], v[19:20]
	v_add_f64 v[15:16], v[15:16], v[21:22]
	ds_write_b128 v17, v[13:16]
.LBB532_13:
	s_or_b64 exec, exec, s[0:1]
	v_cmp_gt_u16_e32 vcc, 8, v18
	s_waitcnt lgkmcnt(0)
	s_barrier
	s_and_saveexec_b64 s[0:1], vcc
	s_cbranch_execz .LBB532_15
; %bb.14:
	ds_read_b128 v[13:16], v17 offset:128
	ds_read_b128 v[19:22], v17
	s_waitcnt lgkmcnt(0)
	v_add_f64 v[13:14], v[13:14], v[19:20]
	v_add_f64 v[15:16], v[15:16], v[21:22]
	ds_write_b128 v17, v[13:16]
.LBB532_15:
	s_or_b64 exec, exec, s[0:1]
	v_cmp_gt_u16_e32 vcc, 4, v18
	s_waitcnt lgkmcnt(0)
	s_barrier
	;; [unrolled: 14-line block ×3, first 2 shown]
	s_and_saveexec_b64 s[0:1], vcc
	s_cbranch_execz .LBB532_19
; %bb.18:
	ds_read_b128 v[13:16], v17
	ds_read_b128 v[18:21], v17 offset:32
	s_waitcnt lgkmcnt(0)
	v_add_f64 v[13:14], v[18:19], v[13:14]
	v_add_f64 v[15:16], v[20:21], v[15:16]
	ds_write_b128 v17, v[13:16]
.LBB532_19:
	s_or_b64 exec, exec, s[0:1]
	v_mov_b32_e32 v16, v12
	v_mov_b32_e32 v14, v10
	v_cmp_gt_u32_e32 vcc, 21, v0
	v_mov_b32_e32 v15, v11
	v_mov_b32_e32 v13, v9
	s_waitcnt lgkmcnt(0)
	s_barrier
	s_and_saveexec_b64 s[0:1], vcc
	s_cbranch_execz .LBB532_21
; %bb.20:
	s_movk_i32 s2, 0x140
	v_mad_u32_u24 v18, v0, s2, v17
	ds_read_b128 v[13:16], v18
	ds_read_b128 v[18:21], v18 offset:16
	s_waitcnt lgkmcnt(0)
	v_add_f64 v[13:14], v[18:19], v[13:14]
	v_add_f64 v[15:16], v[20:21], v[15:16]
.LBB532_21:
	s_or_b64 exec, exec, s[0:1]
	s_branch .LBB532_34
.LBB532_22:
                                        ; implicit-def: $vgpr15_vgpr16
                                        ; implicit-def: $vgpr13_vgpr14
	s_cbranch_execz .LBB532_34
; %bb.23:
	s_movk_i32 s0, 0x69
	v_cmp_gt_u32_e32 vcc, s0, v0
	s_and_saveexec_b64 s[0:1], vcc
	s_cbranch_execz .LBB532_25
; %bb.24:
	ds_read_b128 v[13:16], v17 offset:5376
	ds_read_b128 v[18:21], v17
	s_waitcnt lgkmcnt(0)
	v_add_f64 v[13:14], v[13:14], v[18:19]
	v_add_f64 v[15:16], v[15:16], v[20:21]
	ds_write_b128 v17, v[13:16]
.LBB532_25:
	s_or_b64 exec, exec, s[0:1]
	s_movk_i32 s0, 0xa8
	v_cmp_gt_u32_e32 vcc, s0, v0
	s_waitcnt lgkmcnt(0)
	s_barrier
	s_and_saveexec_b64 s[0:1], vcc
	s_cbranch_execz .LBB532_27
; %bb.26:
	ds_read_b128 v[13:16], v17 offset:2688
	ds_read_b128 v[18:21], v17
	s_waitcnt lgkmcnt(0)
	v_add_f64 v[13:14], v[13:14], v[18:19]
	v_add_f64 v[15:16], v[15:16], v[20:21]
	ds_write_b128 v17, v[13:16]
.LBB532_27:
	s_or_b64 exec, exec, s[0:1]
	s_movk_i32 s0, 0x54
	v_cmp_gt_u32_e32 vcc, s0, v0
	s_waitcnt lgkmcnt(0)
	s_barrier
	s_and_saveexec_b64 s[0:1], vcc
	s_cbranch_execz .LBB532_29
; %bb.28:
	ds_read_b128 v[13:16], v17 offset:1344
	ds_read_b128 v[18:21], v17
	s_waitcnt lgkmcnt(0)
	v_add_f64 v[13:14], v[13:14], v[18:19]
	v_add_f64 v[15:16], v[15:16], v[20:21]
	ds_write_b128 v17, v[13:16]
.LBB532_29:
	s_or_b64 exec, exec, s[0:1]
	v_cmp_gt_u32_e32 vcc, 42, v0
	s_waitcnt lgkmcnt(0)
	s_barrier
	s_and_saveexec_b64 s[0:1], vcc
	s_cbranch_execz .LBB532_31
; %bb.30:
	ds_read_b128 v[13:16], v17 offset:672
	ds_read_b128 v[18:21], v17
	s_waitcnt lgkmcnt(0)
	v_add_f64 v[13:14], v[13:14], v[18:19]
	v_add_f64 v[15:16], v[15:16], v[20:21]
	ds_write_b128 v17, v[13:16]
.LBB532_31:
	s_or_b64 exec, exec, s[0:1]
	v_cmp_gt_u32_e32 vcc, 21, v0
	s_waitcnt lgkmcnt(0)
	s_and_saveexec_b64 s[0:1], vcc
	s_cbranch_execz .LBB532_33
; %bb.32:
	ds_read_b128 v[9:12], v17 offset:336
	ds_read_b128 v[13:16], v17
	s_waitcnt lgkmcnt(0)
	v_add_f64 v[9:10], v[9:10], v[13:14]
	v_add_f64 v[11:12], v[11:12], v[15:16]
.LBB532_33:
	s_or_b64 exec, exec, s[0:1]
	v_mov_b32_e32 v16, v12
	v_mov_b32_e32 v14, v10
	;; [unrolled: 1-line block ×4, first 2 shown]
.LBB532_34:
	v_cmp_gt_u32_e32 vcc, 21, v0
	s_and_b64 exec, exec, vcc
	s_cbranch_execz .LBB532_39
; %bb.35:
	v_mul_f64 v[9:10], v[15:16], -v[7:8]
	v_mul_f64 v[11:12], v[5:6], v[15:16]
	v_cmp_eq_f64_e32 vcc, 0, v[1:2]
	v_cmp_eq_f64_e64 s[0:1], 0, v[3:4]
	v_fma_f64 v[5:6], v[5:6], v[13:14], v[9:10]
	v_fma_f64 v[7:8], v[7:8], v[13:14], v[11:12]
	s_and_b64 s[0:1], vcc, s[0:1]
	s_and_saveexec_b64 s[2:3], s[0:1]
	s_xor_b64 s[0:1], exec, s[2:3]
	s_cbranch_execz .LBB532_37
; %bb.36:
	v_mad_u64_u32 v[0:1], s[2:3], s6, 21, v[0:1]
	v_mov_b32_e32 v1, 0
	v_mov_b32_e32 v2, s9
	v_lshlrev_b64 v[0:1], 4, v[0:1]
	v_add_co_u32_e32 v0, vcc, s8, v0
	v_addc_co_u32_e32 v1, vcc, v2, v1, vcc
	global_store_dwordx4 v[0:1], v[5:8], off
                                        ; implicit-def: $vgpr0
                                        ; implicit-def: $vgpr1_vgpr2
                                        ; implicit-def: $vgpr5_vgpr6
.LBB532_37:
	s_andn2_saveexec_b64 s[0:1], s[0:1]
	s_cbranch_execz .LBB532_39
; %bb.38:
	v_mad_u64_u32 v[9:10], s[0:1], s6, 21, v[0:1]
	v_mov_b32_e32 v10, 0
	v_mov_b32_e32 v0, s9
	v_lshlrev_b64 v[9:10], 4, v[9:10]
	v_add_co_u32_e32 v13, vcc, s8, v9
	v_addc_co_u32_e32 v14, vcc, v0, v10, vcc
	global_load_dwordx4 v[9:12], v[13:14], off
	s_waitcnt vmcnt(0)
	v_fma_f64 v[5:6], v[1:2], v[9:10], v[5:6]
	v_fma_f64 v[7:8], v[3:4], v[9:10], v[7:8]
	v_fma_f64 v[3:4], -v[3:4], v[11:12], v[5:6]
	v_fma_f64 v[5:6], v[1:2], v[11:12], v[7:8]
	global_store_dwordx4 v[13:14], v[3:6], off
.LBB532_39:
	s_endpgm
	.section	.rodata,"a",@progbits
	.p2align	6, 0x0
	.amdhsa_kernel _ZN9rocsparseL20bsrxmvn_17_32_kernelILj21E21rocsparse_complex_numIdEiiS1_IfES2_S2_EEvT2_20rocsparse_direction_NS_24const_host_device_scalarIT0_EES4_PKS4_PKT1_SD_SA_PKT3_PKT4_S8_PT5_21rocsparse_index_base_b
		.amdhsa_group_segment_fixed_size 7056
		.amdhsa_private_segment_fixed_size 0
		.amdhsa_kernarg_size 112
		.amdhsa_user_sgpr_count 6
		.amdhsa_user_sgpr_private_segment_buffer 1
		.amdhsa_user_sgpr_dispatch_ptr 0
		.amdhsa_user_sgpr_queue_ptr 0
		.amdhsa_user_sgpr_kernarg_segment_ptr 1
		.amdhsa_user_sgpr_dispatch_id 0
		.amdhsa_user_sgpr_flat_scratch_init 0
		.amdhsa_user_sgpr_private_segment_size 0
		.amdhsa_uses_dynamic_stack 0
		.amdhsa_system_sgpr_private_segment_wavefront_offset 0
		.amdhsa_system_sgpr_workgroup_id_x 1
		.amdhsa_system_sgpr_workgroup_id_y 0
		.amdhsa_system_sgpr_workgroup_id_z 0
		.amdhsa_system_sgpr_workgroup_info 0
		.amdhsa_system_vgpr_workitem_id 0
		.amdhsa_next_free_vgpr 26
		.amdhsa_next_free_sgpr 61
		.amdhsa_reserve_vcc 1
		.amdhsa_reserve_flat_scratch 0
		.amdhsa_float_round_mode_32 0
		.amdhsa_float_round_mode_16_64 0
		.amdhsa_float_denorm_mode_32 3
		.amdhsa_float_denorm_mode_16_64 3
		.amdhsa_dx10_clamp 1
		.amdhsa_ieee_mode 1
		.amdhsa_fp16_overflow 0
		.amdhsa_exception_fp_ieee_invalid_op 0
		.amdhsa_exception_fp_denorm_src 0
		.amdhsa_exception_fp_ieee_div_zero 0
		.amdhsa_exception_fp_ieee_overflow 0
		.amdhsa_exception_fp_ieee_underflow 0
		.amdhsa_exception_fp_ieee_inexact 0
		.amdhsa_exception_int_div_zero 0
	.end_amdhsa_kernel
	.section	.text._ZN9rocsparseL20bsrxmvn_17_32_kernelILj21E21rocsparse_complex_numIdEiiS1_IfES2_S2_EEvT2_20rocsparse_direction_NS_24const_host_device_scalarIT0_EES4_PKS4_PKT1_SD_SA_PKT3_PKT4_S8_PT5_21rocsparse_index_base_b,"axG",@progbits,_ZN9rocsparseL20bsrxmvn_17_32_kernelILj21E21rocsparse_complex_numIdEiiS1_IfES2_S2_EEvT2_20rocsparse_direction_NS_24const_host_device_scalarIT0_EES4_PKS4_PKT1_SD_SA_PKT3_PKT4_S8_PT5_21rocsparse_index_base_b,comdat
.Lfunc_end532:
	.size	_ZN9rocsparseL20bsrxmvn_17_32_kernelILj21E21rocsparse_complex_numIdEiiS1_IfES2_S2_EEvT2_20rocsparse_direction_NS_24const_host_device_scalarIT0_EES4_PKS4_PKT1_SD_SA_PKT3_PKT4_S8_PT5_21rocsparse_index_base_b, .Lfunc_end532-_ZN9rocsparseL20bsrxmvn_17_32_kernelILj21E21rocsparse_complex_numIdEiiS1_IfES2_S2_EEvT2_20rocsparse_direction_NS_24const_host_device_scalarIT0_EES4_PKS4_PKT1_SD_SA_PKT3_PKT4_S8_PT5_21rocsparse_index_base_b
                                        ; -- End function
	.set _ZN9rocsparseL20bsrxmvn_17_32_kernelILj21E21rocsparse_complex_numIdEiiS1_IfES2_S2_EEvT2_20rocsparse_direction_NS_24const_host_device_scalarIT0_EES4_PKS4_PKT1_SD_SA_PKT3_PKT4_S8_PT5_21rocsparse_index_base_b.num_vgpr, 26
	.set _ZN9rocsparseL20bsrxmvn_17_32_kernelILj21E21rocsparse_complex_numIdEiiS1_IfES2_S2_EEvT2_20rocsparse_direction_NS_24const_host_device_scalarIT0_EES4_PKS4_PKT1_SD_SA_PKT3_PKT4_S8_PT5_21rocsparse_index_base_b.num_agpr, 0
	.set _ZN9rocsparseL20bsrxmvn_17_32_kernelILj21E21rocsparse_complex_numIdEiiS1_IfES2_S2_EEvT2_20rocsparse_direction_NS_24const_host_device_scalarIT0_EES4_PKS4_PKT1_SD_SA_PKT3_PKT4_S8_PT5_21rocsparse_index_base_b.numbered_sgpr, 18
	.set _ZN9rocsparseL20bsrxmvn_17_32_kernelILj21E21rocsparse_complex_numIdEiiS1_IfES2_S2_EEvT2_20rocsparse_direction_NS_24const_host_device_scalarIT0_EES4_PKS4_PKT1_SD_SA_PKT3_PKT4_S8_PT5_21rocsparse_index_base_b.num_named_barrier, 0
	.set _ZN9rocsparseL20bsrxmvn_17_32_kernelILj21E21rocsparse_complex_numIdEiiS1_IfES2_S2_EEvT2_20rocsparse_direction_NS_24const_host_device_scalarIT0_EES4_PKS4_PKT1_SD_SA_PKT3_PKT4_S8_PT5_21rocsparse_index_base_b.private_seg_size, 0
	.set _ZN9rocsparseL20bsrxmvn_17_32_kernelILj21E21rocsparse_complex_numIdEiiS1_IfES2_S2_EEvT2_20rocsparse_direction_NS_24const_host_device_scalarIT0_EES4_PKS4_PKT1_SD_SA_PKT3_PKT4_S8_PT5_21rocsparse_index_base_b.uses_vcc, 1
	.set _ZN9rocsparseL20bsrxmvn_17_32_kernelILj21E21rocsparse_complex_numIdEiiS1_IfES2_S2_EEvT2_20rocsparse_direction_NS_24const_host_device_scalarIT0_EES4_PKS4_PKT1_SD_SA_PKT3_PKT4_S8_PT5_21rocsparse_index_base_b.uses_flat_scratch, 0
	.set _ZN9rocsparseL20bsrxmvn_17_32_kernelILj21E21rocsparse_complex_numIdEiiS1_IfES2_S2_EEvT2_20rocsparse_direction_NS_24const_host_device_scalarIT0_EES4_PKS4_PKT1_SD_SA_PKT3_PKT4_S8_PT5_21rocsparse_index_base_b.has_dyn_sized_stack, 0
	.set _ZN9rocsparseL20bsrxmvn_17_32_kernelILj21E21rocsparse_complex_numIdEiiS1_IfES2_S2_EEvT2_20rocsparse_direction_NS_24const_host_device_scalarIT0_EES4_PKS4_PKT1_SD_SA_PKT3_PKT4_S8_PT5_21rocsparse_index_base_b.has_recursion, 0
	.set _ZN9rocsparseL20bsrxmvn_17_32_kernelILj21E21rocsparse_complex_numIdEiiS1_IfES2_S2_EEvT2_20rocsparse_direction_NS_24const_host_device_scalarIT0_EES4_PKS4_PKT1_SD_SA_PKT3_PKT4_S8_PT5_21rocsparse_index_base_b.has_indirect_call, 0
	.section	.AMDGPU.csdata,"",@progbits
; Kernel info:
; codeLenInByte = 1652
; TotalNumSgprs: 22
; NumVgprs: 26
; ScratchSize: 0
; MemoryBound: 0
; FloatMode: 240
; IeeeMode: 1
; LDSByteSize: 7056 bytes/workgroup (compile time only)
; SGPRBlocks: 8
; VGPRBlocks: 6
; NumSGPRsForWavesPerEU: 65
; NumVGPRsForWavesPerEU: 26
; Occupancy: 9
; WaveLimiterHint : 1
; COMPUTE_PGM_RSRC2:SCRATCH_EN: 0
; COMPUTE_PGM_RSRC2:USER_SGPR: 6
; COMPUTE_PGM_RSRC2:TRAP_HANDLER: 0
; COMPUTE_PGM_RSRC2:TGID_X_EN: 1
; COMPUTE_PGM_RSRC2:TGID_Y_EN: 0
; COMPUTE_PGM_RSRC2:TGID_Z_EN: 0
; COMPUTE_PGM_RSRC2:TIDIG_COMP_CNT: 0
	.section	.text._ZN9rocsparseL20bsrxmvn_17_32_kernelILj22E21rocsparse_complex_numIdEiiS1_IfES2_S2_EEvT2_20rocsparse_direction_NS_24const_host_device_scalarIT0_EES4_PKS4_PKT1_SD_SA_PKT3_PKT4_S8_PT5_21rocsparse_index_base_b,"axG",@progbits,_ZN9rocsparseL20bsrxmvn_17_32_kernelILj22E21rocsparse_complex_numIdEiiS1_IfES2_S2_EEvT2_20rocsparse_direction_NS_24const_host_device_scalarIT0_EES4_PKS4_PKT1_SD_SA_PKT3_PKT4_S8_PT5_21rocsparse_index_base_b,comdat
	.globl	_ZN9rocsparseL20bsrxmvn_17_32_kernelILj22E21rocsparse_complex_numIdEiiS1_IfES2_S2_EEvT2_20rocsparse_direction_NS_24const_host_device_scalarIT0_EES4_PKS4_PKT1_SD_SA_PKT3_PKT4_S8_PT5_21rocsparse_index_base_b ; -- Begin function _ZN9rocsparseL20bsrxmvn_17_32_kernelILj22E21rocsparse_complex_numIdEiiS1_IfES2_S2_EEvT2_20rocsparse_direction_NS_24const_host_device_scalarIT0_EES4_PKS4_PKT1_SD_SA_PKT3_PKT4_S8_PT5_21rocsparse_index_base_b
	.p2align	8
	.type	_ZN9rocsparseL20bsrxmvn_17_32_kernelILj22E21rocsparse_complex_numIdEiiS1_IfES2_S2_EEvT2_20rocsparse_direction_NS_24const_host_device_scalarIT0_EES4_PKS4_PKT1_SD_SA_PKT3_PKT4_S8_PT5_21rocsparse_index_base_b,@function
_ZN9rocsparseL20bsrxmvn_17_32_kernelILj22E21rocsparse_complex_numIdEiiS1_IfES2_S2_EEvT2_20rocsparse_direction_NS_24const_host_device_scalarIT0_EES4_PKS4_PKT1_SD_SA_PKT3_PKT4_S8_PT5_21rocsparse_index_base_b: ; @_ZN9rocsparseL20bsrxmvn_17_32_kernelILj22E21rocsparse_complex_numIdEiiS1_IfES2_S2_EEvT2_20rocsparse_direction_NS_24const_host_device_scalarIT0_EES4_PKS4_PKT1_SD_SA_PKT3_PKT4_S8_PT5_21rocsparse_index_base_b
; %bb.0:
	s_load_dwordx2 s[0:1], s[4:5], 0x8
	s_load_dwordx2 s[10:11], s[4:5], 0x68
	s_add_u32 s7, s4, 8
	s_addc_u32 s8, s5, 0
	s_add_u32 s9, s4, 0x50
	s_addc_u32 s12, s5, 0
	s_waitcnt lgkmcnt(0)
	s_bitcmp1_b32 s11, 0
	s_cselect_b32 s1, s8, s1
	s_cselect_b32 s0, s7, s0
	v_mov_b32_e32 v1, s0
	v_mov_b32_e32 v2, s1
	flat_load_dwordx4 v[5:8], v[1:2]
	s_load_dwordx2 s[2:3], s[4:5], 0x50
	s_waitcnt lgkmcnt(0)
	s_cselect_b32 s0, s12, s3
	s_cselect_b32 s1, s9, s2
	v_mov_b32_e32 v1, s1
	v_mov_b32_e32 v2, s0
	flat_load_dwordx4 v[1:4], v[1:2]
	s_waitcnt vmcnt(0)
	v_cmp_eq_f64_e32 vcc, 0, v[5:6]
	v_cmp_eq_f64_e64 s[0:1], 0, v[7:8]
	s_and_b64 s[8:9], vcc, s[0:1]
	s_mov_b64 s[0:1], -1
	s_and_saveexec_b64 s[2:3], s[8:9]
	s_cbranch_execz .LBB533_2
; %bb.1:
	s_waitcnt lgkmcnt(0)
	v_cmp_neq_f64_e32 vcc, 1.0, v[1:2]
	v_cmp_neq_f64_e64 s[0:1], 0, v[3:4]
	s_or_b64 s[0:1], vcc, s[0:1]
	s_orn2_b64 s[0:1], s[0:1], exec
.LBB533_2:
	s_or_b64 exec, exec, s[2:3]
	s_and_saveexec_b64 s[2:3], s[0:1]
	s_cbranch_execz .LBB533_39
; %bb.3:
	s_load_dwordx4 s[0:3], s[4:5], 0x20
	s_load_dwordx2 s[14:15], s[4:5], 0x30
	s_waitcnt lgkmcnt(0)
	s_cmp_eq_u64 s[0:1], 0
	s_cbranch_scc1 .LBB533_5
; %bb.4:
	s_ashr_i32 s7, s6, 31
	s_lshl_b64 s[6:7], s[6:7], 2
	s_add_u32 s0, s0, s6
	s_addc_u32 s1, s1, s7
	s_load_dword s0, s[0:1], 0x0
	s_waitcnt lgkmcnt(0)
	s_sub_i32 s6, s0, s10
.LBB533_5:
	s_load_dword s0, s[4:5], 0x4
	s_load_dwordx2 s[8:9], s[4:5], 0x60
	v_mul_u32_u24_e32 v13, 0xba3, v0
	v_mov_b32_e32 v14, 22
	v_mul_lo_u16_sdwa v15, v13, v14 dst_sel:DWORD dst_unused:UNUSED_PAD src0_sel:WORD_1 src1_sel:DWORD
	s_waitcnt lgkmcnt(0)
	s_cmp_eq_u32 s0, 1
	s_cselect_b64 vcc, -1, 0
	s_cmp_lg_u32 s0, 1
	s_cselect_b64 s[12:13], -1, 0
	s_ashr_i32 s7, s6, 31
	s_lshl_b64 s[0:1], s[6:7], 2
	s_add_u32 s2, s2, s0
	s_addc_u32 s3, s3, s1
	s_load_dword s7, s[2:3], 0x0
	s_add_u32 s2, s2, 4
	s_addc_u32 s3, s3, 0
	s_add_u32 s0, s14, s0
	s_addc_u32 s1, s15, s1
	s_cmp_eq_u64 s[14:15], 0
	s_cselect_b32 s1, s3, s1
	s_cselect_b32 s0, s2, s0
	s_load_dword s11, s[0:1], 0x0
	v_mov_b32_e32 v11, 0
	v_mov_b32_e32 v9, 0
	v_mov_b32_e32 v12, 0
	v_mov_b32_e32 v10, 0
	s_waitcnt lgkmcnt(0)
	s_cmp_ge_i32 s7, s11
	v_sub_u16_e32 v18, v0, v15
	s_cbranch_scc1 .LBB533_10
; %bb.6:
	s_load_dwordx2 s[14:15], s[4:5], 0x48
	s_load_dwordx4 s[0:3], s[4:5], 0x38
	v_mov_b32_e32 v9, 12
	v_mul_lo_u16_sdwa v9, v13, v9 dst_sel:DWORD dst_unused:UNUSED_PAD src0_sel:WORD_1 src1_sel:DWORD
	v_mul_lo_u16_sdwa v9, v9, v14 dst_sel:DWORD dst_unused:UNUSED_PAD src0_sel:BYTE_1 src1_sel:DWORD
	v_sub_u16_sdwa v9, v13, v9 dst_sel:DWORD dst_unused:UNUSED_PAD src0_sel:WORD_1 src1_sel:DWORD
	s_sub_i32 s5, s7, s10
	s_sub_i32 s4, s11, s10
	v_and_b32_e32 v9, 0xff, v9
	s_mul_i32 s11, s5, 0xf20
	v_cndmask_b32_e32 v13, v18, v9, vcc
	s_mul_hi_i32 s7, s5, 0xf20
	s_waitcnt lgkmcnt(0)
	s_add_u32 s2, s2, s11
	v_lshlrev_b32_e32 v9, 3, v0
	s_addc_u32 s3, s3, s7
	v_add_co_u32_e32 v14, vcc, s2, v9
	s_movk_i32 s2, 0x10f
	v_mov_b32_e32 v10, s3
	v_mul_u32_u24_sdwa v9, v0, s2 dst_sel:DWORD dst_unused:UNUSED_PAD src0_sel:WORD_0 src1_sel:DWORD
	v_mov_b32_e32 v11, 0
	v_addc_co_u32_e32 v15, vcc, 0, v10, vcc
	v_mov_b32_e32 v12, 0
	v_lshrrev_b32_e32 v19, 17, v9
	v_mov_b32_e32 v9, v11
	v_mov_b32_e32 v10, v12
	s_branch .LBB533_8
.LBB533_7:                              ;   in Loop: Header=BB533_8 Depth=1
	s_or_b64 exec, exec, s[2:3]
	s_add_i32 s5, s5, 1
	s_cmp_lt_i32 s5, s4
	s_cbranch_scc0 .LBB533_10
.LBB533_8:                              ; =>This Inner Loop Header: Depth=1
	v_add_u32_e32 v16, s5, v19
	v_cmp_gt_i32_e32 vcc, s4, v16
	s_and_saveexec_b64 s[2:3], vcc
	s_cbranch_execz .LBB533_7
; %bb.9:                                ;   in Loop: Header=BB533_8 Depth=1
	v_ashrrev_i32_e32 v17, 31, v16
	v_lshlrev_b64 v[16:17], 2, v[16:17]
	v_mov_b32_e32 v20, s1
	v_add_co_u32_e32 v16, vcc, s0, v16
	v_addc_co_u32_e32 v17, vcc, v20, v17, vcc
	global_load_dword v16, v[16:17], off
	v_mov_b32_e32 v20, s15
	global_load_dwordx2 v[24:25], v[14:15], off
	s_waitcnt vmcnt(1)
	v_subrev_u32_e32 v16, s10, v16
	v_mad_u64_u32 v[16:17], s[16:17], v16, 22, v[13:14]
	v_ashrrev_i32_e32 v17, 31, v16
	v_lshlrev_b64 v[16:17], 4, v[16:17]
	v_add_co_u32_e32 v16, vcc, s14, v16
	v_addc_co_u32_e32 v17, vcc, v20, v17, vcc
	global_load_dwordx4 v[20:23], v[16:17], off
	s_waitcnt vmcnt(1)
	v_cvt_f64_f32_e32 v[16:17], v24
	v_cvt_f64_f32_e32 v[24:25], v25
	v_add_co_u32_e32 v14, vcc, 0xf20, v14
	v_addc_co_u32_e32 v15, vcc, 0, v15, vcc
	s_waitcnt vmcnt(0)
	v_fma_f64 v[9:10], v[16:17], v[20:21], v[9:10]
	v_fma_f64 v[11:12], v[24:25], v[20:21], v[11:12]
	v_fma_f64 v[9:10], -v[24:25], v[22:23], v[9:10]
	v_fma_f64 v[11:12], v[16:17], v[22:23], v[11:12]
	s_branch .LBB533_7
.LBB533_10:
	v_lshlrev_b32_e32 v17, 4, v0
	s_and_b64 vcc, exec, s[12:13]
	ds_write_b128 v17, v[9:12]
	s_waitcnt lgkmcnt(0)
	s_barrier
	s_cbranch_vccz .LBB533_22
; %bb.11:
	v_cmp_gt_u16_e32 vcc, 6, v18
	s_and_saveexec_b64 s[0:1], vcc
	s_cbranch_execz .LBB533_13
; %bb.12:
	ds_read_b128 v[13:16], v17 offset:256
	ds_read_b128 v[19:22], v17
	s_waitcnt lgkmcnt(0)
	v_add_f64 v[13:14], v[13:14], v[19:20]
	v_add_f64 v[15:16], v[15:16], v[21:22]
	ds_write_b128 v17, v[13:16]
.LBB533_13:
	s_or_b64 exec, exec, s[0:1]
	v_cmp_gt_u16_e32 vcc, 8, v18
	s_waitcnt lgkmcnt(0)
	s_barrier
	s_and_saveexec_b64 s[0:1], vcc
	s_cbranch_execz .LBB533_15
; %bb.14:
	ds_read_b128 v[13:16], v17 offset:128
	ds_read_b128 v[19:22], v17
	s_waitcnt lgkmcnt(0)
	v_add_f64 v[13:14], v[13:14], v[19:20]
	v_add_f64 v[15:16], v[15:16], v[21:22]
	ds_write_b128 v17, v[13:16]
.LBB533_15:
	s_or_b64 exec, exec, s[0:1]
	v_cmp_gt_u16_e32 vcc, 4, v18
	s_waitcnt lgkmcnt(0)
	s_barrier
	s_and_saveexec_b64 s[0:1], vcc
	s_cbranch_execz .LBB533_17
; %bb.16:
	ds_read_b128 v[13:16], v17 offset:64
	ds_read_b128 v[19:22], v17
	s_waitcnt lgkmcnt(0)
	v_add_f64 v[13:14], v[13:14], v[19:20]
	v_add_f64 v[15:16], v[15:16], v[21:22]
	ds_write_b128 v17, v[13:16]
.LBB533_17:
	s_or_b64 exec, exec, s[0:1]
	v_cmp_gt_u16_e32 vcc, 2, v18
	s_waitcnt lgkmcnt(0)
	s_barrier
	s_and_saveexec_b64 s[0:1], vcc
	s_cbranch_execz .LBB533_19
; %bb.18:
	ds_read_b128 v[13:16], v17
	ds_read_b128 v[18:21], v17 offset:32
	s_waitcnt lgkmcnt(0)
	v_add_f64 v[13:14], v[18:19], v[13:14]
	v_add_f64 v[15:16], v[20:21], v[15:16]
	ds_write_b128 v17, v[13:16]
.LBB533_19:
	s_or_b64 exec, exec, s[0:1]
	v_mov_b32_e32 v16, v12
	v_mov_b32_e32 v14, v10
	v_cmp_gt_u32_e32 vcc, 22, v0
	v_mov_b32_e32 v15, v11
	v_mov_b32_e32 v13, v9
	s_waitcnt lgkmcnt(0)
	s_barrier
	s_and_saveexec_b64 s[0:1], vcc
	s_cbranch_execz .LBB533_21
; %bb.20:
	s_movk_i32 s2, 0x150
	v_mad_u32_u24 v18, v0, s2, v17
	ds_read_b128 v[13:16], v18
	ds_read_b128 v[18:21], v18 offset:16
	s_waitcnt lgkmcnt(0)
	v_add_f64 v[13:14], v[18:19], v[13:14]
	v_add_f64 v[15:16], v[20:21], v[15:16]
.LBB533_21:
	s_or_b64 exec, exec, s[0:1]
	s_branch .LBB533_34
.LBB533_22:
                                        ; implicit-def: $vgpr15_vgpr16
                                        ; implicit-def: $vgpr13_vgpr14
	s_cbranch_execz .LBB533_34
; %bb.23:
	s_movk_i32 s0, 0x84
	v_cmp_gt_u32_e32 vcc, s0, v0
	s_and_saveexec_b64 s[0:1], vcc
	s_cbranch_execz .LBB533_25
; %bb.24:
	ds_read_b128 v[13:16], v17 offset:5632
	ds_read_b128 v[18:21], v17
	s_waitcnt lgkmcnt(0)
	v_add_f64 v[13:14], v[13:14], v[18:19]
	v_add_f64 v[15:16], v[15:16], v[20:21]
	ds_write_b128 v17, v[13:16]
.LBB533_25:
	s_or_b64 exec, exec, s[0:1]
	s_movk_i32 s0, 0xb0
	v_cmp_gt_u32_e32 vcc, s0, v0
	s_waitcnt lgkmcnt(0)
	s_barrier
	s_and_saveexec_b64 s[0:1], vcc
	s_cbranch_execz .LBB533_27
; %bb.26:
	ds_read_b128 v[13:16], v17 offset:2816
	ds_read_b128 v[18:21], v17
	s_waitcnt lgkmcnt(0)
	v_add_f64 v[13:14], v[13:14], v[18:19]
	v_add_f64 v[15:16], v[15:16], v[20:21]
	ds_write_b128 v17, v[13:16]
.LBB533_27:
	s_or_b64 exec, exec, s[0:1]
	s_movk_i32 s0, 0x58
	v_cmp_gt_u32_e32 vcc, s0, v0
	s_waitcnt lgkmcnt(0)
	s_barrier
	s_and_saveexec_b64 s[0:1], vcc
	s_cbranch_execz .LBB533_29
; %bb.28:
	ds_read_b128 v[13:16], v17 offset:1408
	ds_read_b128 v[18:21], v17
	s_waitcnt lgkmcnt(0)
	v_add_f64 v[13:14], v[13:14], v[18:19]
	v_add_f64 v[15:16], v[15:16], v[20:21]
	ds_write_b128 v17, v[13:16]
.LBB533_29:
	s_or_b64 exec, exec, s[0:1]
	v_cmp_gt_u32_e32 vcc, 44, v0
	s_waitcnt lgkmcnt(0)
	s_barrier
	s_and_saveexec_b64 s[0:1], vcc
	s_cbranch_execz .LBB533_31
; %bb.30:
	ds_read_b128 v[13:16], v17 offset:704
	ds_read_b128 v[18:21], v17
	s_waitcnt lgkmcnt(0)
	v_add_f64 v[13:14], v[13:14], v[18:19]
	v_add_f64 v[15:16], v[15:16], v[20:21]
	ds_write_b128 v17, v[13:16]
.LBB533_31:
	s_or_b64 exec, exec, s[0:1]
	v_cmp_gt_u32_e32 vcc, 22, v0
	s_waitcnt lgkmcnt(0)
	s_and_saveexec_b64 s[0:1], vcc
	s_cbranch_execz .LBB533_33
; %bb.32:
	ds_read_b128 v[9:12], v17 offset:352
	ds_read_b128 v[13:16], v17
	s_waitcnt lgkmcnt(0)
	v_add_f64 v[9:10], v[9:10], v[13:14]
	v_add_f64 v[11:12], v[11:12], v[15:16]
.LBB533_33:
	s_or_b64 exec, exec, s[0:1]
	v_mov_b32_e32 v16, v12
	v_mov_b32_e32 v14, v10
	v_mov_b32_e32 v15, v11
	v_mov_b32_e32 v13, v9
.LBB533_34:
	v_cmp_gt_u32_e32 vcc, 22, v0
	s_and_b64 exec, exec, vcc
	s_cbranch_execz .LBB533_39
; %bb.35:
	v_mul_f64 v[9:10], v[15:16], -v[7:8]
	v_mul_f64 v[11:12], v[5:6], v[15:16]
	v_cmp_eq_f64_e32 vcc, 0, v[1:2]
	v_cmp_eq_f64_e64 s[0:1], 0, v[3:4]
	v_fma_f64 v[5:6], v[5:6], v[13:14], v[9:10]
	v_fma_f64 v[7:8], v[7:8], v[13:14], v[11:12]
	s_and_b64 s[0:1], vcc, s[0:1]
	s_and_saveexec_b64 s[2:3], s[0:1]
	s_xor_b64 s[0:1], exec, s[2:3]
	s_cbranch_execz .LBB533_37
; %bb.36:
	v_mad_u64_u32 v[0:1], s[2:3], s6, 22, v[0:1]
	v_mov_b32_e32 v1, 0
	v_mov_b32_e32 v2, s9
	v_lshlrev_b64 v[0:1], 4, v[0:1]
	v_add_co_u32_e32 v0, vcc, s8, v0
	v_addc_co_u32_e32 v1, vcc, v2, v1, vcc
	global_store_dwordx4 v[0:1], v[5:8], off
                                        ; implicit-def: $vgpr0
                                        ; implicit-def: $vgpr1_vgpr2
                                        ; implicit-def: $vgpr5_vgpr6
.LBB533_37:
	s_andn2_saveexec_b64 s[0:1], s[0:1]
	s_cbranch_execz .LBB533_39
; %bb.38:
	v_mad_u64_u32 v[9:10], s[0:1], s6, 22, v[0:1]
	v_mov_b32_e32 v10, 0
	v_mov_b32_e32 v0, s9
	v_lshlrev_b64 v[9:10], 4, v[9:10]
	v_add_co_u32_e32 v13, vcc, s8, v9
	v_addc_co_u32_e32 v14, vcc, v0, v10, vcc
	global_load_dwordx4 v[9:12], v[13:14], off
	s_waitcnt vmcnt(0)
	v_fma_f64 v[5:6], v[1:2], v[9:10], v[5:6]
	v_fma_f64 v[7:8], v[3:4], v[9:10], v[7:8]
	v_fma_f64 v[3:4], -v[3:4], v[11:12], v[5:6]
	v_fma_f64 v[5:6], v[1:2], v[11:12], v[7:8]
	global_store_dwordx4 v[13:14], v[3:6], off
.LBB533_39:
	s_endpgm
	.section	.rodata,"a",@progbits
	.p2align	6, 0x0
	.amdhsa_kernel _ZN9rocsparseL20bsrxmvn_17_32_kernelILj22E21rocsparse_complex_numIdEiiS1_IfES2_S2_EEvT2_20rocsparse_direction_NS_24const_host_device_scalarIT0_EES4_PKS4_PKT1_SD_SA_PKT3_PKT4_S8_PT5_21rocsparse_index_base_b
		.amdhsa_group_segment_fixed_size 7744
		.amdhsa_private_segment_fixed_size 0
		.amdhsa_kernarg_size 112
		.amdhsa_user_sgpr_count 6
		.amdhsa_user_sgpr_private_segment_buffer 1
		.amdhsa_user_sgpr_dispatch_ptr 0
		.amdhsa_user_sgpr_queue_ptr 0
		.amdhsa_user_sgpr_kernarg_segment_ptr 1
		.amdhsa_user_sgpr_dispatch_id 0
		.amdhsa_user_sgpr_flat_scratch_init 0
		.amdhsa_user_sgpr_private_segment_size 0
		.amdhsa_uses_dynamic_stack 0
		.amdhsa_system_sgpr_private_segment_wavefront_offset 0
		.amdhsa_system_sgpr_workgroup_id_x 1
		.amdhsa_system_sgpr_workgroup_id_y 0
		.amdhsa_system_sgpr_workgroup_id_z 0
		.amdhsa_system_sgpr_workgroup_info 0
		.amdhsa_system_vgpr_workitem_id 0
		.amdhsa_next_free_vgpr 26
		.amdhsa_next_free_sgpr 18
		.amdhsa_reserve_vcc 1
		.amdhsa_reserve_flat_scratch 0
		.amdhsa_float_round_mode_32 0
		.amdhsa_float_round_mode_16_64 0
		.amdhsa_float_denorm_mode_32 3
		.amdhsa_float_denorm_mode_16_64 3
		.amdhsa_dx10_clamp 1
		.amdhsa_ieee_mode 1
		.amdhsa_fp16_overflow 0
		.amdhsa_exception_fp_ieee_invalid_op 0
		.amdhsa_exception_fp_denorm_src 0
		.amdhsa_exception_fp_ieee_div_zero 0
		.amdhsa_exception_fp_ieee_overflow 0
		.amdhsa_exception_fp_ieee_underflow 0
		.amdhsa_exception_fp_ieee_inexact 0
		.amdhsa_exception_int_div_zero 0
	.end_amdhsa_kernel
	.section	.text._ZN9rocsparseL20bsrxmvn_17_32_kernelILj22E21rocsparse_complex_numIdEiiS1_IfES2_S2_EEvT2_20rocsparse_direction_NS_24const_host_device_scalarIT0_EES4_PKS4_PKT1_SD_SA_PKT3_PKT4_S8_PT5_21rocsparse_index_base_b,"axG",@progbits,_ZN9rocsparseL20bsrxmvn_17_32_kernelILj22E21rocsparse_complex_numIdEiiS1_IfES2_S2_EEvT2_20rocsparse_direction_NS_24const_host_device_scalarIT0_EES4_PKS4_PKT1_SD_SA_PKT3_PKT4_S8_PT5_21rocsparse_index_base_b,comdat
.Lfunc_end533:
	.size	_ZN9rocsparseL20bsrxmvn_17_32_kernelILj22E21rocsparse_complex_numIdEiiS1_IfES2_S2_EEvT2_20rocsparse_direction_NS_24const_host_device_scalarIT0_EES4_PKS4_PKT1_SD_SA_PKT3_PKT4_S8_PT5_21rocsparse_index_base_b, .Lfunc_end533-_ZN9rocsparseL20bsrxmvn_17_32_kernelILj22E21rocsparse_complex_numIdEiiS1_IfES2_S2_EEvT2_20rocsparse_direction_NS_24const_host_device_scalarIT0_EES4_PKS4_PKT1_SD_SA_PKT3_PKT4_S8_PT5_21rocsparse_index_base_b
                                        ; -- End function
	.set _ZN9rocsparseL20bsrxmvn_17_32_kernelILj22E21rocsparse_complex_numIdEiiS1_IfES2_S2_EEvT2_20rocsparse_direction_NS_24const_host_device_scalarIT0_EES4_PKS4_PKT1_SD_SA_PKT3_PKT4_S8_PT5_21rocsparse_index_base_b.num_vgpr, 26
	.set _ZN9rocsparseL20bsrxmvn_17_32_kernelILj22E21rocsparse_complex_numIdEiiS1_IfES2_S2_EEvT2_20rocsparse_direction_NS_24const_host_device_scalarIT0_EES4_PKS4_PKT1_SD_SA_PKT3_PKT4_S8_PT5_21rocsparse_index_base_b.num_agpr, 0
	.set _ZN9rocsparseL20bsrxmvn_17_32_kernelILj22E21rocsparse_complex_numIdEiiS1_IfES2_S2_EEvT2_20rocsparse_direction_NS_24const_host_device_scalarIT0_EES4_PKS4_PKT1_SD_SA_PKT3_PKT4_S8_PT5_21rocsparse_index_base_b.numbered_sgpr, 18
	.set _ZN9rocsparseL20bsrxmvn_17_32_kernelILj22E21rocsparse_complex_numIdEiiS1_IfES2_S2_EEvT2_20rocsparse_direction_NS_24const_host_device_scalarIT0_EES4_PKS4_PKT1_SD_SA_PKT3_PKT4_S8_PT5_21rocsparse_index_base_b.num_named_barrier, 0
	.set _ZN9rocsparseL20bsrxmvn_17_32_kernelILj22E21rocsparse_complex_numIdEiiS1_IfES2_S2_EEvT2_20rocsparse_direction_NS_24const_host_device_scalarIT0_EES4_PKS4_PKT1_SD_SA_PKT3_PKT4_S8_PT5_21rocsparse_index_base_b.private_seg_size, 0
	.set _ZN9rocsparseL20bsrxmvn_17_32_kernelILj22E21rocsparse_complex_numIdEiiS1_IfES2_S2_EEvT2_20rocsparse_direction_NS_24const_host_device_scalarIT0_EES4_PKS4_PKT1_SD_SA_PKT3_PKT4_S8_PT5_21rocsparse_index_base_b.uses_vcc, 1
	.set _ZN9rocsparseL20bsrxmvn_17_32_kernelILj22E21rocsparse_complex_numIdEiiS1_IfES2_S2_EEvT2_20rocsparse_direction_NS_24const_host_device_scalarIT0_EES4_PKS4_PKT1_SD_SA_PKT3_PKT4_S8_PT5_21rocsparse_index_base_b.uses_flat_scratch, 0
	.set _ZN9rocsparseL20bsrxmvn_17_32_kernelILj22E21rocsparse_complex_numIdEiiS1_IfES2_S2_EEvT2_20rocsparse_direction_NS_24const_host_device_scalarIT0_EES4_PKS4_PKT1_SD_SA_PKT3_PKT4_S8_PT5_21rocsparse_index_base_b.has_dyn_sized_stack, 0
	.set _ZN9rocsparseL20bsrxmvn_17_32_kernelILj22E21rocsparse_complex_numIdEiiS1_IfES2_S2_EEvT2_20rocsparse_direction_NS_24const_host_device_scalarIT0_EES4_PKS4_PKT1_SD_SA_PKT3_PKT4_S8_PT5_21rocsparse_index_base_b.has_recursion, 0
	.set _ZN9rocsparseL20bsrxmvn_17_32_kernelILj22E21rocsparse_complex_numIdEiiS1_IfES2_S2_EEvT2_20rocsparse_direction_NS_24const_host_device_scalarIT0_EES4_PKS4_PKT1_SD_SA_PKT3_PKT4_S8_PT5_21rocsparse_index_base_b.has_indirect_call, 0
	.section	.AMDGPU.csdata,"",@progbits
; Kernel info:
; codeLenInByte = 1652
; TotalNumSgprs: 22
; NumVgprs: 26
; ScratchSize: 0
; MemoryBound: 0
; FloatMode: 240
; IeeeMode: 1
; LDSByteSize: 7744 bytes/workgroup (compile time only)
; SGPRBlocks: 2
; VGPRBlocks: 6
; NumSGPRsForWavesPerEU: 22
; NumVGPRsForWavesPerEU: 26
; Occupancy: 9
; WaveLimiterHint : 1
; COMPUTE_PGM_RSRC2:SCRATCH_EN: 0
; COMPUTE_PGM_RSRC2:USER_SGPR: 6
; COMPUTE_PGM_RSRC2:TRAP_HANDLER: 0
; COMPUTE_PGM_RSRC2:TGID_X_EN: 1
; COMPUTE_PGM_RSRC2:TGID_Y_EN: 0
; COMPUTE_PGM_RSRC2:TGID_Z_EN: 0
; COMPUTE_PGM_RSRC2:TIDIG_COMP_CNT: 0
	.section	.text._ZN9rocsparseL20bsrxmvn_17_32_kernelILj23E21rocsparse_complex_numIdEiiS1_IfES2_S2_EEvT2_20rocsparse_direction_NS_24const_host_device_scalarIT0_EES4_PKS4_PKT1_SD_SA_PKT3_PKT4_S8_PT5_21rocsparse_index_base_b,"axG",@progbits,_ZN9rocsparseL20bsrxmvn_17_32_kernelILj23E21rocsparse_complex_numIdEiiS1_IfES2_S2_EEvT2_20rocsparse_direction_NS_24const_host_device_scalarIT0_EES4_PKS4_PKT1_SD_SA_PKT3_PKT4_S8_PT5_21rocsparse_index_base_b,comdat
	.globl	_ZN9rocsparseL20bsrxmvn_17_32_kernelILj23E21rocsparse_complex_numIdEiiS1_IfES2_S2_EEvT2_20rocsparse_direction_NS_24const_host_device_scalarIT0_EES4_PKS4_PKT1_SD_SA_PKT3_PKT4_S8_PT5_21rocsparse_index_base_b ; -- Begin function _ZN9rocsparseL20bsrxmvn_17_32_kernelILj23E21rocsparse_complex_numIdEiiS1_IfES2_S2_EEvT2_20rocsparse_direction_NS_24const_host_device_scalarIT0_EES4_PKS4_PKT1_SD_SA_PKT3_PKT4_S8_PT5_21rocsparse_index_base_b
	.p2align	8
	.type	_ZN9rocsparseL20bsrxmvn_17_32_kernelILj23E21rocsparse_complex_numIdEiiS1_IfES2_S2_EEvT2_20rocsparse_direction_NS_24const_host_device_scalarIT0_EES4_PKS4_PKT1_SD_SA_PKT3_PKT4_S8_PT5_21rocsparse_index_base_b,@function
_ZN9rocsparseL20bsrxmvn_17_32_kernelILj23E21rocsparse_complex_numIdEiiS1_IfES2_S2_EEvT2_20rocsparse_direction_NS_24const_host_device_scalarIT0_EES4_PKS4_PKT1_SD_SA_PKT3_PKT4_S8_PT5_21rocsparse_index_base_b: ; @_ZN9rocsparseL20bsrxmvn_17_32_kernelILj23E21rocsparse_complex_numIdEiiS1_IfES2_S2_EEvT2_20rocsparse_direction_NS_24const_host_device_scalarIT0_EES4_PKS4_PKT1_SD_SA_PKT3_PKT4_S8_PT5_21rocsparse_index_base_b
; %bb.0:
	s_load_dwordx2 s[0:1], s[4:5], 0x8
	s_load_dwordx2 s[14:15], s[4:5], 0x68
	s_add_u32 s7, s4, 8
	s_addc_u32 s8, s5, 0
	s_add_u32 s9, s4, 0x50
	s_addc_u32 s10, s5, 0
	s_waitcnt lgkmcnt(0)
	s_bitcmp1_b32 s15, 0
	s_cselect_b32 s1, s8, s1
	s_cselect_b32 s0, s7, s0
	v_mov_b32_e32 v1, s0
	v_mov_b32_e32 v2, s1
	flat_load_dwordx4 v[5:8], v[1:2]
	s_load_dwordx2 s[2:3], s[4:5], 0x50
	s_waitcnt lgkmcnt(0)
	s_cselect_b32 s0, s10, s3
	s_cselect_b32 s1, s9, s2
	v_mov_b32_e32 v1, s1
	v_mov_b32_e32 v2, s0
	flat_load_dwordx4 v[1:4], v[1:2]
	s_waitcnt vmcnt(0)
	v_cmp_eq_f64_e32 vcc, 0, v[5:6]
	v_cmp_eq_f64_e64 s[0:1], 0, v[7:8]
	s_and_b64 s[8:9], vcc, s[0:1]
	s_mov_b64 s[0:1], -1
	s_and_saveexec_b64 s[2:3], s[8:9]
	s_cbranch_execz .LBB534_2
; %bb.1:
	s_waitcnt lgkmcnt(0)
	v_cmp_neq_f64_e32 vcc, 1.0, v[1:2]
	v_cmp_neq_f64_e64 s[0:1], 0, v[3:4]
	s_or_b64 s[0:1], vcc, s[0:1]
	s_orn2_b64 s[0:1], s[0:1], exec
.LBB534_2:
	s_or_b64 exec, exec, s[2:3]
	s_and_saveexec_b64 s[2:3], s[0:1]
	s_cbranch_execz .LBB534_39
; %bb.3:
	s_load_dwordx4 s[0:3], s[4:5], 0x20
	s_load_dwordx2 s[8:9], s[4:5], 0x30
	s_waitcnt lgkmcnt(0)
	s_cmp_eq_u64 s[0:1], 0
	s_cbranch_scc1 .LBB534_5
; %bb.4:
	s_ashr_i32 s7, s6, 31
	s_lshl_b64 s[6:7], s[6:7], 2
	s_add_u32 s0, s0, s6
	s_addc_u32 s1, s1, s7
	s_load_dword s0, s[0:1], 0x0
	s_waitcnt lgkmcnt(0)
	s_sub_i32 s6, s0, s14
.LBB534_5:
	s_load_dword s0, s[4:5], 0x4
	s_load_dwordx2 s[12:13], s[4:5], 0x60
	v_mul_u32_u24_e32 v13, 0xb22, v0
	v_mov_b32_e32 v9, 23
	v_mul_lo_u16_sdwa v14, v13, v9 dst_sel:DWORD dst_unused:UNUSED_PAD src0_sel:WORD_1 src1_sel:DWORD
	s_waitcnt lgkmcnt(0)
	s_cmp_eq_u32 s0, 1
	s_cselect_b64 vcc, -1, 0
	s_cmp_lg_u32 s0, 1
	s_cselect_b64 s[16:17], -1, 0
	s_ashr_i32 s7, s6, 31
	s_lshl_b64 s[0:1], s[6:7], 2
	s_add_u32 s2, s2, s0
	s_addc_u32 s3, s3, s1
	s_load_dword s7, s[2:3], 0x0
	s_add_u32 s2, s2, 4
	s_addc_u32 s3, s3, 0
	s_add_u32 s0, s8, s0
	s_addc_u32 s1, s9, s1
	s_cmp_eq_u64 s[8:9], 0
	s_cselect_b32 s1, s3, s1
	s_cselect_b32 s0, s2, s0
	s_load_dword s0, s[0:1], 0x0
	v_mov_b32_e32 v11, 0
	v_mov_b32_e32 v9, 0
	;; [unrolled: 1-line block ×4, first 2 shown]
	s_waitcnt lgkmcnt(0)
	s_cmp_ge_i32 s7, s0
	v_sub_u16_e32 v18, v0, v14
	s_cbranch_scc1 .LBB534_10
; %bb.6:
	s_load_dwordx2 s[2:3], s[4:5], 0x48
	s_load_dwordx4 s[8:11], s[4:5], 0x38
	s_sub_i32 s4, s0, s14
	s_mov_b32 s0, 0xffff
	s_movk_i32 s1, 0x211
	v_and_b32_sdwa v9, s0, v13 dst_sel:DWORD dst_unused:UNUSED_PAD src0_sel:DWORD src1_sel:WORD_1
	v_subrev_u32_e32 v10, 23, v9
	v_cmp_gt_u32_e64 s[0:1], s1, v0
	s_sub_i32 s5, s7, s14
	v_cndmask_b32_e64 v9, v10, v9, s[0:1]
	s_mul_i32 s1, s5, 0x1088
	s_mul_hi_i32 s0, s5, 0x1088
	s_waitcnt lgkmcnt(0)
	s_add_u32 s1, s10, s1
	v_cndmask_b32_e32 v13, v18, v9, vcc
	s_addc_u32 s0, s11, s0
	v_lshlrev_b32_e32 v9, 3, v0
	v_mov_b32_e32 v10, s0
	v_add_co_u32_e32 v14, vcc, s1, v9
	v_addc_co_u32_e32 v15, vcc, 0, v10, vcc
	s_movk_i32 s0, 0x210
	v_mov_b32_e32 v11, 0
	v_mov_b32_e32 v12, 0
	v_cmp_lt_u32_e32 vcc, s0, v0
	v_mov_b32_e32 v9, v11
	v_cndmask_b32_e64 v19, 0, 1, vcc
	v_mov_b32_e32 v10, v12
	s_branch .LBB534_8
.LBB534_7:                              ;   in Loop: Header=BB534_8 Depth=1
	s_or_b64 exec, exec, s[0:1]
	s_add_i32 s5, s5, 1
	s_cmp_lt_i32 s5, s4
	s_cbranch_scc0 .LBB534_10
.LBB534_8:                              ; =>This Inner Loop Header: Depth=1
	v_add_u32_e32 v16, s5, v19
	v_cmp_gt_i32_e32 vcc, s4, v16
	s_and_saveexec_b64 s[0:1], vcc
	s_cbranch_execz .LBB534_7
; %bb.9:                                ;   in Loop: Header=BB534_8 Depth=1
	v_ashrrev_i32_e32 v17, 31, v16
	v_lshlrev_b64 v[16:17], 2, v[16:17]
	v_mov_b32_e32 v20, s9
	v_add_co_u32_e32 v16, vcc, s8, v16
	v_addc_co_u32_e32 v17, vcc, v20, v17, vcc
	global_load_dword v16, v[16:17], off
	v_mov_b32_e32 v20, s3
	global_load_dwordx2 v[24:25], v[14:15], off
	s_waitcnt vmcnt(1)
	v_subrev_u32_e32 v16, s14, v16
	v_mad_u64_u32 v[16:17], s[10:11], v16, 23, v[13:14]
	v_ashrrev_i32_e32 v17, 31, v16
	v_lshlrev_b64 v[16:17], 4, v[16:17]
	v_add_co_u32_e32 v16, vcc, s2, v16
	v_addc_co_u32_e32 v17, vcc, v20, v17, vcc
	global_load_dwordx4 v[20:23], v[16:17], off
	s_waitcnt vmcnt(1)
	v_cvt_f64_f32_e32 v[16:17], v24
	v_cvt_f64_f32_e32 v[24:25], v25
	v_add_co_u32_e32 v14, vcc, 0x1088, v14
	v_addc_co_u32_e32 v15, vcc, 0, v15, vcc
	s_waitcnt vmcnt(0)
	v_fma_f64 v[9:10], v[16:17], v[20:21], v[9:10]
	v_fma_f64 v[11:12], v[24:25], v[20:21], v[11:12]
	v_fma_f64 v[9:10], -v[24:25], v[22:23], v[9:10]
	v_fma_f64 v[11:12], v[16:17], v[22:23], v[11:12]
	s_branch .LBB534_7
.LBB534_10:
	v_lshlrev_b32_e32 v17, 4, v0
	s_and_b64 vcc, exec, s[16:17]
	ds_write_b128 v17, v[9:12]
	s_waitcnt lgkmcnt(0)
	s_barrier
	s_cbranch_vccz .LBB534_22
; %bb.11:
	v_cmp_gt_u16_e32 vcc, 7, v18
	s_and_saveexec_b64 s[0:1], vcc
	s_cbranch_execz .LBB534_13
; %bb.12:
	ds_read_b128 v[13:16], v17 offset:256
	ds_read_b128 v[19:22], v17
	s_waitcnt lgkmcnt(0)
	v_add_f64 v[13:14], v[13:14], v[19:20]
	v_add_f64 v[15:16], v[15:16], v[21:22]
	ds_write_b128 v17, v[13:16]
.LBB534_13:
	s_or_b64 exec, exec, s[0:1]
	v_cmp_gt_u16_e32 vcc, 8, v18
	s_waitcnt lgkmcnt(0)
	s_barrier
	s_and_saveexec_b64 s[0:1], vcc
	s_cbranch_execz .LBB534_15
; %bb.14:
	ds_read_b128 v[13:16], v17 offset:128
	ds_read_b128 v[19:22], v17
	s_waitcnt lgkmcnt(0)
	v_add_f64 v[13:14], v[13:14], v[19:20]
	v_add_f64 v[15:16], v[15:16], v[21:22]
	ds_write_b128 v17, v[13:16]
.LBB534_15:
	s_or_b64 exec, exec, s[0:1]
	v_cmp_gt_u16_e32 vcc, 4, v18
	s_waitcnt lgkmcnt(0)
	s_barrier
	;; [unrolled: 14-line block ×3, first 2 shown]
	s_and_saveexec_b64 s[0:1], vcc
	s_cbranch_execz .LBB534_19
; %bb.18:
	ds_read_b128 v[13:16], v17
	ds_read_b128 v[18:21], v17 offset:32
	s_waitcnt lgkmcnt(0)
	v_add_f64 v[13:14], v[18:19], v[13:14]
	v_add_f64 v[15:16], v[20:21], v[15:16]
	ds_write_b128 v17, v[13:16]
.LBB534_19:
	s_or_b64 exec, exec, s[0:1]
	v_mov_b32_e32 v16, v12
	v_mov_b32_e32 v14, v10
	v_cmp_gt_u32_e32 vcc, 23, v0
	v_mov_b32_e32 v15, v11
	v_mov_b32_e32 v13, v9
	s_waitcnt lgkmcnt(0)
	s_barrier
	s_and_saveexec_b64 s[0:1], vcc
	s_cbranch_execz .LBB534_21
; %bb.20:
	s_movk_i32 s2, 0x160
	v_mad_u32_u24 v18, v0, s2, v17
	ds_read_b128 v[13:16], v18
	ds_read_b128 v[18:21], v18 offset:16
	s_waitcnt lgkmcnt(0)
	v_add_f64 v[13:14], v[18:19], v[13:14]
	v_add_f64 v[15:16], v[20:21], v[15:16]
.LBB534_21:
	s_or_b64 exec, exec, s[0:1]
	s_branch .LBB534_34
.LBB534_22:
                                        ; implicit-def: $vgpr15_vgpr16
                                        ; implicit-def: $vgpr13_vgpr14
	s_cbranch_execz .LBB534_34
; %bb.23:
	s_movk_i32 s0, 0xa1
	v_cmp_gt_u32_e32 vcc, s0, v0
	s_and_saveexec_b64 s[0:1], vcc
	s_cbranch_execz .LBB534_25
; %bb.24:
	ds_read_b128 v[13:16], v17 offset:5888
	ds_read_b128 v[18:21], v17
	s_waitcnt lgkmcnt(0)
	v_add_f64 v[13:14], v[13:14], v[18:19]
	v_add_f64 v[15:16], v[15:16], v[20:21]
	ds_write_b128 v17, v[13:16]
.LBB534_25:
	s_or_b64 exec, exec, s[0:1]
	s_movk_i32 s0, 0xb8
	v_cmp_gt_u32_e32 vcc, s0, v0
	s_waitcnt lgkmcnt(0)
	s_barrier
	s_and_saveexec_b64 s[0:1], vcc
	s_cbranch_execz .LBB534_27
; %bb.26:
	ds_read_b128 v[13:16], v17 offset:2944
	ds_read_b128 v[18:21], v17
	s_waitcnt lgkmcnt(0)
	v_add_f64 v[13:14], v[13:14], v[18:19]
	v_add_f64 v[15:16], v[15:16], v[20:21]
	ds_write_b128 v17, v[13:16]
.LBB534_27:
	s_or_b64 exec, exec, s[0:1]
	s_movk_i32 s0, 0x5c
	v_cmp_gt_u32_e32 vcc, s0, v0
	s_waitcnt lgkmcnt(0)
	s_barrier
	s_and_saveexec_b64 s[0:1], vcc
	s_cbranch_execz .LBB534_29
; %bb.28:
	ds_read_b128 v[13:16], v17 offset:1472
	ds_read_b128 v[18:21], v17
	s_waitcnt lgkmcnt(0)
	v_add_f64 v[13:14], v[13:14], v[18:19]
	v_add_f64 v[15:16], v[15:16], v[20:21]
	ds_write_b128 v17, v[13:16]
.LBB534_29:
	s_or_b64 exec, exec, s[0:1]
	v_cmp_gt_u32_e32 vcc, 46, v0
	s_waitcnt lgkmcnt(0)
	s_barrier
	s_and_saveexec_b64 s[0:1], vcc
	s_cbranch_execz .LBB534_31
; %bb.30:
	ds_read_b128 v[13:16], v17 offset:736
	ds_read_b128 v[18:21], v17
	s_waitcnt lgkmcnt(0)
	v_add_f64 v[13:14], v[13:14], v[18:19]
	v_add_f64 v[15:16], v[15:16], v[20:21]
	ds_write_b128 v17, v[13:16]
.LBB534_31:
	s_or_b64 exec, exec, s[0:1]
	v_cmp_gt_u32_e32 vcc, 23, v0
	s_waitcnt lgkmcnt(0)
	s_and_saveexec_b64 s[0:1], vcc
	s_cbranch_execz .LBB534_33
; %bb.32:
	ds_read_b128 v[9:12], v17 offset:368
	ds_read_b128 v[13:16], v17
	s_waitcnt lgkmcnt(0)
	v_add_f64 v[9:10], v[9:10], v[13:14]
	v_add_f64 v[11:12], v[11:12], v[15:16]
.LBB534_33:
	s_or_b64 exec, exec, s[0:1]
	v_mov_b32_e32 v16, v12
	v_mov_b32_e32 v14, v10
	;; [unrolled: 1-line block ×4, first 2 shown]
.LBB534_34:
	v_cmp_gt_u32_e32 vcc, 23, v0
	s_and_b64 exec, exec, vcc
	s_cbranch_execz .LBB534_39
; %bb.35:
	v_mul_f64 v[9:10], v[15:16], -v[7:8]
	v_mul_f64 v[11:12], v[5:6], v[15:16]
	v_cmp_eq_f64_e32 vcc, 0, v[1:2]
	v_cmp_eq_f64_e64 s[0:1], 0, v[3:4]
	v_fma_f64 v[5:6], v[5:6], v[13:14], v[9:10]
	v_fma_f64 v[7:8], v[7:8], v[13:14], v[11:12]
	s_and_b64 s[0:1], vcc, s[0:1]
	s_and_saveexec_b64 s[2:3], s[0:1]
	s_xor_b64 s[0:1], exec, s[2:3]
	s_cbranch_execz .LBB534_37
; %bb.36:
	v_mad_u64_u32 v[0:1], s[2:3], s6, 23, v[0:1]
	v_mov_b32_e32 v1, 0
	v_mov_b32_e32 v2, s13
	v_lshlrev_b64 v[0:1], 4, v[0:1]
	v_add_co_u32_e32 v0, vcc, s12, v0
	v_addc_co_u32_e32 v1, vcc, v2, v1, vcc
	global_store_dwordx4 v[0:1], v[5:8], off
                                        ; implicit-def: $vgpr0
                                        ; implicit-def: $vgpr1_vgpr2
                                        ; implicit-def: $vgpr5_vgpr6
.LBB534_37:
	s_andn2_saveexec_b64 s[0:1], s[0:1]
	s_cbranch_execz .LBB534_39
; %bb.38:
	v_mad_u64_u32 v[9:10], s[0:1], s6, 23, v[0:1]
	v_mov_b32_e32 v10, 0
	v_mov_b32_e32 v0, s13
	v_lshlrev_b64 v[9:10], 4, v[9:10]
	v_add_co_u32_e32 v13, vcc, s12, v9
	v_addc_co_u32_e32 v14, vcc, v0, v10, vcc
	global_load_dwordx4 v[9:12], v[13:14], off
	s_waitcnt vmcnt(0)
	v_fma_f64 v[5:6], v[1:2], v[9:10], v[5:6]
	v_fma_f64 v[7:8], v[3:4], v[9:10], v[7:8]
	v_fma_f64 v[3:4], -v[3:4], v[11:12], v[5:6]
	v_fma_f64 v[5:6], v[1:2], v[11:12], v[7:8]
	global_store_dwordx4 v[13:14], v[3:6], off
.LBB534_39:
	s_endpgm
	.section	.rodata,"a",@progbits
	.p2align	6, 0x0
	.amdhsa_kernel _ZN9rocsparseL20bsrxmvn_17_32_kernelILj23E21rocsparse_complex_numIdEiiS1_IfES2_S2_EEvT2_20rocsparse_direction_NS_24const_host_device_scalarIT0_EES4_PKS4_PKT1_SD_SA_PKT3_PKT4_S8_PT5_21rocsparse_index_base_b
		.amdhsa_group_segment_fixed_size 8464
		.amdhsa_private_segment_fixed_size 0
		.amdhsa_kernarg_size 112
		.amdhsa_user_sgpr_count 6
		.amdhsa_user_sgpr_private_segment_buffer 1
		.amdhsa_user_sgpr_dispatch_ptr 0
		.amdhsa_user_sgpr_queue_ptr 0
		.amdhsa_user_sgpr_kernarg_segment_ptr 1
		.amdhsa_user_sgpr_dispatch_id 0
		.amdhsa_user_sgpr_flat_scratch_init 0
		.amdhsa_user_sgpr_private_segment_size 0
		.amdhsa_uses_dynamic_stack 0
		.amdhsa_system_sgpr_private_segment_wavefront_offset 0
		.amdhsa_system_sgpr_workgroup_id_x 1
		.amdhsa_system_sgpr_workgroup_id_y 0
		.amdhsa_system_sgpr_workgroup_id_z 0
		.amdhsa_system_sgpr_workgroup_info 0
		.amdhsa_system_vgpr_workitem_id 0
		.amdhsa_next_free_vgpr 26
		.amdhsa_next_free_sgpr 61
		.amdhsa_reserve_vcc 1
		.amdhsa_reserve_flat_scratch 0
		.amdhsa_float_round_mode_32 0
		.amdhsa_float_round_mode_16_64 0
		.amdhsa_float_denorm_mode_32 3
		.amdhsa_float_denorm_mode_16_64 3
		.amdhsa_dx10_clamp 1
		.amdhsa_ieee_mode 1
		.amdhsa_fp16_overflow 0
		.amdhsa_exception_fp_ieee_invalid_op 0
		.amdhsa_exception_fp_denorm_src 0
		.amdhsa_exception_fp_ieee_div_zero 0
		.amdhsa_exception_fp_ieee_overflow 0
		.amdhsa_exception_fp_ieee_underflow 0
		.amdhsa_exception_fp_ieee_inexact 0
		.amdhsa_exception_int_div_zero 0
	.end_amdhsa_kernel
	.section	.text._ZN9rocsparseL20bsrxmvn_17_32_kernelILj23E21rocsparse_complex_numIdEiiS1_IfES2_S2_EEvT2_20rocsparse_direction_NS_24const_host_device_scalarIT0_EES4_PKS4_PKT1_SD_SA_PKT3_PKT4_S8_PT5_21rocsparse_index_base_b,"axG",@progbits,_ZN9rocsparseL20bsrxmvn_17_32_kernelILj23E21rocsparse_complex_numIdEiiS1_IfES2_S2_EEvT2_20rocsparse_direction_NS_24const_host_device_scalarIT0_EES4_PKS4_PKT1_SD_SA_PKT3_PKT4_S8_PT5_21rocsparse_index_base_b,comdat
.Lfunc_end534:
	.size	_ZN9rocsparseL20bsrxmvn_17_32_kernelILj23E21rocsparse_complex_numIdEiiS1_IfES2_S2_EEvT2_20rocsparse_direction_NS_24const_host_device_scalarIT0_EES4_PKS4_PKT1_SD_SA_PKT3_PKT4_S8_PT5_21rocsparse_index_base_b, .Lfunc_end534-_ZN9rocsparseL20bsrxmvn_17_32_kernelILj23E21rocsparse_complex_numIdEiiS1_IfES2_S2_EEvT2_20rocsparse_direction_NS_24const_host_device_scalarIT0_EES4_PKS4_PKT1_SD_SA_PKT3_PKT4_S8_PT5_21rocsparse_index_base_b
                                        ; -- End function
	.set _ZN9rocsparseL20bsrxmvn_17_32_kernelILj23E21rocsparse_complex_numIdEiiS1_IfES2_S2_EEvT2_20rocsparse_direction_NS_24const_host_device_scalarIT0_EES4_PKS4_PKT1_SD_SA_PKT3_PKT4_S8_PT5_21rocsparse_index_base_b.num_vgpr, 26
	.set _ZN9rocsparseL20bsrxmvn_17_32_kernelILj23E21rocsparse_complex_numIdEiiS1_IfES2_S2_EEvT2_20rocsparse_direction_NS_24const_host_device_scalarIT0_EES4_PKS4_PKT1_SD_SA_PKT3_PKT4_S8_PT5_21rocsparse_index_base_b.num_agpr, 0
	.set _ZN9rocsparseL20bsrxmvn_17_32_kernelILj23E21rocsparse_complex_numIdEiiS1_IfES2_S2_EEvT2_20rocsparse_direction_NS_24const_host_device_scalarIT0_EES4_PKS4_PKT1_SD_SA_PKT3_PKT4_S8_PT5_21rocsparse_index_base_b.numbered_sgpr, 18
	.set _ZN9rocsparseL20bsrxmvn_17_32_kernelILj23E21rocsparse_complex_numIdEiiS1_IfES2_S2_EEvT2_20rocsparse_direction_NS_24const_host_device_scalarIT0_EES4_PKS4_PKT1_SD_SA_PKT3_PKT4_S8_PT5_21rocsparse_index_base_b.num_named_barrier, 0
	.set _ZN9rocsparseL20bsrxmvn_17_32_kernelILj23E21rocsparse_complex_numIdEiiS1_IfES2_S2_EEvT2_20rocsparse_direction_NS_24const_host_device_scalarIT0_EES4_PKS4_PKT1_SD_SA_PKT3_PKT4_S8_PT5_21rocsparse_index_base_b.private_seg_size, 0
	.set _ZN9rocsparseL20bsrxmvn_17_32_kernelILj23E21rocsparse_complex_numIdEiiS1_IfES2_S2_EEvT2_20rocsparse_direction_NS_24const_host_device_scalarIT0_EES4_PKS4_PKT1_SD_SA_PKT3_PKT4_S8_PT5_21rocsparse_index_base_b.uses_vcc, 1
	.set _ZN9rocsparseL20bsrxmvn_17_32_kernelILj23E21rocsparse_complex_numIdEiiS1_IfES2_S2_EEvT2_20rocsparse_direction_NS_24const_host_device_scalarIT0_EES4_PKS4_PKT1_SD_SA_PKT3_PKT4_S8_PT5_21rocsparse_index_base_b.uses_flat_scratch, 0
	.set _ZN9rocsparseL20bsrxmvn_17_32_kernelILj23E21rocsparse_complex_numIdEiiS1_IfES2_S2_EEvT2_20rocsparse_direction_NS_24const_host_device_scalarIT0_EES4_PKS4_PKT1_SD_SA_PKT3_PKT4_S8_PT5_21rocsparse_index_base_b.has_dyn_sized_stack, 0
	.set _ZN9rocsparseL20bsrxmvn_17_32_kernelILj23E21rocsparse_complex_numIdEiiS1_IfES2_S2_EEvT2_20rocsparse_direction_NS_24const_host_device_scalarIT0_EES4_PKS4_PKT1_SD_SA_PKT3_PKT4_S8_PT5_21rocsparse_index_base_b.has_recursion, 0
	.set _ZN9rocsparseL20bsrxmvn_17_32_kernelILj23E21rocsparse_complex_numIdEiiS1_IfES2_S2_EEvT2_20rocsparse_direction_NS_24const_host_device_scalarIT0_EES4_PKS4_PKT1_SD_SA_PKT3_PKT4_S8_PT5_21rocsparse_index_base_b.has_indirect_call, 0
	.section	.AMDGPU.csdata,"",@progbits
; Kernel info:
; codeLenInByte = 1656
; TotalNumSgprs: 22
; NumVgprs: 26
; ScratchSize: 0
; MemoryBound: 0
; FloatMode: 240
; IeeeMode: 1
; LDSByteSize: 8464 bytes/workgroup (compile time only)
; SGPRBlocks: 8
; VGPRBlocks: 6
; NumSGPRsForWavesPerEU: 65
; NumVGPRsForWavesPerEU: 26
; Occupancy: 9
; WaveLimiterHint : 1
; COMPUTE_PGM_RSRC2:SCRATCH_EN: 0
; COMPUTE_PGM_RSRC2:USER_SGPR: 6
; COMPUTE_PGM_RSRC2:TRAP_HANDLER: 0
; COMPUTE_PGM_RSRC2:TGID_X_EN: 1
; COMPUTE_PGM_RSRC2:TGID_Y_EN: 0
; COMPUTE_PGM_RSRC2:TGID_Z_EN: 0
; COMPUTE_PGM_RSRC2:TIDIG_COMP_CNT: 0
	.section	.text._ZN9rocsparseL20bsrxmvn_17_32_kernelILj24E21rocsparse_complex_numIdEiiS1_IfES2_S2_EEvT2_20rocsparse_direction_NS_24const_host_device_scalarIT0_EES4_PKS4_PKT1_SD_SA_PKT3_PKT4_S8_PT5_21rocsparse_index_base_b,"axG",@progbits,_ZN9rocsparseL20bsrxmvn_17_32_kernelILj24E21rocsparse_complex_numIdEiiS1_IfES2_S2_EEvT2_20rocsparse_direction_NS_24const_host_device_scalarIT0_EES4_PKS4_PKT1_SD_SA_PKT3_PKT4_S8_PT5_21rocsparse_index_base_b,comdat
	.globl	_ZN9rocsparseL20bsrxmvn_17_32_kernelILj24E21rocsparse_complex_numIdEiiS1_IfES2_S2_EEvT2_20rocsparse_direction_NS_24const_host_device_scalarIT0_EES4_PKS4_PKT1_SD_SA_PKT3_PKT4_S8_PT5_21rocsparse_index_base_b ; -- Begin function _ZN9rocsparseL20bsrxmvn_17_32_kernelILj24E21rocsparse_complex_numIdEiiS1_IfES2_S2_EEvT2_20rocsparse_direction_NS_24const_host_device_scalarIT0_EES4_PKS4_PKT1_SD_SA_PKT3_PKT4_S8_PT5_21rocsparse_index_base_b
	.p2align	8
	.type	_ZN9rocsparseL20bsrxmvn_17_32_kernelILj24E21rocsparse_complex_numIdEiiS1_IfES2_S2_EEvT2_20rocsparse_direction_NS_24const_host_device_scalarIT0_EES4_PKS4_PKT1_SD_SA_PKT3_PKT4_S8_PT5_21rocsparse_index_base_b,@function
_ZN9rocsparseL20bsrxmvn_17_32_kernelILj24E21rocsparse_complex_numIdEiiS1_IfES2_S2_EEvT2_20rocsparse_direction_NS_24const_host_device_scalarIT0_EES4_PKS4_PKT1_SD_SA_PKT3_PKT4_S8_PT5_21rocsparse_index_base_b: ; @_ZN9rocsparseL20bsrxmvn_17_32_kernelILj24E21rocsparse_complex_numIdEiiS1_IfES2_S2_EEvT2_20rocsparse_direction_NS_24const_host_device_scalarIT0_EES4_PKS4_PKT1_SD_SA_PKT3_PKT4_S8_PT5_21rocsparse_index_base_b
; %bb.0:
	s_load_dwordx2 s[0:1], s[4:5], 0x8
	s_load_dwordx2 s[14:15], s[4:5], 0x68
	s_add_u32 s7, s4, 8
	s_addc_u32 s8, s5, 0
	s_add_u32 s9, s4, 0x50
	s_addc_u32 s10, s5, 0
	s_waitcnt lgkmcnt(0)
	s_bitcmp1_b32 s15, 0
	s_cselect_b32 s1, s8, s1
	s_cselect_b32 s0, s7, s0
	v_mov_b32_e32 v1, s0
	v_mov_b32_e32 v2, s1
	flat_load_dwordx4 v[5:8], v[1:2]
	s_load_dwordx2 s[2:3], s[4:5], 0x50
	s_waitcnt lgkmcnt(0)
	s_cselect_b32 s0, s10, s3
	s_cselect_b32 s1, s9, s2
	v_mov_b32_e32 v1, s1
	v_mov_b32_e32 v2, s0
	flat_load_dwordx4 v[1:4], v[1:2]
	s_waitcnt vmcnt(0)
	v_cmp_eq_f64_e32 vcc, 0, v[5:6]
	v_cmp_eq_f64_e64 s[0:1], 0, v[7:8]
	s_and_b64 s[8:9], vcc, s[0:1]
	s_mov_b64 s[0:1], -1
	s_and_saveexec_b64 s[2:3], s[8:9]
	s_cbranch_execz .LBB535_2
; %bb.1:
	s_waitcnt lgkmcnt(0)
	v_cmp_neq_f64_e32 vcc, 1.0, v[1:2]
	v_cmp_neq_f64_e64 s[0:1], 0, v[3:4]
	s_or_b64 s[0:1], vcc, s[0:1]
	s_orn2_b64 s[0:1], s[0:1], exec
.LBB535_2:
	s_or_b64 exec, exec, s[2:3]
	s_and_saveexec_b64 s[2:3], s[0:1]
	s_cbranch_execz .LBB535_39
; %bb.3:
	s_load_dwordx4 s[0:3], s[4:5], 0x20
	s_load_dwordx2 s[8:9], s[4:5], 0x30
	s_waitcnt lgkmcnt(0)
	s_cmp_eq_u64 s[0:1], 0
	s_cbranch_scc1 .LBB535_5
; %bb.4:
	s_ashr_i32 s7, s6, 31
	s_lshl_b64 s[6:7], s[6:7], 2
	s_add_u32 s0, s0, s6
	s_addc_u32 s1, s1, s7
	s_load_dword s0, s[0:1], 0x0
	s_waitcnt lgkmcnt(0)
	s_sub_i32 s6, s0, s14
.LBB535_5:
	s_load_dword s0, s[4:5], 0x4
	s_load_dwordx2 s[12:13], s[4:5], 0x60
	v_mul_u32_u24_e32 v13, 0xaab, v0
	v_mov_b32_e32 v9, 24
	v_mul_lo_u16_sdwa v14, v13, v9 dst_sel:DWORD dst_unused:UNUSED_PAD src0_sel:WORD_1 src1_sel:DWORD
	s_waitcnt lgkmcnt(0)
	s_cmp_eq_u32 s0, 1
	s_cselect_b64 vcc, -1, 0
	s_cmp_lg_u32 s0, 1
	s_cselect_b64 s[16:17], -1, 0
	s_ashr_i32 s7, s6, 31
	s_lshl_b64 s[0:1], s[6:7], 2
	s_add_u32 s2, s2, s0
	s_addc_u32 s3, s3, s1
	s_load_dword s7, s[2:3], 0x0
	s_add_u32 s2, s2, 4
	s_addc_u32 s3, s3, 0
	s_add_u32 s0, s8, s0
	s_addc_u32 s1, s9, s1
	s_cmp_eq_u64 s[8:9], 0
	s_cselect_b32 s1, s3, s1
	s_cselect_b32 s0, s2, s0
	s_load_dword s0, s[0:1], 0x0
	v_mov_b32_e32 v11, 0
	v_mov_b32_e32 v9, 0
	;; [unrolled: 1-line block ×4, first 2 shown]
	s_waitcnt lgkmcnt(0)
	s_cmp_ge_i32 s7, s0
	v_sub_u16_e32 v18, v0, v14
	s_cbranch_scc1 .LBB535_10
; %bb.6:
	s_load_dwordx2 s[2:3], s[4:5], 0x48
	s_load_dwordx4 s[8:11], s[4:5], 0x38
	s_sub_i32 s4, s0, s14
	s_mov_b32 s0, 0xffff
	s_movk_i32 s1, 0x240
	v_and_b32_sdwa v9, s0, v13 dst_sel:DWORD dst_unused:UNUSED_PAD src0_sel:DWORD src1_sel:WORD_1
	v_subrev_u32_e32 v10, 24, v9
	v_cmp_gt_u32_e64 s[0:1], s1, v0
	s_sub_i32 s5, s7, s14
	v_cndmask_b32_e64 v9, v10, v9, s[0:1]
	s_mul_i32 s1, s5, 0x1200
	s_mul_hi_i32 s0, s5, 0x1200
	s_waitcnt lgkmcnt(0)
	s_add_u32 s1, s10, s1
	v_cndmask_b32_e32 v13, v18, v9, vcc
	s_addc_u32 s0, s11, s0
	v_lshlrev_b32_e32 v9, 3, v0
	v_mov_b32_e32 v10, s0
	v_add_co_u32_e32 v14, vcc, s1, v9
	v_addc_co_u32_e32 v15, vcc, 0, v10, vcc
	s_movk_i32 s0, 0x23f
	v_mov_b32_e32 v11, 0
	v_mov_b32_e32 v12, 0
	v_cmp_lt_u32_e32 vcc, s0, v0
	v_mov_b32_e32 v9, v11
	v_cndmask_b32_e64 v19, 0, 1, vcc
	v_mov_b32_e32 v10, v12
	s_branch .LBB535_8
.LBB535_7:                              ;   in Loop: Header=BB535_8 Depth=1
	s_or_b64 exec, exec, s[0:1]
	s_add_i32 s5, s5, 1
	s_cmp_lt_i32 s5, s4
	s_cbranch_scc0 .LBB535_10
.LBB535_8:                              ; =>This Inner Loop Header: Depth=1
	v_add_u32_e32 v16, s5, v19
	v_cmp_gt_i32_e32 vcc, s4, v16
	s_and_saveexec_b64 s[0:1], vcc
	s_cbranch_execz .LBB535_7
; %bb.9:                                ;   in Loop: Header=BB535_8 Depth=1
	v_ashrrev_i32_e32 v17, 31, v16
	v_lshlrev_b64 v[16:17], 2, v[16:17]
	v_mov_b32_e32 v20, s9
	v_add_co_u32_e32 v16, vcc, s8, v16
	v_addc_co_u32_e32 v17, vcc, v20, v17, vcc
	global_load_dword v16, v[16:17], off
	v_mov_b32_e32 v20, s3
	global_load_dwordx2 v[24:25], v[14:15], off
	s_waitcnt vmcnt(1)
	v_subrev_u32_e32 v16, s14, v16
	v_mad_u64_u32 v[16:17], s[10:11], v16, 24, v[13:14]
	v_ashrrev_i32_e32 v17, 31, v16
	v_lshlrev_b64 v[16:17], 4, v[16:17]
	v_add_co_u32_e32 v16, vcc, s2, v16
	v_addc_co_u32_e32 v17, vcc, v20, v17, vcc
	global_load_dwordx4 v[20:23], v[16:17], off
	s_waitcnt vmcnt(1)
	v_cvt_f64_f32_e32 v[16:17], v24
	v_cvt_f64_f32_e32 v[24:25], v25
	v_add_co_u32_e32 v14, vcc, 0x1200, v14
	v_addc_co_u32_e32 v15, vcc, 0, v15, vcc
	s_waitcnt vmcnt(0)
	v_fma_f64 v[9:10], v[16:17], v[20:21], v[9:10]
	v_fma_f64 v[11:12], v[24:25], v[20:21], v[11:12]
	v_fma_f64 v[9:10], -v[24:25], v[22:23], v[9:10]
	v_fma_f64 v[11:12], v[16:17], v[22:23], v[11:12]
	s_branch .LBB535_7
.LBB535_10:
	v_lshlrev_b32_e32 v17, 4, v0
	s_and_b64 vcc, exec, s[16:17]
	ds_write_b128 v17, v[9:12]
	s_waitcnt lgkmcnt(0)
	s_barrier
	s_cbranch_vccz .LBB535_22
; %bb.11:
	v_cmp_gt_u16_e32 vcc, 8, v18
	s_and_saveexec_b64 s[0:1], vcc
	s_cbranch_execz .LBB535_13
; %bb.12:
	ds_read_b128 v[13:16], v17 offset:256
	ds_read_b128 v[19:22], v17
	s_waitcnt lgkmcnt(0)
	v_add_f64 v[13:14], v[13:14], v[19:20]
	v_add_f64 v[15:16], v[15:16], v[21:22]
	ds_write_b128 v17, v[13:16]
.LBB535_13:
	s_or_b64 exec, exec, s[0:1]
	s_waitcnt lgkmcnt(0)
	s_barrier
	s_and_saveexec_b64 s[0:1], vcc
	s_cbranch_execz .LBB535_15
; %bb.14:
	ds_read_b128 v[13:16], v17 offset:128
	ds_read_b128 v[19:22], v17
	s_waitcnt lgkmcnt(0)
	v_add_f64 v[13:14], v[13:14], v[19:20]
	v_add_f64 v[15:16], v[15:16], v[21:22]
	ds_write_b128 v17, v[13:16]
.LBB535_15:
	s_or_b64 exec, exec, s[0:1]
	v_cmp_gt_u16_e32 vcc, 4, v18
	s_waitcnt lgkmcnt(0)
	s_barrier
	s_and_saveexec_b64 s[0:1], vcc
	s_cbranch_execz .LBB535_17
; %bb.16:
	ds_read_b128 v[13:16], v17 offset:64
	ds_read_b128 v[19:22], v17
	s_waitcnt lgkmcnt(0)
	v_add_f64 v[13:14], v[13:14], v[19:20]
	v_add_f64 v[15:16], v[15:16], v[21:22]
	ds_write_b128 v17, v[13:16]
.LBB535_17:
	s_or_b64 exec, exec, s[0:1]
	v_cmp_gt_u16_e32 vcc, 2, v18
	s_waitcnt lgkmcnt(0)
	s_barrier
	s_and_saveexec_b64 s[0:1], vcc
	s_cbranch_execz .LBB535_19
; %bb.18:
	ds_read_b128 v[13:16], v17
	ds_read_b128 v[18:21], v17 offset:32
	s_waitcnt lgkmcnt(0)
	v_add_f64 v[13:14], v[18:19], v[13:14]
	v_add_f64 v[15:16], v[20:21], v[15:16]
	ds_write_b128 v17, v[13:16]
.LBB535_19:
	s_or_b64 exec, exec, s[0:1]
	v_mov_b32_e32 v16, v12
	v_mov_b32_e32 v14, v10
	v_cmp_gt_u32_e32 vcc, 24, v0
	v_mov_b32_e32 v15, v11
	v_mov_b32_e32 v13, v9
	s_waitcnt lgkmcnt(0)
	s_barrier
	s_and_saveexec_b64 s[0:1], vcc
	s_cbranch_execz .LBB535_21
; %bb.20:
	s_movk_i32 s2, 0x170
	v_mad_u32_u24 v18, v0, s2, v17
	ds_read_b128 v[13:16], v18
	ds_read_b128 v[18:21], v18 offset:16
	s_waitcnt lgkmcnt(0)
	v_add_f64 v[13:14], v[18:19], v[13:14]
	v_add_f64 v[15:16], v[20:21], v[15:16]
.LBB535_21:
	s_or_b64 exec, exec, s[0:1]
	s_branch .LBB535_34
.LBB535_22:
                                        ; implicit-def: $vgpr15_vgpr16
                                        ; implicit-def: $vgpr13_vgpr14
	s_cbranch_execz .LBB535_34
; %bb.23:
	s_movk_i32 s0, 0xc0
	v_cmp_gt_u32_e32 vcc, s0, v0
	s_and_saveexec_b64 s[0:1], vcc
	s_cbranch_execz .LBB535_25
; %bb.24:
	ds_read_b128 v[13:16], v17 offset:6144
	ds_read_b128 v[18:21], v17
	s_waitcnt lgkmcnt(0)
	v_add_f64 v[13:14], v[13:14], v[18:19]
	v_add_f64 v[15:16], v[15:16], v[20:21]
	ds_write_b128 v17, v[13:16]
.LBB535_25:
	s_or_b64 exec, exec, s[0:1]
	s_waitcnt lgkmcnt(0)
	s_barrier
	s_and_saveexec_b64 s[0:1], vcc
	s_cbranch_execz .LBB535_27
; %bb.26:
	ds_read_b128 v[13:16], v17 offset:3072
	ds_read_b128 v[18:21], v17
	s_waitcnt lgkmcnt(0)
	v_add_f64 v[13:14], v[13:14], v[18:19]
	v_add_f64 v[15:16], v[15:16], v[20:21]
	ds_write_b128 v17, v[13:16]
.LBB535_27:
	s_or_b64 exec, exec, s[0:1]
	s_movk_i32 s0, 0x60
	v_cmp_gt_u32_e32 vcc, s0, v0
	s_waitcnt lgkmcnt(0)
	s_barrier
	s_and_saveexec_b64 s[0:1], vcc
	s_cbranch_execz .LBB535_29
; %bb.28:
	ds_read_b128 v[13:16], v17 offset:1536
	ds_read_b128 v[18:21], v17
	s_waitcnt lgkmcnt(0)
	v_add_f64 v[13:14], v[13:14], v[18:19]
	v_add_f64 v[15:16], v[15:16], v[20:21]
	ds_write_b128 v17, v[13:16]
.LBB535_29:
	s_or_b64 exec, exec, s[0:1]
	v_cmp_gt_u32_e32 vcc, 48, v0
	s_waitcnt lgkmcnt(0)
	s_barrier
	s_and_saveexec_b64 s[0:1], vcc
	s_cbranch_execz .LBB535_31
; %bb.30:
	ds_read_b128 v[13:16], v17 offset:768
	ds_read_b128 v[18:21], v17
	s_waitcnt lgkmcnt(0)
	v_add_f64 v[13:14], v[13:14], v[18:19]
	v_add_f64 v[15:16], v[15:16], v[20:21]
	ds_write_b128 v17, v[13:16]
.LBB535_31:
	s_or_b64 exec, exec, s[0:1]
	v_cmp_gt_u32_e32 vcc, 24, v0
	s_waitcnt lgkmcnt(0)
	s_and_saveexec_b64 s[0:1], vcc
	s_cbranch_execz .LBB535_33
; %bb.32:
	ds_read_b128 v[9:12], v17 offset:384
	ds_read_b128 v[13:16], v17
	s_waitcnt lgkmcnt(0)
	v_add_f64 v[9:10], v[9:10], v[13:14]
	v_add_f64 v[11:12], v[11:12], v[15:16]
.LBB535_33:
	s_or_b64 exec, exec, s[0:1]
	v_mov_b32_e32 v16, v12
	v_mov_b32_e32 v14, v10
	;; [unrolled: 1-line block ×4, first 2 shown]
.LBB535_34:
	v_cmp_gt_u32_e32 vcc, 24, v0
	s_and_b64 exec, exec, vcc
	s_cbranch_execz .LBB535_39
; %bb.35:
	v_mul_f64 v[9:10], v[15:16], -v[7:8]
	v_mul_f64 v[11:12], v[5:6], v[15:16]
	v_cmp_eq_f64_e32 vcc, 0, v[1:2]
	v_cmp_eq_f64_e64 s[0:1], 0, v[3:4]
	v_fma_f64 v[5:6], v[5:6], v[13:14], v[9:10]
	v_fma_f64 v[7:8], v[7:8], v[13:14], v[11:12]
	s_and_b64 s[0:1], vcc, s[0:1]
	s_and_saveexec_b64 s[2:3], s[0:1]
	s_xor_b64 s[0:1], exec, s[2:3]
	s_cbranch_execz .LBB535_37
; %bb.36:
	v_mad_u64_u32 v[0:1], s[2:3], s6, 24, v[0:1]
	v_mov_b32_e32 v1, 0
	v_mov_b32_e32 v2, s13
	v_lshlrev_b64 v[0:1], 4, v[0:1]
	v_add_co_u32_e32 v0, vcc, s12, v0
	v_addc_co_u32_e32 v1, vcc, v2, v1, vcc
	global_store_dwordx4 v[0:1], v[5:8], off
                                        ; implicit-def: $vgpr0
                                        ; implicit-def: $vgpr1_vgpr2
                                        ; implicit-def: $vgpr5_vgpr6
.LBB535_37:
	s_andn2_saveexec_b64 s[0:1], s[0:1]
	s_cbranch_execz .LBB535_39
; %bb.38:
	v_mad_u64_u32 v[9:10], s[0:1], s6, 24, v[0:1]
	v_mov_b32_e32 v10, 0
	v_mov_b32_e32 v0, s13
	v_lshlrev_b64 v[9:10], 4, v[9:10]
	v_add_co_u32_e32 v13, vcc, s12, v9
	v_addc_co_u32_e32 v14, vcc, v0, v10, vcc
	global_load_dwordx4 v[9:12], v[13:14], off
	s_waitcnt vmcnt(0)
	v_fma_f64 v[5:6], v[1:2], v[9:10], v[5:6]
	v_fma_f64 v[7:8], v[3:4], v[9:10], v[7:8]
	v_fma_f64 v[3:4], -v[3:4], v[11:12], v[5:6]
	v_fma_f64 v[5:6], v[1:2], v[11:12], v[7:8]
	global_store_dwordx4 v[13:14], v[3:6], off
.LBB535_39:
	s_endpgm
	.section	.rodata,"a",@progbits
	.p2align	6, 0x0
	.amdhsa_kernel _ZN9rocsparseL20bsrxmvn_17_32_kernelILj24E21rocsparse_complex_numIdEiiS1_IfES2_S2_EEvT2_20rocsparse_direction_NS_24const_host_device_scalarIT0_EES4_PKS4_PKT1_SD_SA_PKT3_PKT4_S8_PT5_21rocsparse_index_base_b
		.amdhsa_group_segment_fixed_size 9216
		.amdhsa_private_segment_fixed_size 0
		.amdhsa_kernarg_size 112
		.amdhsa_user_sgpr_count 6
		.amdhsa_user_sgpr_private_segment_buffer 1
		.amdhsa_user_sgpr_dispatch_ptr 0
		.amdhsa_user_sgpr_queue_ptr 0
		.amdhsa_user_sgpr_kernarg_segment_ptr 1
		.amdhsa_user_sgpr_dispatch_id 0
		.amdhsa_user_sgpr_flat_scratch_init 0
		.amdhsa_user_sgpr_private_segment_size 0
		.amdhsa_uses_dynamic_stack 0
		.amdhsa_system_sgpr_private_segment_wavefront_offset 0
		.amdhsa_system_sgpr_workgroup_id_x 1
		.amdhsa_system_sgpr_workgroup_id_y 0
		.amdhsa_system_sgpr_workgroup_id_z 0
		.amdhsa_system_sgpr_workgroup_info 0
		.amdhsa_system_vgpr_workitem_id 0
		.amdhsa_next_free_vgpr 26
		.amdhsa_next_free_sgpr 61
		.amdhsa_reserve_vcc 1
		.amdhsa_reserve_flat_scratch 0
		.amdhsa_float_round_mode_32 0
		.amdhsa_float_round_mode_16_64 0
		.amdhsa_float_denorm_mode_32 3
		.amdhsa_float_denorm_mode_16_64 3
		.amdhsa_dx10_clamp 1
		.amdhsa_ieee_mode 1
		.amdhsa_fp16_overflow 0
		.amdhsa_exception_fp_ieee_invalid_op 0
		.amdhsa_exception_fp_denorm_src 0
		.amdhsa_exception_fp_ieee_div_zero 0
		.amdhsa_exception_fp_ieee_overflow 0
		.amdhsa_exception_fp_ieee_underflow 0
		.amdhsa_exception_fp_ieee_inexact 0
		.amdhsa_exception_int_div_zero 0
	.end_amdhsa_kernel
	.section	.text._ZN9rocsparseL20bsrxmvn_17_32_kernelILj24E21rocsparse_complex_numIdEiiS1_IfES2_S2_EEvT2_20rocsparse_direction_NS_24const_host_device_scalarIT0_EES4_PKS4_PKT1_SD_SA_PKT3_PKT4_S8_PT5_21rocsparse_index_base_b,"axG",@progbits,_ZN9rocsparseL20bsrxmvn_17_32_kernelILj24E21rocsparse_complex_numIdEiiS1_IfES2_S2_EEvT2_20rocsparse_direction_NS_24const_host_device_scalarIT0_EES4_PKS4_PKT1_SD_SA_PKT3_PKT4_S8_PT5_21rocsparse_index_base_b,comdat
.Lfunc_end535:
	.size	_ZN9rocsparseL20bsrxmvn_17_32_kernelILj24E21rocsparse_complex_numIdEiiS1_IfES2_S2_EEvT2_20rocsparse_direction_NS_24const_host_device_scalarIT0_EES4_PKS4_PKT1_SD_SA_PKT3_PKT4_S8_PT5_21rocsparse_index_base_b, .Lfunc_end535-_ZN9rocsparseL20bsrxmvn_17_32_kernelILj24E21rocsparse_complex_numIdEiiS1_IfES2_S2_EEvT2_20rocsparse_direction_NS_24const_host_device_scalarIT0_EES4_PKS4_PKT1_SD_SA_PKT3_PKT4_S8_PT5_21rocsparse_index_base_b
                                        ; -- End function
	.set _ZN9rocsparseL20bsrxmvn_17_32_kernelILj24E21rocsparse_complex_numIdEiiS1_IfES2_S2_EEvT2_20rocsparse_direction_NS_24const_host_device_scalarIT0_EES4_PKS4_PKT1_SD_SA_PKT3_PKT4_S8_PT5_21rocsparse_index_base_b.num_vgpr, 26
	.set _ZN9rocsparseL20bsrxmvn_17_32_kernelILj24E21rocsparse_complex_numIdEiiS1_IfES2_S2_EEvT2_20rocsparse_direction_NS_24const_host_device_scalarIT0_EES4_PKS4_PKT1_SD_SA_PKT3_PKT4_S8_PT5_21rocsparse_index_base_b.num_agpr, 0
	.set _ZN9rocsparseL20bsrxmvn_17_32_kernelILj24E21rocsparse_complex_numIdEiiS1_IfES2_S2_EEvT2_20rocsparse_direction_NS_24const_host_device_scalarIT0_EES4_PKS4_PKT1_SD_SA_PKT3_PKT4_S8_PT5_21rocsparse_index_base_b.numbered_sgpr, 18
	.set _ZN9rocsparseL20bsrxmvn_17_32_kernelILj24E21rocsparse_complex_numIdEiiS1_IfES2_S2_EEvT2_20rocsparse_direction_NS_24const_host_device_scalarIT0_EES4_PKS4_PKT1_SD_SA_PKT3_PKT4_S8_PT5_21rocsparse_index_base_b.num_named_barrier, 0
	.set _ZN9rocsparseL20bsrxmvn_17_32_kernelILj24E21rocsparse_complex_numIdEiiS1_IfES2_S2_EEvT2_20rocsparse_direction_NS_24const_host_device_scalarIT0_EES4_PKS4_PKT1_SD_SA_PKT3_PKT4_S8_PT5_21rocsparse_index_base_b.private_seg_size, 0
	.set _ZN9rocsparseL20bsrxmvn_17_32_kernelILj24E21rocsparse_complex_numIdEiiS1_IfES2_S2_EEvT2_20rocsparse_direction_NS_24const_host_device_scalarIT0_EES4_PKS4_PKT1_SD_SA_PKT3_PKT4_S8_PT5_21rocsparse_index_base_b.uses_vcc, 1
	.set _ZN9rocsparseL20bsrxmvn_17_32_kernelILj24E21rocsparse_complex_numIdEiiS1_IfES2_S2_EEvT2_20rocsparse_direction_NS_24const_host_device_scalarIT0_EES4_PKS4_PKT1_SD_SA_PKT3_PKT4_S8_PT5_21rocsparse_index_base_b.uses_flat_scratch, 0
	.set _ZN9rocsparseL20bsrxmvn_17_32_kernelILj24E21rocsparse_complex_numIdEiiS1_IfES2_S2_EEvT2_20rocsparse_direction_NS_24const_host_device_scalarIT0_EES4_PKS4_PKT1_SD_SA_PKT3_PKT4_S8_PT5_21rocsparse_index_base_b.has_dyn_sized_stack, 0
	.set _ZN9rocsparseL20bsrxmvn_17_32_kernelILj24E21rocsparse_complex_numIdEiiS1_IfES2_S2_EEvT2_20rocsparse_direction_NS_24const_host_device_scalarIT0_EES4_PKS4_PKT1_SD_SA_PKT3_PKT4_S8_PT5_21rocsparse_index_base_b.has_recursion, 0
	.set _ZN9rocsparseL20bsrxmvn_17_32_kernelILj24E21rocsparse_complex_numIdEiiS1_IfES2_S2_EEvT2_20rocsparse_direction_NS_24const_host_device_scalarIT0_EES4_PKS4_PKT1_SD_SA_PKT3_PKT4_S8_PT5_21rocsparse_index_base_b.has_indirect_call, 0
	.section	.AMDGPU.csdata,"",@progbits
; Kernel info:
; codeLenInByte = 1644
; TotalNumSgprs: 22
; NumVgprs: 26
; ScratchSize: 0
; MemoryBound: 0
; FloatMode: 240
; IeeeMode: 1
; LDSByteSize: 9216 bytes/workgroup (compile time only)
; SGPRBlocks: 8
; VGPRBlocks: 6
; NumSGPRsForWavesPerEU: 65
; NumVGPRsForWavesPerEU: 26
; Occupancy: 9
; WaveLimiterHint : 1
; COMPUTE_PGM_RSRC2:SCRATCH_EN: 0
; COMPUTE_PGM_RSRC2:USER_SGPR: 6
; COMPUTE_PGM_RSRC2:TRAP_HANDLER: 0
; COMPUTE_PGM_RSRC2:TGID_X_EN: 1
; COMPUTE_PGM_RSRC2:TGID_Y_EN: 0
; COMPUTE_PGM_RSRC2:TGID_Z_EN: 0
; COMPUTE_PGM_RSRC2:TIDIG_COMP_CNT: 0
	.section	.text._ZN9rocsparseL20bsrxmvn_17_32_kernelILj25E21rocsparse_complex_numIdEiiS1_IfES2_S2_EEvT2_20rocsparse_direction_NS_24const_host_device_scalarIT0_EES4_PKS4_PKT1_SD_SA_PKT3_PKT4_S8_PT5_21rocsparse_index_base_b,"axG",@progbits,_ZN9rocsparseL20bsrxmvn_17_32_kernelILj25E21rocsparse_complex_numIdEiiS1_IfES2_S2_EEvT2_20rocsparse_direction_NS_24const_host_device_scalarIT0_EES4_PKS4_PKT1_SD_SA_PKT3_PKT4_S8_PT5_21rocsparse_index_base_b,comdat
	.globl	_ZN9rocsparseL20bsrxmvn_17_32_kernelILj25E21rocsparse_complex_numIdEiiS1_IfES2_S2_EEvT2_20rocsparse_direction_NS_24const_host_device_scalarIT0_EES4_PKS4_PKT1_SD_SA_PKT3_PKT4_S8_PT5_21rocsparse_index_base_b ; -- Begin function _ZN9rocsparseL20bsrxmvn_17_32_kernelILj25E21rocsparse_complex_numIdEiiS1_IfES2_S2_EEvT2_20rocsparse_direction_NS_24const_host_device_scalarIT0_EES4_PKS4_PKT1_SD_SA_PKT3_PKT4_S8_PT5_21rocsparse_index_base_b
	.p2align	8
	.type	_ZN9rocsparseL20bsrxmvn_17_32_kernelILj25E21rocsparse_complex_numIdEiiS1_IfES2_S2_EEvT2_20rocsparse_direction_NS_24const_host_device_scalarIT0_EES4_PKS4_PKT1_SD_SA_PKT3_PKT4_S8_PT5_21rocsparse_index_base_b,@function
_ZN9rocsparseL20bsrxmvn_17_32_kernelILj25E21rocsparse_complex_numIdEiiS1_IfES2_S2_EEvT2_20rocsparse_direction_NS_24const_host_device_scalarIT0_EES4_PKS4_PKT1_SD_SA_PKT3_PKT4_S8_PT5_21rocsparse_index_base_b: ; @_ZN9rocsparseL20bsrxmvn_17_32_kernelILj25E21rocsparse_complex_numIdEiiS1_IfES2_S2_EEvT2_20rocsparse_direction_NS_24const_host_device_scalarIT0_EES4_PKS4_PKT1_SD_SA_PKT3_PKT4_S8_PT5_21rocsparse_index_base_b
; %bb.0:
	s_load_dwordx2 s[0:1], s[4:5], 0x8
	s_load_dwordx2 s[14:15], s[4:5], 0x68
	s_add_u32 s7, s4, 8
	s_addc_u32 s8, s5, 0
	s_add_u32 s9, s4, 0x50
	s_addc_u32 s10, s5, 0
	s_waitcnt lgkmcnt(0)
	s_bitcmp1_b32 s15, 0
	s_cselect_b32 s1, s8, s1
	s_cselect_b32 s0, s7, s0
	v_mov_b32_e32 v1, s0
	v_mov_b32_e32 v2, s1
	flat_load_dwordx4 v[5:8], v[1:2]
	s_load_dwordx2 s[2:3], s[4:5], 0x50
	s_waitcnt lgkmcnt(0)
	s_cselect_b32 s0, s10, s3
	s_cselect_b32 s1, s9, s2
	v_mov_b32_e32 v1, s1
	v_mov_b32_e32 v2, s0
	flat_load_dwordx4 v[1:4], v[1:2]
	s_waitcnt vmcnt(0)
	v_cmp_eq_f64_e32 vcc, 0, v[5:6]
	v_cmp_eq_f64_e64 s[0:1], 0, v[7:8]
	s_and_b64 s[8:9], vcc, s[0:1]
	s_mov_b64 s[0:1], -1
	s_and_saveexec_b64 s[2:3], s[8:9]
	s_cbranch_execz .LBB536_2
; %bb.1:
	s_waitcnt lgkmcnt(0)
	v_cmp_neq_f64_e32 vcc, 1.0, v[1:2]
	v_cmp_neq_f64_e64 s[0:1], 0, v[3:4]
	s_or_b64 s[0:1], vcc, s[0:1]
	s_orn2_b64 s[0:1], s[0:1], exec
.LBB536_2:
	s_or_b64 exec, exec, s[2:3]
	s_and_saveexec_b64 s[2:3], s[0:1]
	s_cbranch_execz .LBB536_39
; %bb.3:
	s_load_dwordx4 s[0:3], s[4:5], 0x20
	s_load_dwordx2 s[8:9], s[4:5], 0x30
	s_waitcnt lgkmcnt(0)
	s_cmp_eq_u64 s[0:1], 0
	s_cbranch_scc1 .LBB536_5
; %bb.4:
	s_ashr_i32 s7, s6, 31
	s_lshl_b64 s[6:7], s[6:7], 2
	s_add_u32 s0, s0, s6
	s_addc_u32 s1, s1, s7
	s_load_dword s0, s[0:1], 0x0
	s_waitcnt lgkmcnt(0)
	s_sub_i32 s6, s0, s14
.LBB536_5:
	s_load_dword s0, s[4:5], 0x4
	s_load_dwordx2 s[12:13], s[4:5], 0x60
	v_mul_u32_u24_e32 v13, 0xa3e, v0
	v_mov_b32_e32 v9, 25
	v_mul_lo_u16_sdwa v14, v13, v9 dst_sel:DWORD dst_unused:UNUSED_PAD src0_sel:WORD_1 src1_sel:DWORD
	s_waitcnt lgkmcnt(0)
	s_cmp_eq_u32 s0, 1
	s_cselect_b64 vcc, -1, 0
	s_cmp_lg_u32 s0, 1
	s_cselect_b64 s[16:17], -1, 0
	s_ashr_i32 s7, s6, 31
	s_lshl_b64 s[0:1], s[6:7], 2
	s_add_u32 s2, s2, s0
	s_addc_u32 s3, s3, s1
	s_load_dword s7, s[2:3], 0x0
	s_add_u32 s2, s2, 4
	s_addc_u32 s3, s3, 0
	s_add_u32 s0, s8, s0
	s_addc_u32 s1, s9, s1
	s_cmp_eq_u64 s[8:9], 0
	s_cselect_b32 s1, s3, s1
	s_cselect_b32 s0, s2, s0
	s_load_dword s0, s[0:1], 0x0
	v_mov_b32_e32 v11, 0
	v_mov_b32_e32 v9, 0
	;; [unrolled: 1-line block ×4, first 2 shown]
	s_waitcnt lgkmcnt(0)
	s_cmp_ge_i32 s7, s0
	v_sub_u16_e32 v18, v0, v14
	s_cbranch_scc1 .LBB536_10
; %bb.6:
	s_load_dwordx2 s[2:3], s[4:5], 0x48
	s_load_dwordx4 s[8:11], s[4:5], 0x38
	s_sub_i32 s4, s0, s14
	s_mov_b32 s0, 0xffff
	s_movk_i32 s1, 0x271
	v_and_b32_sdwa v9, s0, v13 dst_sel:DWORD dst_unused:UNUSED_PAD src0_sel:DWORD src1_sel:WORD_1
	v_subrev_u32_e32 v10, 25, v9
	v_cmp_gt_u32_e64 s[0:1], s1, v0
	s_sub_i32 s5, s7, s14
	v_cndmask_b32_e64 v9, v10, v9, s[0:1]
	s_mul_i32 s1, s5, 0x1388
	s_mul_hi_i32 s0, s5, 0x1388
	s_waitcnt lgkmcnt(0)
	s_add_u32 s1, s10, s1
	v_cndmask_b32_e32 v13, v18, v9, vcc
	s_addc_u32 s0, s11, s0
	v_lshlrev_b32_e32 v9, 3, v0
	v_mov_b32_e32 v10, s0
	v_add_co_u32_e32 v14, vcc, s1, v9
	v_addc_co_u32_e32 v15, vcc, 0, v10, vcc
	s_movk_i32 s0, 0x270
	v_mov_b32_e32 v11, 0
	v_mov_b32_e32 v12, 0
	v_cmp_lt_u32_e32 vcc, s0, v0
	v_mov_b32_e32 v9, v11
	v_cndmask_b32_e64 v19, 0, 1, vcc
	v_mov_b32_e32 v10, v12
	s_branch .LBB536_8
.LBB536_7:                              ;   in Loop: Header=BB536_8 Depth=1
	s_or_b64 exec, exec, s[0:1]
	s_add_i32 s5, s5, 1
	s_cmp_lt_i32 s5, s4
	s_cbranch_scc0 .LBB536_10
.LBB536_8:                              ; =>This Inner Loop Header: Depth=1
	v_add_u32_e32 v16, s5, v19
	v_cmp_gt_i32_e32 vcc, s4, v16
	s_and_saveexec_b64 s[0:1], vcc
	s_cbranch_execz .LBB536_7
; %bb.9:                                ;   in Loop: Header=BB536_8 Depth=1
	v_ashrrev_i32_e32 v17, 31, v16
	v_lshlrev_b64 v[16:17], 2, v[16:17]
	v_mov_b32_e32 v20, s9
	v_add_co_u32_e32 v16, vcc, s8, v16
	v_addc_co_u32_e32 v17, vcc, v20, v17, vcc
	global_load_dword v16, v[16:17], off
	v_mov_b32_e32 v20, s3
	global_load_dwordx2 v[24:25], v[14:15], off
	s_waitcnt vmcnt(1)
	v_subrev_u32_e32 v16, s14, v16
	v_mad_u64_u32 v[16:17], s[10:11], v16, 25, v[13:14]
	v_ashrrev_i32_e32 v17, 31, v16
	v_lshlrev_b64 v[16:17], 4, v[16:17]
	v_add_co_u32_e32 v16, vcc, s2, v16
	v_addc_co_u32_e32 v17, vcc, v20, v17, vcc
	global_load_dwordx4 v[20:23], v[16:17], off
	s_waitcnt vmcnt(1)
	v_cvt_f64_f32_e32 v[16:17], v24
	v_cvt_f64_f32_e32 v[24:25], v25
	v_add_co_u32_e32 v14, vcc, 0x1388, v14
	v_addc_co_u32_e32 v15, vcc, 0, v15, vcc
	s_waitcnt vmcnt(0)
	v_fma_f64 v[9:10], v[16:17], v[20:21], v[9:10]
	v_fma_f64 v[11:12], v[24:25], v[20:21], v[11:12]
	v_fma_f64 v[9:10], -v[24:25], v[22:23], v[9:10]
	v_fma_f64 v[11:12], v[16:17], v[22:23], v[11:12]
	s_branch .LBB536_7
.LBB536_10:
	v_lshlrev_b32_e32 v17, 4, v0
	s_and_b64 vcc, exec, s[16:17]
	ds_write_b128 v17, v[9:12]
	s_waitcnt lgkmcnt(0)
	s_barrier
	s_cbranch_vccz .LBB536_22
; %bb.11:
	v_cmp_gt_u16_e32 vcc, 9, v18
	s_and_saveexec_b64 s[0:1], vcc
	s_cbranch_execz .LBB536_13
; %bb.12:
	ds_read_b128 v[13:16], v17 offset:256
	ds_read_b128 v[19:22], v17
	s_waitcnt lgkmcnt(0)
	v_add_f64 v[13:14], v[13:14], v[19:20]
	v_add_f64 v[15:16], v[15:16], v[21:22]
	ds_write_b128 v17, v[13:16]
.LBB536_13:
	s_or_b64 exec, exec, s[0:1]
	v_cmp_gt_u16_e32 vcc, 8, v18
	s_waitcnt lgkmcnt(0)
	s_barrier
	s_and_saveexec_b64 s[0:1], vcc
	s_cbranch_execz .LBB536_15
; %bb.14:
	ds_read_b128 v[13:16], v17 offset:128
	ds_read_b128 v[19:22], v17
	s_waitcnt lgkmcnt(0)
	v_add_f64 v[13:14], v[13:14], v[19:20]
	v_add_f64 v[15:16], v[15:16], v[21:22]
	ds_write_b128 v17, v[13:16]
.LBB536_15:
	s_or_b64 exec, exec, s[0:1]
	v_cmp_gt_u16_e32 vcc, 4, v18
	s_waitcnt lgkmcnt(0)
	s_barrier
	;; [unrolled: 14-line block ×3, first 2 shown]
	s_and_saveexec_b64 s[0:1], vcc
	s_cbranch_execz .LBB536_19
; %bb.18:
	ds_read_b128 v[13:16], v17
	ds_read_b128 v[18:21], v17 offset:32
	s_waitcnt lgkmcnt(0)
	v_add_f64 v[13:14], v[18:19], v[13:14]
	v_add_f64 v[15:16], v[20:21], v[15:16]
	ds_write_b128 v17, v[13:16]
.LBB536_19:
	s_or_b64 exec, exec, s[0:1]
	v_mov_b32_e32 v16, v12
	v_mov_b32_e32 v14, v10
	v_cmp_gt_u32_e32 vcc, 25, v0
	v_mov_b32_e32 v15, v11
	v_mov_b32_e32 v13, v9
	s_waitcnt lgkmcnt(0)
	s_barrier
	s_and_saveexec_b64 s[0:1], vcc
	s_cbranch_execz .LBB536_21
; %bb.20:
	s_movk_i32 s2, 0x180
	v_mad_u32_u24 v18, v0, s2, v17
	ds_read_b128 v[13:16], v18
	ds_read_b128 v[18:21], v18 offset:16
	s_waitcnt lgkmcnt(0)
	v_add_f64 v[13:14], v[18:19], v[13:14]
	v_add_f64 v[15:16], v[20:21], v[15:16]
.LBB536_21:
	s_or_b64 exec, exec, s[0:1]
	s_branch .LBB536_34
.LBB536_22:
                                        ; implicit-def: $vgpr15_vgpr16
                                        ; implicit-def: $vgpr13_vgpr14
	s_cbranch_execz .LBB536_34
; %bb.23:
	s_movk_i32 s0, 0xe1
	v_cmp_gt_u32_e32 vcc, s0, v0
	s_and_saveexec_b64 s[0:1], vcc
	s_cbranch_execz .LBB536_25
; %bb.24:
	ds_read_b128 v[13:16], v17 offset:6400
	ds_read_b128 v[18:21], v17
	s_waitcnt lgkmcnt(0)
	v_add_f64 v[13:14], v[13:14], v[18:19]
	v_add_f64 v[15:16], v[15:16], v[20:21]
	ds_write_b128 v17, v[13:16]
.LBB536_25:
	s_or_b64 exec, exec, s[0:1]
	s_movk_i32 s0, 0xc8
	v_cmp_gt_u32_e32 vcc, s0, v0
	s_waitcnt lgkmcnt(0)
	s_barrier
	s_and_saveexec_b64 s[0:1], vcc
	s_cbranch_execz .LBB536_27
; %bb.26:
	ds_read_b128 v[13:16], v17 offset:3200
	ds_read_b128 v[18:21], v17
	s_waitcnt lgkmcnt(0)
	v_add_f64 v[13:14], v[13:14], v[18:19]
	v_add_f64 v[15:16], v[15:16], v[20:21]
	ds_write_b128 v17, v[13:16]
.LBB536_27:
	s_or_b64 exec, exec, s[0:1]
	s_movk_i32 s0, 0x64
	v_cmp_gt_u32_e32 vcc, s0, v0
	s_waitcnt lgkmcnt(0)
	s_barrier
	s_and_saveexec_b64 s[0:1], vcc
	s_cbranch_execz .LBB536_29
; %bb.28:
	ds_read_b128 v[13:16], v17 offset:1600
	ds_read_b128 v[18:21], v17
	s_waitcnt lgkmcnt(0)
	v_add_f64 v[13:14], v[13:14], v[18:19]
	v_add_f64 v[15:16], v[15:16], v[20:21]
	ds_write_b128 v17, v[13:16]
.LBB536_29:
	s_or_b64 exec, exec, s[0:1]
	v_cmp_gt_u32_e32 vcc, 50, v0
	s_waitcnt lgkmcnt(0)
	s_barrier
	s_and_saveexec_b64 s[0:1], vcc
	s_cbranch_execz .LBB536_31
; %bb.30:
	ds_read_b128 v[13:16], v17 offset:800
	ds_read_b128 v[18:21], v17
	s_waitcnt lgkmcnt(0)
	v_add_f64 v[13:14], v[13:14], v[18:19]
	v_add_f64 v[15:16], v[15:16], v[20:21]
	ds_write_b128 v17, v[13:16]
.LBB536_31:
	s_or_b64 exec, exec, s[0:1]
	v_cmp_gt_u32_e32 vcc, 25, v0
	s_waitcnt lgkmcnt(0)
	s_and_saveexec_b64 s[0:1], vcc
	s_cbranch_execz .LBB536_33
; %bb.32:
	ds_read_b128 v[9:12], v17 offset:400
	ds_read_b128 v[13:16], v17
	s_waitcnt lgkmcnt(0)
	v_add_f64 v[9:10], v[9:10], v[13:14]
	v_add_f64 v[11:12], v[11:12], v[15:16]
.LBB536_33:
	s_or_b64 exec, exec, s[0:1]
	v_mov_b32_e32 v16, v12
	v_mov_b32_e32 v14, v10
	;; [unrolled: 1-line block ×4, first 2 shown]
.LBB536_34:
	v_cmp_gt_u32_e32 vcc, 25, v0
	s_and_b64 exec, exec, vcc
	s_cbranch_execz .LBB536_39
; %bb.35:
	v_mul_f64 v[9:10], v[15:16], -v[7:8]
	v_mul_f64 v[11:12], v[5:6], v[15:16]
	v_cmp_eq_f64_e32 vcc, 0, v[1:2]
	v_cmp_eq_f64_e64 s[0:1], 0, v[3:4]
	v_fma_f64 v[5:6], v[5:6], v[13:14], v[9:10]
	v_fma_f64 v[7:8], v[7:8], v[13:14], v[11:12]
	s_and_b64 s[0:1], vcc, s[0:1]
	s_and_saveexec_b64 s[2:3], s[0:1]
	s_xor_b64 s[0:1], exec, s[2:3]
	s_cbranch_execz .LBB536_37
; %bb.36:
	v_mad_u64_u32 v[0:1], s[2:3], s6, 25, v[0:1]
	v_mov_b32_e32 v1, 0
	v_mov_b32_e32 v2, s13
	v_lshlrev_b64 v[0:1], 4, v[0:1]
	v_add_co_u32_e32 v0, vcc, s12, v0
	v_addc_co_u32_e32 v1, vcc, v2, v1, vcc
	global_store_dwordx4 v[0:1], v[5:8], off
                                        ; implicit-def: $vgpr0
                                        ; implicit-def: $vgpr1_vgpr2
                                        ; implicit-def: $vgpr5_vgpr6
.LBB536_37:
	s_andn2_saveexec_b64 s[0:1], s[0:1]
	s_cbranch_execz .LBB536_39
; %bb.38:
	v_mad_u64_u32 v[9:10], s[0:1], s6, 25, v[0:1]
	v_mov_b32_e32 v10, 0
	v_mov_b32_e32 v0, s13
	v_lshlrev_b64 v[9:10], 4, v[9:10]
	v_add_co_u32_e32 v13, vcc, s12, v9
	v_addc_co_u32_e32 v14, vcc, v0, v10, vcc
	global_load_dwordx4 v[9:12], v[13:14], off
	s_waitcnt vmcnt(0)
	v_fma_f64 v[5:6], v[1:2], v[9:10], v[5:6]
	v_fma_f64 v[7:8], v[3:4], v[9:10], v[7:8]
	v_fma_f64 v[3:4], -v[3:4], v[11:12], v[5:6]
	v_fma_f64 v[5:6], v[1:2], v[11:12], v[7:8]
	global_store_dwordx4 v[13:14], v[3:6], off
.LBB536_39:
	s_endpgm
	.section	.rodata,"a",@progbits
	.p2align	6, 0x0
	.amdhsa_kernel _ZN9rocsparseL20bsrxmvn_17_32_kernelILj25E21rocsparse_complex_numIdEiiS1_IfES2_S2_EEvT2_20rocsparse_direction_NS_24const_host_device_scalarIT0_EES4_PKS4_PKT1_SD_SA_PKT3_PKT4_S8_PT5_21rocsparse_index_base_b
		.amdhsa_group_segment_fixed_size 10000
		.amdhsa_private_segment_fixed_size 0
		.amdhsa_kernarg_size 112
		.amdhsa_user_sgpr_count 6
		.amdhsa_user_sgpr_private_segment_buffer 1
		.amdhsa_user_sgpr_dispatch_ptr 0
		.amdhsa_user_sgpr_queue_ptr 0
		.amdhsa_user_sgpr_kernarg_segment_ptr 1
		.amdhsa_user_sgpr_dispatch_id 0
		.amdhsa_user_sgpr_flat_scratch_init 0
		.amdhsa_user_sgpr_private_segment_size 0
		.amdhsa_uses_dynamic_stack 0
		.amdhsa_system_sgpr_private_segment_wavefront_offset 0
		.amdhsa_system_sgpr_workgroup_id_x 1
		.amdhsa_system_sgpr_workgroup_id_y 0
		.amdhsa_system_sgpr_workgroup_id_z 0
		.amdhsa_system_sgpr_workgroup_info 0
		.amdhsa_system_vgpr_workitem_id 0
		.amdhsa_next_free_vgpr 26
		.amdhsa_next_free_sgpr 18
		.amdhsa_reserve_vcc 1
		.amdhsa_reserve_flat_scratch 0
		.amdhsa_float_round_mode_32 0
		.amdhsa_float_round_mode_16_64 0
		.amdhsa_float_denorm_mode_32 3
		.amdhsa_float_denorm_mode_16_64 3
		.amdhsa_dx10_clamp 1
		.amdhsa_ieee_mode 1
		.amdhsa_fp16_overflow 0
		.amdhsa_exception_fp_ieee_invalid_op 0
		.amdhsa_exception_fp_denorm_src 0
		.amdhsa_exception_fp_ieee_div_zero 0
		.amdhsa_exception_fp_ieee_overflow 0
		.amdhsa_exception_fp_ieee_underflow 0
		.amdhsa_exception_fp_ieee_inexact 0
		.amdhsa_exception_int_div_zero 0
	.end_amdhsa_kernel
	.section	.text._ZN9rocsparseL20bsrxmvn_17_32_kernelILj25E21rocsparse_complex_numIdEiiS1_IfES2_S2_EEvT2_20rocsparse_direction_NS_24const_host_device_scalarIT0_EES4_PKS4_PKT1_SD_SA_PKT3_PKT4_S8_PT5_21rocsparse_index_base_b,"axG",@progbits,_ZN9rocsparseL20bsrxmvn_17_32_kernelILj25E21rocsparse_complex_numIdEiiS1_IfES2_S2_EEvT2_20rocsparse_direction_NS_24const_host_device_scalarIT0_EES4_PKS4_PKT1_SD_SA_PKT3_PKT4_S8_PT5_21rocsparse_index_base_b,comdat
.Lfunc_end536:
	.size	_ZN9rocsparseL20bsrxmvn_17_32_kernelILj25E21rocsparse_complex_numIdEiiS1_IfES2_S2_EEvT2_20rocsparse_direction_NS_24const_host_device_scalarIT0_EES4_PKS4_PKT1_SD_SA_PKT3_PKT4_S8_PT5_21rocsparse_index_base_b, .Lfunc_end536-_ZN9rocsparseL20bsrxmvn_17_32_kernelILj25E21rocsparse_complex_numIdEiiS1_IfES2_S2_EEvT2_20rocsparse_direction_NS_24const_host_device_scalarIT0_EES4_PKS4_PKT1_SD_SA_PKT3_PKT4_S8_PT5_21rocsparse_index_base_b
                                        ; -- End function
	.set _ZN9rocsparseL20bsrxmvn_17_32_kernelILj25E21rocsparse_complex_numIdEiiS1_IfES2_S2_EEvT2_20rocsparse_direction_NS_24const_host_device_scalarIT0_EES4_PKS4_PKT1_SD_SA_PKT3_PKT4_S8_PT5_21rocsparse_index_base_b.num_vgpr, 26
	.set _ZN9rocsparseL20bsrxmvn_17_32_kernelILj25E21rocsparse_complex_numIdEiiS1_IfES2_S2_EEvT2_20rocsparse_direction_NS_24const_host_device_scalarIT0_EES4_PKS4_PKT1_SD_SA_PKT3_PKT4_S8_PT5_21rocsparse_index_base_b.num_agpr, 0
	.set _ZN9rocsparseL20bsrxmvn_17_32_kernelILj25E21rocsparse_complex_numIdEiiS1_IfES2_S2_EEvT2_20rocsparse_direction_NS_24const_host_device_scalarIT0_EES4_PKS4_PKT1_SD_SA_PKT3_PKT4_S8_PT5_21rocsparse_index_base_b.numbered_sgpr, 18
	.set _ZN9rocsparseL20bsrxmvn_17_32_kernelILj25E21rocsparse_complex_numIdEiiS1_IfES2_S2_EEvT2_20rocsparse_direction_NS_24const_host_device_scalarIT0_EES4_PKS4_PKT1_SD_SA_PKT3_PKT4_S8_PT5_21rocsparse_index_base_b.num_named_barrier, 0
	.set _ZN9rocsparseL20bsrxmvn_17_32_kernelILj25E21rocsparse_complex_numIdEiiS1_IfES2_S2_EEvT2_20rocsparse_direction_NS_24const_host_device_scalarIT0_EES4_PKS4_PKT1_SD_SA_PKT3_PKT4_S8_PT5_21rocsparse_index_base_b.private_seg_size, 0
	.set _ZN9rocsparseL20bsrxmvn_17_32_kernelILj25E21rocsparse_complex_numIdEiiS1_IfES2_S2_EEvT2_20rocsparse_direction_NS_24const_host_device_scalarIT0_EES4_PKS4_PKT1_SD_SA_PKT3_PKT4_S8_PT5_21rocsparse_index_base_b.uses_vcc, 1
	.set _ZN9rocsparseL20bsrxmvn_17_32_kernelILj25E21rocsparse_complex_numIdEiiS1_IfES2_S2_EEvT2_20rocsparse_direction_NS_24const_host_device_scalarIT0_EES4_PKS4_PKT1_SD_SA_PKT3_PKT4_S8_PT5_21rocsparse_index_base_b.uses_flat_scratch, 0
	.set _ZN9rocsparseL20bsrxmvn_17_32_kernelILj25E21rocsparse_complex_numIdEiiS1_IfES2_S2_EEvT2_20rocsparse_direction_NS_24const_host_device_scalarIT0_EES4_PKS4_PKT1_SD_SA_PKT3_PKT4_S8_PT5_21rocsparse_index_base_b.has_dyn_sized_stack, 0
	.set _ZN9rocsparseL20bsrxmvn_17_32_kernelILj25E21rocsparse_complex_numIdEiiS1_IfES2_S2_EEvT2_20rocsparse_direction_NS_24const_host_device_scalarIT0_EES4_PKS4_PKT1_SD_SA_PKT3_PKT4_S8_PT5_21rocsparse_index_base_b.has_recursion, 0
	.set _ZN9rocsparseL20bsrxmvn_17_32_kernelILj25E21rocsparse_complex_numIdEiiS1_IfES2_S2_EEvT2_20rocsparse_direction_NS_24const_host_device_scalarIT0_EES4_PKS4_PKT1_SD_SA_PKT3_PKT4_S8_PT5_21rocsparse_index_base_b.has_indirect_call, 0
	.section	.AMDGPU.csdata,"",@progbits
; Kernel info:
; codeLenInByte = 1656
; TotalNumSgprs: 22
; NumVgprs: 26
; ScratchSize: 0
; MemoryBound: 0
; FloatMode: 240
; IeeeMode: 1
; LDSByteSize: 10000 bytes/workgroup (compile time only)
; SGPRBlocks: 2
; VGPRBlocks: 6
; NumSGPRsForWavesPerEU: 22
; NumVGPRsForWavesPerEU: 26
; Occupancy: 9
; WaveLimiterHint : 1
; COMPUTE_PGM_RSRC2:SCRATCH_EN: 0
; COMPUTE_PGM_RSRC2:USER_SGPR: 6
; COMPUTE_PGM_RSRC2:TRAP_HANDLER: 0
; COMPUTE_PGM_RSRC2:TGID_X_EN: 1
; COMPUTE_PGM_RSRC2:TGID_Y_EN: 0
; COMPUTE_PGM_RSRC2:TGID_Z_EN: 0
; COMPUTE_PGM_RSRC2:TIDIG_COMP_CNT: 0
	.section	.text._ZN9rocsparseL20bsrxmvn_17_32_kernelILj26E21rocsparse_complex_numIdEiiS1_IfES2_S2_EEvT2_20rocsparse_direction_NS_24const_host_device_scalarIT0_EES4_PKS4_PKT1_SD_SA_PKT3_PKT4_S8_PT5_21rocsparse_index_base_b,"axG",@progbits,_ZN9rocsparseL20bsrxmvn_17_32_kernelILj26E21rocsparse_complex_numIdEiiS1_IfES2_S2_EEvT2_20rocsparse_direction_NS_24const_host_device_scalarIT0_EES4_PKS4_PKT1_SD_SA_PKT3_PKT4_S8_PT5_21rocsparse_index_base_b,comdat
	.globl	_ZN9rocsparseL20bsrxmvn_17_32_kernelILj26E21rocsparse_complex_numIdEiiS1_IfES2_S2_EEvT2_20rocsparse_direction_NS_24const_host_device_scalarIT0_EES4_PKS4_PKT1_SD_SA_PKT3_PKT4_S8_PT5_21rocsparse_index_base_b ; -- Begin function _ZN9rocsparseL20bsrxmvn_17_32_kernelILj26E21rocsparse_complex_numIdEiiS1_IfES2_S2_EEvT2_20rocsparse_direction_NS_24const_host_device_scalarIT0_EES4_PKS4_PKT1_SD_SA_PKT3_PKT4_S8_PT5_21rocsparse_index_base_b
	.p2align	8
	.type	_ZN9rocsparseL20bsrxmvn_17_32_kernelILj26E21rocsparse_complex_numIdEiiS1_IfES2_S2_EEvT2_20rocsparse_direction_NS_24const_host_device_scalarIT0_EES4_PKS4_PKT1_SD_SA_PKT3_PKT4_S8_PT5_21rocsparse_index_base_b,@function
_ZN9rocsparseL20bsrxmvn_17_32_kernelILj26E21rocsparse_complex_numIdEiiS1_IfES2_S2_EEvT2_20rocsparse_direction_NS_24const_host_device_scalarIT0_EES4_PKS4_PKT1_SD_SA_PKT3_PKT4_S8_PT5_21rocsparse_index_base_b: ; @_ZN9rocsparseL20bsrxmvn_17_32_kernelILj26E21rocsparse_complex_numIdEiiS1_IfES2_S2_EEvT2_20rocsparse_direction_NS_24const_host_device_scalarIT0_EES4_PKS4_PKT1_SD_SA_PKT3_PKT4_S8_PT5_21rocsparse_index_base_b
; %bb.0:
	s_load_dwordx2 s[0:1], s[4:5], 0x8
	s_load_dwordx2 s[14:15], s[4:5], 0x68
	s_add_u32 s7, s4, 8
	s_addc_u32 s8, s5, 0
	s_add_u32 s9, s4, 0x50
	s_addc_u32 s10, s5, 0
	s_waitcnt lgkmcnt(0)
	s_bitcmp1_b32 s15, 0
	s_cselect_b32 s1, s8, s1
	s_cselect_b32 s0, s7, s0
	v_mov_b32_e32 v1, s0
	v_mov_b32_e32 v2, s1
	flat_load_dwordx4 v[5:8], v[1:2]
	s_load_dwordx2 s[2:3], s[4:5], 0x50
	s_waitcnt lgkmcnt(0)
	s_cselect_b32 s0, s10, s3
	s_cselect_b32 s1, s9, s2
	v_mov_b32_e32 v1, s1
	v_mov_b32_e32 v2, s0
	flat_load_dwordx4 v[1:4], v[1:2]
	s_waitcnt vmcnt(0)
	v_cmp_eq_f64_e32 vcc, 0, v[5:6]
	v_cmp_eq_f64_e64 s[0:1], 0, v[7:8]
	s_and_b64 s[8:9], vcc, s[0:1]
	s_mov_b64 s[0:1], -1
	s_and_saveexec_b64 s[2:3], s[8:9]
	s_cbranch_execz .LBB537_2
; %bb.1:
	s_waitcnt lgkmcnt(0)
	v_cmp_neq_f64_e32 vcc, 1.0, v[1:2]
	v_cmp_neq_f64_e64 s[0:1], 0, v[3:4]
	s_or_b64 s[0:1], vcc, s[0:1]
	s_orn2_b64 s[0:1], s[0:1], exec
.LBB537_2:
	s_or_b64 exec, exec, s[2:3]
	s_and_saveexec_b64 s[2:3], s[0:1]
	s_cbranch_execz .LBB537_39
; %bb.3:
	s_load_dwordx4 s[0:3], s[4:5], 0x20
	s_load_dwordx2 s[8:9], s[4:5], 0x30
	s_waitcnt lgkmcnt(0)
	s_cmp_eq_u64 s[0:1], 0
	s_cbranch_scc1 .LBB537_5
; %bb.4:
	s_ashr_i32 s7, s6, 31
	s_lshl_b64 s[6:7], s[6:7], 2
	s_add_u32 s0, s0, s6
	s_addc_u32 s1, s1, s7
	s_load_dword s0, s[0:1], 0x0
	s_waitcnt lgkmcnt(0)
	s_sub_i32 s6, s0, s14
.LBB537_5:
	s_load_dword s0, s[4:5], 0x4
	s_load_dwordx2 s[12:13], s[4:5], 0x60
	v_mul_u32_u24_e32 v13, 0x9d9, v0
	v_mov_b32_e32 v9, 26
	v_mul_lo_u16_sdwa v14, v13, v9 dst_sel:DWORD dst_unused:UNUSED_PAD src0_sel:WORD_1 src1_sel:DWORD
	s_waitcnt lgkmcnt(0)
	s_cmp_eq_u32 s0, 1
	s_cselect_b64 vcc, -1, 0
	s_cmp_lg_u32 s0, 1
	s_cselect_b64 s[16:17], -1, 0
	s_ashr_i32 s7, s6, 31
	s_lshl_b64 s[0:1], s[6:7], 2
	s_add_u32 s2, s2, s0
	s_addc_u32 s3, s3, s1
	s_load_dword s7, s[2:3], 0x0
	s_add_u32 s2, s2, 4
	s_addc_u32 s3, s3, 0
	s_add_u32 s0, s8, s0
	s_addc_u32 s1, s9, s1
	s_cmp_eq_u64 s[8:9], 0
	s_cselect_b32 s1, s3, s1
	s_cselect_b32 s0, s2, s0
	s_load_dword s0, s[0:1], 0x0
	v_mov_b32_e32 v11, 0
	v_mov_b32_e32 v9, 0
	;; [unrolled: 1-line block ×4, first 2 shown]
	s_waitcnt lgkmcnt(0)
	s_cmp_ge_i32 s7, s0
	v_sub_u16_e32 v18, v0, v14
	s_cbranch_scc1 .LBB537_10
; %bb.6:
	s_load_dwordx2 s[2:3], s[4:5], 0x48
	s_load_dwordx4 s[8:11], s[4:5], 0x38
	s_sub_i32 s4, s0, s14
	s_mov_b32 s0, 0xffff
	s_movk_i32 s1, 0x2a4
	v_and_b32_sdwa v9, s0, v13 dst_sel:DWORD dst_unused:UNUSED_PAD src0_sel:DWORD src1_sel:WORD_1
	v_subrev_u32_e32 v10, 26, v9
	v_cmp_gt_u32_e64 s[0:1], s1, v0
	s_sub_i32 s5, s7, s14
	v_cndmask_b32_e64 v9, v10, v9, s[0:1]
	s_mul_i32 s1, s5, 0x1520
	s_mul_hi_i32 s0, s5, 0x1520
	s_waitcnt lgkmcnt(0)
	s_add_u32 s1, s10, s1
	v_cndmask_b32_e32 v13, v18, v9, vcc
	s_addc_u32 s0, s11, s0
	v_lshlrev_b32_e32 v9, 3, v0
	v_mov_b32_e32 v10, s0
	v_add_co_u32_e32 v14, vcc, s1, v9
	v_addc_co_u32_e32 v15, vcc, 0, v10, vcc
	s_movk_i32 s0, 0x2a3
	v_mov_b32_e32 v11, 0
	v_mov_b32_e32 v12, 0
	v_cmp_lt_u32_e32 vcc, s0, v0
	v_mov_b32_e32 v9, v11
	v_cndmask_b32_e64 v19, 0, 1, vcc
	v_mov_b32_e32 v10, v12
	s_branch .LBB537_8
.LBB537_7:                              ;   in Loop: Header=BB537_8 Depth=1
	s_or_b64 exec, exec, s[0:1]
	s_add_i32 s5, s5, 1
	s_cmp_lt_i32 s5, s4
	s_cbranch_scc0 .LBB537_10
.LBB537_8:                              ; =>This Inner Loop Header: Depth=1
	v_add_u32_e32 v16, s5, v19
	v_cmp_gt_i32_e32 vcc, s4, v16
	s_and_saveexec_b64 s[0:1], vcc
	s_cbranch_execz .LBB537_7
; %bb.9:                                ;   in Loop: Header=BB537_8 Depth=1
	v_ashrrev_i32_e32 v17, 31, v16
	v_lshlrev_b64 v[16:17], 2, v[16:17]
	v_mov_b32_e32 v20, s9
	v_add_co_u32_e32 v16, vcc, s8, v16
	v_addc_co_u32_e32 v17, vcc, v20, v17, vcc
	global_load_dword v16, v[16:17], off
	v_mov_b32_e32 v20, s3
	global_load_dwordx2 v[24:25], v[14:15], off
	s_waitcnt vmcnt(1)
	v_subrev_u32_e32 v16, s14, v16
	v_mad_u64_u32 v[16:17], s[10:11], v16, 26, v[13:14]
	v_ashrrev_i32_e32 v17, 31, v16
	v_lshlrev_b64 v[16:17], 4, v[16:17]
	v_add_co_u32_e32 v16, vcc, s2, v16
	v_addc_co_u32_e32 v17, vcc, v20, v17, vcc
	global_load_dwordx4 v[20:23], v[16:17], off
	s_waitcnt vmcnt(1)
	v_cvt_f64_f32_e32 v[16:17], v24
	v_cvt_f64_f32_e32 v[24:25], v25
	v_add_co_u32_e32 v14, vcc, 0x1520, v14
	v_addc_co_u32_e32 v15, vcc, 0, v15, vcc
	s_waitcnt vmcnt(0)
	v_fma_f64 v[9:10], v[16:17], v[20:21], v[9:10]
	v_fma_f64 v[11:12], v[24:25], v[20:21], v[11:12]
	v_fma_f64 v[9:10], -v[24:25], v[22:23], v[9:10]
	v_fma_f64 v[11:12], v[16:17], v[22:23], v[11:12]
	s_branch .LBB537_7
.LBB537_10:
	v_lshlrev_b32_e32 v17, 4, v0
	s_and_b64 vcc, exec, s[16:17]
	ds_write_b128 v17, v[9:12]
	s_waitcnt lgkmcnt(0)
	s_barrier
	s_cbranch_vccz .LBB537_22
; %bb.11:
	v_cmp_gt_u16_e32 vcc, 10, v18
	s_and_saveexec_b64 s[0:1], vcc
	s_cbranch_execz .LBB537_13
; %bb.12:
	ds_read_b128 v[13:16], v17 offset:256
	ds_read_b128 v[19:22], v17
	s_waitcnt lgkmcnt(0)
	v_add_f64 v[13:14], v[13:14], v[19:20]
	v_add_f64 v[15:16], v[15:16], v[21:22]
	ds_write_b128 v17, v[13:16]
.LBB537_13:
	s_or_b64 exec, exec, s[0:1]
	v_cmp_gt_u16_e32 vcc, 8, v18
	s_waitcnt lgkmcnt(0)
	s_barrier
	s_and_saveexec_b64 s[0:1], vcc
	s_cbranch_execz .LBB537_15
; %bb.14:
	ds_read_b128 v[13:16], v17 offset:128
	ds_read_b128 v[19:22], v17
	s_waitcnt lgkmcnt(0)
	v_add_f64 v[13:14], v[13:14], v[19:20]
	v_add_f64 v[15:16], v[15:16], v[21:22]
	ds_write_b128 v17, v[13:16]
.LBB537_15:
	s_or_b64 exec, exec, s[0:1]
	v_cmp_gt_u16_e32 vcc, 4, v18
	s_waitcnt lgkmcnt(0)
	s_barrier
	s_and_saveexec_b64 s[0:1], vcc
	s_cbranch_execz .LBB537_17
; %bb.16:
	ds_read_b128 v[13:16], v17 offset:64
	ds_read_b128 v[19:22], v17
	s_waitcnt lgkmcnt(0)
	v_add_f64 v[13:14], v[13:14], v[19:20]
	v_add_f64 v[15:16], v[15:16], v[21:22]
	ds_write_b128 v17, v[13:16]
.LBB537_17:
	s_or_b64 exec, exec, s[0:1]
	v_cmp_gt_u16_e32 vcc, 2, v18
	s_waitcnt lgkmcnt(0)
	s_barrier
	s_and_saveexec_b64 s[0:1], vcc
	s_cbranch_execz .LBB537_19
; %bb.18:
	ds_read_b128 v[13:16], v17
	ds_read_b128 v[18:21], v17 offset:32
	s_waitcnt lgkmcnt(0)
	v_add_f64 v[13:14], v[18:19], v[13:14]
	v_add_f64 v[15:16], v[20:21], v[15:16]
	ds_write_b128 v17, v[13:16]
.LBB537_19:
	s_or_b64 exec, exec, s[0:1]
	v_mov_b32_e32 v16, v12
	v_mov_b32_e32 v14, v10
	v_cmp_gt_u32_e32 vcc, 26, v0
	v_mov_b32_e32 v15, v11
	v_mov_b32_e32 v13, v9
	s_waitcnt lgkmcnt(0)
	s_barrier
	s_and_saveexec_b64 s[0:1], vcc
	s_cbranch_execz .LBB537_21
; %bb.20:
	s_movk_i32 s2, 0x190
	v_mad_u32_u24 v18, v0, s2, v17
	ds_read_b128 v[13:16], v18
	ds_read_b128 v[18:21], v18 offset:16
	s_waitcnt lgkmcnt(0)
	v_add_f64 v[13:14], v[18:19], v[13:14]
	v_add_f64 v[15:16], v[20:21], v[15:16]
.LBB537_21:
	s_or_b64 exec, exec, s[0:1]
	s_branch .LBB537_34
.LBB537_22:
                                        ; implicit-def: $vgpr15_vgpr16
                                        ; implicit-def: $vgpr13_vgpr14
	s_cbranch_execz .LBB537_34
; %bb.23:
	s_movk_i32 s0, 0x104
	v_cmp_gt_u32_e32 vcc, s0, v0
	s_and_saveexec_b64 s[0:1], vcc
	s_cbranch_execz .LBB537_25
; %bb.24:
	ds_read_b128 v[13:16], v17 offset:6656
	ds_read_b128 v[18:21], v17
	s_waitcnt lgkmcnt(0)
	v_add_f64 v[13:14], v[13:14], v[18:19]
	v_add_f64 v[15:16], v[15:16], v[20:21]
	ds_write_b128 v17, v[13:16]
.LBB537_25:
	s_or_b64 exec, exec, s[0:1]
	s_movk_i32 s0, 0xd0
	v_cmp_gt_u32_e32 vcc, s0, v0
	s_waitcnt lgkmcnt(0)
	s_barrier
	s_and_saveexec_b64 s[0:1], vcc
	s_cbranch_execz .LBB537_27
; %bb.26:
	ds_read_b128 v[13:16], v17 offset:3328
	ds_read_b128 v[18:21], v17
	s_waitcnt lgkmcnt(0)
	v_add_f64 v[13:14], v[13:14], v[18:19]
	v_add_f64 v[15:16], v[15:16], v[20:21]
	ds_write_b128 v17, v[13:16]
.LBB537_27:
	s_or_b64 exec, exec, s[0:1]
	s_movk_i32 s0, 0x68
	v_cmp_gt_u32_e32 vcc, s0, v0
	s_waitcnt lgkmcnt(0)
	s_barrier
	s_and_saveexec_b64 s[0:1], vcc
	s_cbranch_execz .LBB537_29
; %bb.28:
	ds_read_b128 v[13:16], v17 offset:1664
	ds_read_b128 v[18:21], v17
	s_waitcnt lgkmcnt(0)
	v_add_f64 v[13:14], v[13:14], v[18:19]
	v_add_f64 v[15:16], v[15:16], v[20:21]
	ds_write_b128 v17, v[13:16]
.LBB537_29:
	s_or_b64 exec, exec, s[0:1]
	v_cmp_gt_u32_e32 vcc, 52, v0
	s_waitcnt lgkmcnt(0)
	s_barrier
	s_and_saveexec_b64 s[0:1], vcc
	s_cbranch_execz .LBB537_31
; %bb.30:
	ds_read_b128 v[13:16], v17 offset:832
	ds_read_b128 v[18:21], v17
	s_waitcnt lgkmcnt(0)
	v_add_f64 v[13:14], v[13:14], v[18:19]
	v_add_f64 v[15:16], v[15:16], v[20:21]
	ds_write_b128 v17, v[13:16]
.LBB537_31:
	s_or_b64 exec, exec, s[0:1]
	v_cmp_gt_u32_e32 vcc, 26, v0
	s_waitcnt lgkmcnt(0)
	s_and_saveexec_b64 s[0:1], vcc
	s_cbranch_execz .LBB537_33
; %bb.32:
	ds_read_b128 v[9:12], v17 offset:416
	ds_read_b128 v[13:16], v17
	s_waitcnt lgkmcnt(0)
	v_add_f64 v[9:10], v[9:10], v[13:14]
	v_add_f64 v[11:12], v[11:12], v[15:16]
.LBB537_33:
	s_or_b64 exec, exec, s[0:1]
	v_mov_b32_e32 v16, v12
	v_mov_b32_e32 v14, v10
	;; [unrolled: 1-line block ×4, first 2 shown]
.LBB537_34:
	v_cmp_gt_u32_e32 vcc, 26, v0
	s_and_b64 exec, exec, vcc
	s_cbranch_execz .LBB537_39
; %bb.35:
	v_mul_f64 v[9:10], v[15:16], -v[7:8]
	v_mul_f64 v[11:12], v[5:6], v[15:16]
	v_cmp_eq_f64_e32 vcc, 0, v[1:2]
	v_cmp_eq_f64_e64 s[0:1], 0, v[3:4]
	v_fma_f64 v[5:6], v[5:6], v[13:14], v[9:10]
	v_fma_f64 v[7:8], v[7:8], v[13:14], v[11:12]
	s_and_b64 s[0:1], vcc, s[0:1]
	s_and_saveexec_b64 s[2:3], s[0:1]
	s_xor_b64 s[0:1], exec, s[2:3]
	s_cbranch_execz .LBB537_37
; %bb.36:
	v_mad_u64_u32 v[0:1], s[2:3], s6, 26, v[0:1]
	v_mov_b32_e32 v1, 0
	v_mov_b32_e32 v2, s13
	v_lshlrev_b64 v[0:1], 4, v[0:1]
	v_add_co_u32_e32 v0, vcc, s12, v0
	v_addc_co_u32_e32 v1, vcc, v2, v1, vcc
	global_store_dwordx4 v[0:1], v[5:8], off
                                        ; implicit-def: $vgpr0
                                        ; implicit-def: $vgpr1_vgpr2
                                        ; implicit-def: $vgpr5_vgpr6
.LBB537_37:
	s_andn2_saveexec_b64 s[0:1], s[0:1]
	s_cbranch_execz .LBB537_39
; %bb.38:
	v_mad_u64_u32 v[9:10], s[0:1], s6, 26, v[0:1]
	v_mov_b32_e32 v10, 0
	v_mov_b32_e32 v0, s13
	v_lshlrev_b64 v[9:10], 4, v[9:10]
	v_add_co_u32_e32 v13, vcc, s12, v9
	v_addc_co_u32_e32 v14, vcc, v0, v10, vcc
	global_load_dwordx4 v[9:12], v[13:14], off
	s_waitcnt vmcnt(0)
	v_fma_f64 v[5:6], v[1:2], v[9:10], v[5:6]
	v_fma_f64 v[7:8], v[3:4], v[9:10], v[7:8]
	v_fma_f64 v[3:4], -v[3:4], v[11:12], v[5:6]
	v_fma_f64 v[5:6], v[1:2], v[11:12], v[7:8]
	global_store_dwordx4 v[13:14], v[3:6], off
.LBB537_39:
	s_endpgm
	.section	.rodata,"a",@progbits
	.p2align	6, 0x0
	.amdhsa_kernel _ZN9rocsparseL20bsrxmvn_17_32_kernelILj26E21rocsparse_complex_numIdEiiS1_IfES2_S2_EEvT2_20rocsparse_direction_NS_24const_host_device_scalarIT0_EES4_PKS4_PKT1_SD_SA_PKT3_PKT4_S8_PT5_21rocsparse_index_base_b
		.amdhsa_group_segment_fixed_size 10816
		.amdhsa_private_segment_fixed_size 0
		.amdhsa_kernarg_size 112
		.amdhsa_user_sgpr_count 6
		.amdhsa_user_sgpr_private_segment_buffer 1
		.amdhsa_user_sgpr_dispatch_ptr 0
		.amdhsa_user_sgpr_queue_ptr 0
		.amdhsa_user_sgpr_kernarg_segment_ptr 1
		.amdhsa_user_sgpr_dispatch_id 0
		.amdhsa_user_sgpr_flat_scratch_init 0
		.amdhsa_user_sgpr_private_segment_size 0
		.amdhsa_uses_dynamic_stack 0
		.amdhsa_system_sgpr_private_segment_wavefront_offset 0
		.amdhsa_system_sgpr_workgroup_id_x 1
		.amdhsa_system_sgpr_workgroup_id_y 0
		.amdhsa_system_sgpr_workgroup_id_z 0
		.amdhsa_system_sgpr_workgroup_info 0
		.amdhsa_system_vgpr_workitem_id 0
		.amdhsa_next_free_vgpr 26
		.amdhsa_next_free_sgpr 61
		.amdhsa_reserve_vcc 1
		.amdhsa_reserve_flat_scratch 0
		.amdhsa_float_round_mode_32 0
		.amdhsa_float_round_mode_16_64 0
		.amdhsa_float_denorm_mode_32 3
		.amdhsa_float_denorm_mode_16_64 3
		.amdhsa_dx10_clamp 1
		.amdhsa_ieee_mode 1
		.amdhsa_fp16_overflow 0
		.amdhsa_exception_fp_ieee_invalid_op 0
		.amdhsa_exception_fp_denorm_src 0
		.amdhsa_exception_fp_ieee_div_zero 0
		.amdhsa_exception_fp_ieee_overflow 0
		.amdhsa_exception_fp_ieee_underflow 0
		.amdhsa_exception_fp_ieee_inexact 0
		.amdhsa_exception_int_div_zero 0
	.end_amdhsa_kernel
	.section	.text._ZN9rocsparseL20bsrxmvn_17_32_kernelILj26E21rocsparse_complex_numIdEiiS1_IfES2_S2_EEvT2_20rocsparse_direction_NS_24const_host_device_scalarIT0_EES4_PKS4_PKT1_SD_SA_PKT3_PKT4_S8_PT5_21rocsparse_index_base_b,"axG",@progbits,_ZN9rocsparseL20bsrxmvn_17_32_kernelILj26E21rocsparse_complex_numIdEiiS1_IfES2_S2_EEvT2_20rocsparse_direction_NS_24const_host_device_scalarIT0_EES4_PKS4_PKT1_SD_SA_PKT3_PKT4_S8_PT5_21rocsparse_index_base_b,comdat
.Lfunc_end537:
	.size	_ZN9rocsparseL20bsrxmvn_17_32_kernelILj26E21rocsparse_complex_numIdEiiS1_IfES2_S2_EEvT2_20rocsparse_direction_NS_24const_host_device_scalarIT0_EES4_PKS4_PKT1_SD_SA_PKT3_PKT4_S8_PT5_21rocsparse_index_base_b, .Lfunc_end537-_ZN9rocsparseL20bsrxmvn_17_32_kernelILj26E21rocsparse_complex_numIdEiiS1_IfES2_S2_EEvT2_20rocsparse_direction_NS_24const_host_device_scalarIT0_EES4_PKS4_PKT1_SD_SA_PKT3_PKT4_S8_PT5_21rocsparse_index_base_b
                                        ; -- End function
	.set _ZN9rocsparseL20bsrxmvn_17_32_kernelILj26E21rocsparse_complex_numIdEiiS1_IfES2_S2_EEvT2_20rocsparse_direction_NS_24const_host_device_scalarIT0_EES4_PKS4_PKT1_SD_SA_PKT3_PKT4_S8_PT5_21rocsparse_index_base_b.num_vgpr, 26
	.set _ZN9rocsparseL20bsrxmvn_17_32_kernelILj26E21rocsparse_complex_numIdEiiS1_IfES2_S2_EEvT2_20rocsparse_direction_NS_24const_host_device_scalarIT0_EES4_PKS4_PKT1_SD_SA_PKT3_PKT4_S8_PT5_21rocsparse_index_base_b.num_agpr, 0
	.set _ZN9rocsparseL20bsrxmvn_17_32_kernelILj26E21rocsparse_complex_numIdEiiS1_IfES2_S2_EEvT2_20rocsparse_direction_NS_24const_host_device_scalarIT0_EES4_PKS4_PKT1_SD_SA_PKT3_PKT4_S8_PT5_21rocsparse_index_base_b.numbered_sgpr, 18
	.set _ZN9rocsparseL20bsrxmvn_17_32_kernelILj26E21rocsparse_complex_numIdEiiS1_IfES2_S2_EEvT2_20rocsparse_direction_NS_24const_host_device_scalarIT0_EES4_PKS4_PKT1_SD_SA_PKT3_PKT4_S8_PT5_21rocsparse_index_base_b.num_named_barrier, 0
	.set _ZN9rocsparseL20bsrxmvn_17_32_kernelILj26E21rocsparse_complex_numIdEiiS1_IfES2_S2_EEvT2_20rocsparse_direction_NS_24const_host_device_scalarIT0_EES4_PKS4_PKT1_SD_SA_PKT3_PKT4_S8_PT5_21rocsparse_index_base_b.private_seg_size, 0
	.set _ZN9rocsparseL20bsrxmvn_17_32_kernelILj26E21rocsparse_complex_numIdEiiS1_IfES2_S2_EEvT2_20rocsparse_direction_NS_24const_host_device_scalarIT0_EES4_PKS4_PKT1_SD_SA_PKT3_PKT4_S8_PT5_21rocsparse_index_base_b.uses_vcc, 1
	.set _ZN9rocsparseL20bsrxmvn_17_32_kernelILj26E21rocsparse_complex_numIdEiiS1_IfES2_S2_EEvT2_20rocsparse_direction_NS_24const_host_device_scalarIT0_EES4_PKS4_PKT1_SD_SA_PKT3_PKT4_S8_PT5_21rocsparse_index_base_b.uses_flat_scratch, 0
	.set _ZN9rocsparseL20bsrxmvn_17_32_kernelILj26E21rocsparse_complex_numIdEiiS1_IfES2_S2_EEvT2_20rocsparse_direction_NS_24const_host_device_scalarIT0_EES4_PKS4_PKT1_SD_SA_PKT3_PKT4_S8_PT5_21rocsparse_index_base_b.has_dyn_sized_stack, 0
	.set _ZN9rocsparseL20bsrxmvn_17_32_kernelILj26E21rocsparse_complex_numIdEiiS1_IfES2_S2_EEvT2_20rocsparse_direction_NS_24const_host_device_scalarIT0_EES4_PKS4_PKT1_SD_SA_PKT3_PKT4_S8_PT5_21rocsparse_index_base_b.has_recursion, 0
	.set _ZN9rocsparseL20bsrxmvn_17_32_kernelILj26E21rocsparse_complex_numIdEiiS1_IfES2_S2_EEvT2_20rocsparse_direction_NS_24const_host_device_scalarIT0_EES4_PKS4_PKT1_SD_SA_PKT3_PKT4_S8_PT5_21rocsparse_index_base_b.has_indirect_call, 0
	.section	.AMDGPU.csdata,"",@progbits
; Kernel info:
; codeLenInByte = 1656
; TotalNumSgprs: 22
; NumVgprs: 26
; ScratchSize: 0
; MemoryBound: 0
; FloatMode: 240
; IeeeMode: 1
; LDSByteSize: 10816 bytes/workgroup (compile time only)
; SGPRBlocks: 8
; VGPRBlocks: 6
; NumSGPRsForWavesPerEU: 65
; NumVGPRsForWavesPerEU: 26
; Occupancy: 9
; WaveLimiterHint : 1
; COMPUTE_PGM_RSRC2:SCRATCH_EN: 0
; COMPUTE_PGM_RSRC2:USER_SGPR: 6
; COMPUTE_PGM_RSRC2:TRAP_HANDLER: 0
; COMPUTE_PGM_RSRC2:TGID_X_EN: 1
; COMPUTE_PGM_RSRC2:TGID_Y_EN: 0
; COMPUTE_PGM_RSRC2:TGID_Z_EN: 0
; COMPUTE_PGM_RSRC2:TIDIG_COMP_CNT: 0
	.section	.text._ZN9rocsparseL20bsrxmvn_17_32_kernelILj27E21rocsparse_complex_numIdEiiS1_IfES2_S2_EEvT2_20rocsparse_direction_NS_24const_host_device_scalarIT0_EES4_PKS4_PKT1_SD_SA_PKT3_PKT4_S8_PT5_21rocsparse_index_base_b,"axG",@progbits,_ZN9rocsparseL20bsrxmvn_17_32_kernelILj27E21rocsparse_complex_numIdEiiS1_IfES2_S2_EEvT2_20rocsparse_direction_NS_24const_host_device_scalarIT0_EES4_PKS4_PKT1_SD_SA_PKT3_PKT4_S8_PT5_21rocsparse_index_base_b,comdat
	.globl	_ZN9rocsparseL20bsrxmvn_17_32_kernelILj27E21rocsparse_complex_numIdEiiS1_IfES2_S2_EEvT2_20rocsparse_direction_NS_24const_host_device_scalarIT0_EES4_PKS4_PKT1_SD_SA_PKT3_PKT4_S8_PT5_21rocsparse_index_base_b ; -- Begin function _ZN9rocsparseL20bsrxmvn_17_32_kernelILj27E21rocsparse_complex_numIdEiiS1_IfES2_S2_EEvT2_20rocsparse_direction_NS_24const_host_device_scalarIT0_EES4_PKS4_PKT1_SD_SA_PKT3_PKT4_S8_PT5_21rocsparse_index_base_b
	.p2align	8
	.type	_ZN9rocsparseL20bsrxmvn_17_32_kernelILj27E21rocsparse_complex_numIdEiiS1_IfES2_S2_EEvT2_20rocsparse_direction_NS_24const_host_device_scalarIT0_EES4_PKS4_PKT1_SD_SA_PKT3_PKT4_S8_PT5_21rocsparse_index_base_b,@function
_ZN9rocsparseL20bsrxmvn_17_32_kernelILj27E21rocsparse_complex_numIdEiiS1_IfES2_S2_EEvT2_20rocsparse_direction_NS_24const_host_device_scalarIT0_EES4_PKS4_PKT1_SD_SA_PKT3_PKT4_S8_PT5_21rocsparse_index_base_b: ; @_ZN9rocsparseL20bsrxmvn_17_32_kernelILj27E21rocsparse_complex_numIdEiiS1_IfES2_S2_EEvT2_20rocsparse_direction_NS_24const_host_device_scalarIT0_EES4_PKS4_PKT1_SD_SA_PKT3_PKT4_S8_PT5_21rocsparse_index_base_b
; %bb.0:
	s_load_dwordx2 s[0:1], s[4:5], 0x8
	s_load_dwordx2 s[14:15], s[4:5], 0x68
	s_add_u32 s7, s4, 8
	s_addc_u32 s8, s5, 0
	s_add_u32 s9, s4, 0x50
	s_addc_u32 s10, s5, 0
	s_waitcnt lgkmcnt(0)
	s_bitcmp1_b32 s15, 0
	s_cselect_b32 s1, s8, s1
	s_cselect_b32 s0, s7, s0
	v_mov_b32_e32 v1, s0
	v_mov_b32_e32 v2, s1
	flat_load_dwordx4 v[5:8], v[1:2]
	s_load_dwordx2 s[2:3], s[4:5], 0x50
	s_waitcnt lgkmcnt(0)
	s_cselect_b32 s0, s10, s3
	s_cselect_b32 s1, s9, s2
	v_mov_b32_e32 v1, s1
	v_mov_b32_e32 v2, s0
	flat_load_dwordx4 v[1:4], v[1:2]
	s_waitcnt vmcnt(0)
	v_cmp_eq_f64_e32 vcc, 0, v[5:6]
	v_cmp_eq_f64_e64 s[0:1], 0, v[7:8]
	s_and_b64 s[8:9], vcc, s[0:1]
	s_mov_b64 s[0:1], -1
	s_and_saveexec_b64 s[2:3], s[8:9]
	s_cbranch_execz .LBB538_2
; %bb.1:
	s_waitcnt lgkmcnt(0)
	v_cmp_neq_f64_e32 vcc, 1.0, v[1:2]
	v_cmp_neq_f64_e64 s[0:1], 0, v[3:4]
	s_or_b64 s[0:1], vcc, s[0:1]
	s_orn2_b64 s[0:1], s[0:1], exec
.LBB538_2:
	s_or_b64 exec, exec, s[2:3]
	s_and_saveexec_b64 s[2:3], s[0:1]
	s_cbranch_execz .LBB538_39
; %bb.3:
	s_load_dwordx4 s[0:3], s[4:5], 0x20
	s_load_dwordx2 s[8:9], s[4:5], 0x30
	s_waitcnt lgkmcnt(0)
	s_cmp_eq_u64 s[0:1], 0
	s_cbranch_scc1 .LBB538_5
; %bb.4:
	s_ashr_i32 s7, s6, 31
	s_lshl_b64 s[6:7], s[6:7], 2
	s_add_u32 s0, s0, s6
	s_addc_u32 s1, s1, s7
	s_load_dword s0, s[0:1], 0x0
	s_waitcnt lgkmcnt(0)
	s_sub_i32 s6, s0, s14
.LBB538_5:
	s_load_dword s0, s[4:5], 0x4
	s_load_dwordx2 s[12:13], s[4:5], 0x60
	v_mul_u32_u24_e32 v13, 0x97c, v0
	v_mov_b32_e32 v9, 27
	v_mul_lo_u16_sdwa v14, v13, v9 dst_sel:DWORD dst_unused:UNUSED_PAD src0_sel:WORD_1 src1_sel:DWORD
	s_waitcnt lgkmcnt(0)
	s_cmp_eq_u32 s0, 1
	s_cselect_b64 vcc, -1, 0
	s_cmp_lg_u32 s0, 1
	s_cselect_b64 s[16:17], -1, 0
	s_ashr_i32 s7, s6, 31
	s_lshl_b64 s[0:1], s[6:7], 2
	s_add_u32 s2, s2, s0
	s_addc_u32 s3, s3, s1
	s_load_dword s7, s[2:3], 0x0
	s_add_u32 s2, s2, 4
	s_addc_u32 s3, s3, 0
	s_add_u32 s0, s8, s0
	s_addc_u32 s1, s9, s1
	s_cmp_eq_u64 s[8:9], 0
	s_cselect_b32 s1, s3, s1
	s_cselect_b32 s0, s2, s0
	s_load_dword s0, s[0:1], 0x0
	v_mov_b32_e32 v11, 0
	v_mov_b32_e32 v9, 0
	;; [unrolled: 1-line block ×4, first 2 shown]
	s_waitcnt lgkmcnt(0)
	s_cmp_ge_i32 s7, s0
	v_sub_u16_e32 v18, v0, v14
	s_cbranch_scc1 .LBB538_10
; %bb.6:
	s_load_dwordx2 s[2:3], s[4:5], 0x48
	s_load_dwordx4 s[8:11], s[4:5], 0x38
	s_sub_i32 s4, s0, s14
	s_mov_b32 s0, 0xffff
	s_movk_i32 s1, 0x2d9
	v_and_b32_sdwa v9, s0, v13 dst_sel:DWORD dst_unused:UNUSED_PAD src0_sel:DWORD src1_sel:WORD_1
	v_subrev_u32_e32 v10, 27, v9
	v_cmp_gt_u32_e64 s[0:1], s1, v0
	s_sub_i32 s5, s7, s14
	v_cndmask_b32_e64 v9, v10, v9, s[0:1]
	s_mul_i32 s1, s5, 0x16c8
	s_mul_hi_i32 s0, s5, 0x16c8
	s_waitcnt lgkmcnt(0)
	s_add_u32 s1, s10, s1
	v_cndmask_b32_e32 v13, v18, v9, vcc
	s_addc_u32 s0, s11, s0
	v_lshlrev_b32_e32 v9, 3, v0
	v_mov_b32_e32 v10, s0
	v_add_co_u32_e32 v14, vcc, s1, v9
	v_addc_co_u32_e32 v15, vcc, 0, v10, vcc
	s_movk_i32 s0, 0x2d8
	v_mov_b32_e32 v11, 0
	v_mov_b32_e32 v12, 0
	v_cmp_lt_u32_e32 vcc, s0, v0
	v_mov_b32_e32 v9, v11
	v_cndmask_b32_e64 v19, 0, 1, vcc
	v_mov_b32_e32 v10, v12
	s_branch .LBB538_8
.LBB538_7:                              ;   in Loop: Header=BB538_8 Depth=1
	s_or_b64 exec, exec, s[0:1]
	s_add_i32 s5, s5, 1
	s_cmp_lt_i32 s5, s4
	s_cbranch_scc0 .LBB538_10
.LBB538_8:                              ; =>This Inner Loop Header: Depth=1
	v_add_u32_e32 v16, s5, v19
	v_cmp_gt_i32_e32 vcc, s4, v16
	s_and_saveexec_b64 s[0:1], vcc
	s_cbranch_execz .LBB538_7
; %bb.9:                                ;   in Loop: Header=BB538_8 Depth=1
	v_ashrrev_i32_e32 v17, 31, v16
	v_lshlrev_b64 v[16:17], 2, v[16:17]
	v_mov_b32_e32 v20, s9
	v_add_co_u32_e32 v16, vcc, s8, v16
	v_addc_co_u32_e32 v17, vcc, v20, v17, vcc
	global_load_dword v16, v[16:17], off
	v_mov_b32_e32 v20, s3
	global_load_dwordx2 v[24:25], v[14:15], off
	s_waitcnt vmcnt(1)
	v_subrev_u32_e32 v16, s14, v16
	v_mad_u64_u32 v[16:17], s[10:11], v16, 27, v[13:14]
	v_ashrrev_i32_e32 v17, 31, v16
	v_lshlrev_b64 v[16:17], 4, v[16:17]
	v_add_co_u32_e32 v16, vcc, s2, v16
	v_addc_co_u32_e32 v17, vcc, v20, v17, vcc
	global_load_dwordx4 v[20:23], v[16:17], off
	s_waitcnt vmcnt(1)
	v_cvt_f64_f32_e32 v[16:17], v24
	v_cvt_f64_f32_e32 v[24:25], v25
	v_add_co_u32_e32 v14, vcc, 0x16c8, v14
	v_addc_co_u32_e32 v15, vcc, 0, v15, vcc
	s_waitcnt vmcnt(0)
	v_fma_f64 v[9:10], v[16:17], v[20:21], v[9:10]
	v_fma_f64 v[11:12], v[24:25], v[20:21], v[11:12]
	v_fma_f64 v[9:10], -v[24:25], v[22:23], v[9:10]
	v_fma_f64 v[11:12], v[16:17], v[22:23], v[11:12]
	s_branch .LBB538_7
.LBB538_10:
	v_lshlrev_b32_e32 v17, 4, v0
	s_and_b64 vcc, exec, s[16:17]
	ds_write_b128 v17, v[9:12]
	s_waitcnt lgkmcnt(0)
	s_barrier
	s_cbranch_vccz .LBB538_22
; %bb.11:
	v_cmp_gt_u16_e32 vcc, 11, v18
	s_and_saveexec_b64 s[0:1], vcc
	s_cbranch_execz .LBB538_13
; %bb.12:
	ds_read_b128 v[13:16], v17 offset:256
	ds_read_b128 v[19:22], v17
	s_waitcnt lgkmcnt(0)
	v_add_f64 v[13:14], v[13:14], v[19:20]
	v_add_f64 v[15:16], v[15:16], v[21:22]
	ds_write_b128 v17, v[13:16]
.LBB538_13:
	s_or_b64 exec, exec, s[0:1]
	v_cmp_gt_u16_e32 vcc, 8, v18
	s_waitcnt lgkmcnt(0)
	s_barrier
	s_and_saveexec_b64 s[0:1], vcc
	s_cbranch_execz .LBB538_15
; %bb.14:
	ds_read_b128 v[13:16], v17 offset:128
	ds_read_b128 v[19:22], v17
	s_waitcnt lgkmcnt(0)
	v_add_f64 v[13:14], v[13:14], v[19:20]
	v_add_f64 v[15:16], v[15:16], v[21:22]
	ds_write_b128 v17, v[13:16]
.LBB538_15:
	s_or_b64 exec, exec, s[0:1]
	v_cmp_gt_u16_e32 vcc, 4, v18
	s_waitcnt lgkmcnt(0)
	s_barrier
	;; [unrolled: 14-line block ×3, first 2 shown]
	s_and_saveexec_b64 s[0:1], vcc
	s_cbranch_execz .LBB538_19
; %bb.18:
	ds_read_b128 v[13:16], v17
	ds_read_b128 v[18:21], v17 offset:32
	s_waitcnt lgkmcnt(0)
	v_add_f64 v[13:14], v[18:19], v[13:14]
	v_add_f64 v[15:16], v[20:21], v[15:16]
	ds_write_b128 v17, v[13:16]
.LBB538_19:
	s_or_b64 exec, exec, s[0:1]
	v_mov_b32_e32 v16, v12
	v_mov_b32_e32 v14, v10
	v_cmp_gt_u32_e32 vcc, 27, v0
	v_mov_b32_e32 v15, v11
	v_mov_b32_e32 v13, v9
	s_waitcnt lgkmcnt(0)
	s_barrier
	s_and_saveexec_b64 s[0:1], vcc
	s_cbranch_execz .LBB538_21
; %bb.20:
	s_movk_i32 s2, 0x1a0
	v_mad_u32_u24 v18, v0, s2, v17
	ds_read_b128 v[13:16], v18
	ds_read_b128 v[18:21], v18 offset:16
	s_waitcnt lgkmcnt(0)
	v_add_f64 v[13:14], v[18:19], v[13:14]
	v_add_f64 v[15:16], v[20:21], v[15:16]
.LBB538_21:
	s_or_b64 exec, exec, s[0:1]
	s_branch .LBB538_34
.LBB538_22:
                                        ; implicit-def: $vgpr15_vgpr16
                                        ; implicit-def: $vgpr13_vgpr14
	s_cbranch_execz .LBB538_34
; %bb.23:
	s_movk_i32 s0, 0x129
	v_cmp_gt_u32_e32 vcc, s0, v0
	s_and_saveexec_b64 s[0:1], vcc
	s_cbranch_execz .LBB538_25
; %bb.24:
	ds_read_b128 v[13:16], v17 offset:6912
	ds_read_b128 v[18:21], v17
	s_waitcnt lgkmcnt(0)
	v_add_f64 v[13:14], v[13:14], v[18:19]
	v_add_f64 v[15:16], v[15:16], v[20:21]
	ds_write_b128 v17, v[13:16]
.LBB538_25:
	s_or_b64 exec, exec, s[0:1]
	s_movk_i32 s0, 0xd8
	v_cmp_gt_u32_e32 vcc, s0, v0
	s_waitcnt lgkmcnt(0)
	s_barrier
	s_and_saveexec_b64 s[0:1], vcc
	s_cbranch_execz .LBB538_27
; %bb.26:
	ds_read_b128 v[13:16], v17 offset:3456
	ds_read_b128 v[18:21], v17
	s_waitcnt lgkmcnt(0)
	v_add_f64 v[13:14], v[13:14], v[18:19]
	v_add_f64 v[15:16], v[15:16], v[20:21]
	ds_write_b128 v17, v[13:16]
.LBB538_27:
	s_or_b64 exec, exec, s[0:1]
	s_movk_i32 s0, 0x6c
	v_cmp_gt_u32_e32 vcc, s0, v0
	s_waitcnt lgkmcnt(0)
	s_barrier
	s_and_saveexec_b64 s[0:1], vcc
	s_cbranch_execz .LBB538_29
; %bb.28:
	ds_read_b128 v[13:16], v17 offset:1728
	ds_read_b128 v[18:21], v17
	s_waitcnt lgkmcnt(0)
	v_add_f64 v[13:14], v[13:14], v[18:19]
	v_add_f64 v[15:16], v[15:16], v[20:21]
	ds_write_b128 v17, v[13:16]
.LBB538_29:
	s_or_b64 exec, exec, s[0:1]
	v_cmp_gt_u32_e32 vcc, 54, v0
	s_waitcnt lgkmcnt(0)
	s_barrier
	s_and_saveexec_b64 s[0:1], vcc
	s_cbranch_execz .LBB538_31
; %bb.30:
	ds_read_b128 v[13:16], v17 offset:864
	ds_read_b128 v[18:21], v17
	s_waitcnt lgkmcnt(0)
	v_add_f64 v[13:14], v[13:14], v[18:19]
	v_add_f64 v[15:16], v[15:16], v[20:21]
	ds_write_b128 v17, v[13:16]
.LBB538_31:
	s_or_b64 exec, exec, s[0:1]
	v_cmp_gt_u32_e32 vcc, 27, v0
	s_waitcnt lgkmcnt(0)
	s_and_saveexec_b64 s[0:1], vcc
	s_cbranch_execz .LBB538_33
; %bb.32:
	ds_read_b128 v[9:12], v17 offset:432
	ds_read_b128 v[13:16], v17
	s_waitcnt lgkmcnt(0)
	v_add_f64 v[9:10], v[9:10], v[13:14]
	v_add_f64 v[11:12], v[11:12], v[15:16]
.LBB538_33:
	s_or_b64 exec, exec, s[0:1]
	v_mov_b32_e32 v16, v12
	v_mov_b32_e32 v14, v10
	;; [unrolled: 1-line block ×4, first 2 shown]
.LBB538_34:
	v_cmp_gt_u32_e32 vcc, 27, v0
	s_and_b64 exec, exec, vcc
	s_cbranch_execz .LBB538_39
; %bb.35:
	v_mul_f64 v[9:10], v[15:16], -v[7:8]
	v_mul_f64 v[11:12], v[5:6], v[15:16]
	v_cmp_eq_f64_e32 vcc, 0, v[1:2]
	v_cmp_eq_f64_e64 s[0:1], 0, v[3:4]
	v_fma_f64 v[5:6], v[5:6], v[13:14], v[9:10]
	v_fma_f64 v[7:8], v[7:8], v[13:14], v[11:12]
	s_and_b64 s[0:1], vcc, s[0:1]
	s_and_saveexec_b64 s[2:3], s[0:1]
	s_xor_b64 s[0:1], exec, s[2:3]
	s_cbranch_execz .LBB538_37
; %bb.36:
	v_mad_u64_u32 v[0:1], s[2:3], s6, 27, v[0:1]
	v_mov_b32_e32 v1, 0
	v_mov_b32_e32 v2, s13
	v_lshlrev_b64 v[0:1], 4, v[0:1]
	v_add_co_u32_e32 v0, vcc, s12, v0
	v_addc_co_u32_e32 v1, vcc, v2, v1, vcc
	global_store_dwordx4 v[0:1], v[5:8], off
                                        ; implicit-def: $vgpr0
                                        ; implicit-def: $vgpr1_vgpr2
                                        ; implicit-def: $vgpr5_vgpr6
.LBB538_37:
	s_andn2_saveexec_b64 s[0:1], s[0:1]
	s_cbranch_execz .LBB538_39
; %bb.38:
	v_mad_u64_u32 v[9:10], s[0:1], s6, 27, v[0:1]
	v_mov_b32_e32 v10, 0
	v_mov_b32_e32 v0, s13
	v_lshlrev_b64 v[9:10], 4, v[9:10]
	v_add_co_u32_e32 v13, vcc, s12, v9
	v_addc_co_u32_e32 v14, vcc, v0, v10, vcc
	global_load_dwordx4 v[9:12], v[13:14], off
	s_waitcnt vmcnt(0)
	v_fma_f64 v[5:6], v[1:2], v[9:10], v[5:6]
	v_fma_f64 v[7:8], v[3:4], v[9:10], v[7:8]
	v_fma_f64 v[3:4], -v[3:4], v[11:12], v[5:6]
	v_fma_f64 v[5:6], v[1:2], v[11:12], v[7:8]
	global_store_dwordx4 v[13:14], v[3:6], off
.LBB538_39:
	s_endpgm
	.section	.rodata,"a",@progbits
	.p2align	6, 0x0
	.amdhsa_kernel _ZN9rocsparseL20bsrxmvn_17_32_kernelILj27E21rocsparse_complex_numIdEiiS1_IfES2_S2_EEvT2_20rocsparse_direction_NS_24const_host_device_scalarIT0_EES4_PKS4_PKT1_SD_SA_PKT3_PKT4_S8_PT5_21rocsparse_index_base_b
		.amdhsa_group_segment_fixed_size 11664
		.amdhsa_private_segment_fixed_size 0
		.amdhsa_kernarg_size 112
		.amdhsa_user_sgpr_count 6
		.amdhsa_user_sgpr_private_segment_buffer 1
		.amdhsa_user_sgpr_dispatch_ptr 0
		.amdhsa_user_sgpr_queue_ptr 0
		.amdhsa_user_sgpr_kernarg_segment_ptr 1
		.amdhsa_user_sgpr_dispatch_id 0
		.amdhsa_user_sgpr_flat_scratch_init 0
		.amdhsa_user_sgpr_private_segment_size 0
		.amdhsa_uses_dynamic_stack 0
		.amdhsa_system_sgpr_private_segment_wavefront_offset 0
		.amdhsa_system_sgpr_workgroup_id_x 1
		.amdhsa_system_sgpr_workgroup_id_y 0
		.amdhsa_system_sgpr_workgroup_id_z 0
		.amdhsa_system_sgpr_workgroup_info 0
		.amdhsa_system_vgpr_workitem_id 0
		.amdhsa_next_free_vgpr 26
		.amdhsa_next_free_sgpr 61
		.amdhsa_reserve_vcc 1
		.amdhsa_reserve_flat_scratch 0
		.amdhsa_float_round_mode_32 0
		.amdhsa_float_round_mode_16_64 0
		.amdhsa_float_denorm_mode_32 3
		.amdhsa_float_denorm_mode_16_64 3
		.amdhsa_dx10_clamp 1
		.amdhsa_ieee_mode 1
		.amdhsa_fp16_overflow 0
		.amdhsa_exception_fp_ieee_invalid_op 0
		.amdhsa_exception_fp_denorm_src 0
		.amdhsa_exception_fp_ieee_div_zero 0
		.amdhsa_exception_fp_ieee_overflow 0
		.amdhsa_exception_fp_ieee_underflow 0
		.amdhsa_exception_fp_ieee_inexact 0
		.amdhsa_exception_int_div_zero 0
	.end_amdhsa_kernel
	.section	.text._ZN9rocsparseL20bsrxmvn_17_32_kernelILj27E21rocsparse_complex_numIdEiiS1_IfES2_S2_EEvT2_20rocsparse_direction_NS_24const_host_device_scalarIT0_EES4_PKS4_PKT1_SD_SA_PKT3_PKT4_S8_PT5_21rocsparse_index_base_b,"axG",@progbits,_ZN9rocsparseL20bsrxmvn_17_32_kernelILj27E21rocsparse_complex_numIdEiiS1_IfES2_S2_EEvT2_20rocsparse_direction_NS_24const_host_device_scalarIT0_EES4_PKS4_PKT1_SD_SA_PKT3_PKT4_S8_PT5_21rocsparse_index_base_b,comdat
.Lfunc_end538:
	.size	_ZN9rocsparseL20bsrxmvn_17_32_kernelILj27E21rocsparse_complex_numIdEiiS1_IfES2_S2_EEvT2_20rocsparse_direction_NS_24const_host_device_scalarIT0_EES4_PKS4_PKT1_SD_SA_PKT3_PKT4_S8_PT5_21rocsparse_index_base_b, .Lfunc_end538-_ZN9rocsparseL20bsrxmvn_17_32_kernelILj27E21rocsparse_complex_numIdEiiS1_IfES2_S2_EEvT2_20rocsparse_direction_NS_24const_host_device_scalarIT0_EES4_PKS4_PKT1_SD_SA_PKT3_PKT4_S8_PT5_21rocsparse_index_base_b
                                        ; -- End function
	.set _ZN9rocsparseL20bsrxmvn_17_32_kernelILj27E21rocsparse_complex_numIdEiiS1_IfES2_S2_EEvT2_20rocsparse_direction_NS_24const_host_device_scalarIT0_EES4_PKS4_PKT1_SD_SA_PKT3_PKT4_S8_PT5_21rocsparse_index_base_b.num_vgpr, 26
	.set _ZN9rocsparseL20bsrxmvn_17_32_kernelILj27E21rocsparse_complex_numIdEiiS1_IfES2_S2_EEvT2_20rocsparse_direction_NS_24const_host_device_scalarIT0_EES4_PKS4_PKT1_SD_SA_PKT3_PKT4_S8_PT5_21rocsparse_index_base_b.num_agpr, 0
	.set _ZN9rocsparseL20bsrxmvn_17_32_kernelILj27E21rocsparse_complex_numIdEiiS1_IfES2_S2_EEvT2_20rocsparse_direction_NS_24const_host_device_scalarIT0_EES4_PKS4_PKT1_SD_SA_PKT3_PKT4_S8_PT5_21rocsparse_index_base_b.numbered_sgpr, 18
	.set _ZN9rocsparseL20bsrxmvn_17_32_kernelILj27E21rocsparse_complex_numIdEiiS1_IfES2_S2_EEvT2_20rocsparse_direction_NS_24const_host_device_scalarIT0_EES4_PKS4_PKT1_SD_SA_PKT3_PKT4_S8_PT5_21rocsparse_index_base_b.num_named_barrier, 0
	.set _ZN9rocsparseL20bsrxmvn_17_32_kernelILj27E21rocsparse_complex_numIdEiiS1_IfES2_S2_EEvT2_20rocsparse_direction_NS_24const_host_device_scalarIT0_EES4_PKS4_PKT1_SD_SA_PKT3_PKT4_S8_PT5_21rocsparse_index_base_b.private_seg_size, 0
	.set _ZN9rocsparseL20bsrxmvn_17_32_kernelILj27E21rocsparse_complex_numIdEiiS1_IfES2_S2_EEvT2_20rocsparse_direction_NS_24const_host_device_scalarIT0_EES4_PKS4_PKT1_SD_SA_PKT3_PKT4_S8_PT5_21rocsparse_index_base_b.uses_vcc, 1
	.set _ZN9rocsparseL20bsrxmvn_17_32_kernelILj27E21rocsparse_complex_numIdEiiS1_IfES2_S2_EEvT2_20rocsparse_direction_NS_24const_host_device_scalarIT0_EES4_PKS4_PKT1_SD_SA_PKT3_PKT4_S8_PT5_21rocsparse_index_base_b.uses_flat_scratch, 0
	.set _ZN9rocsparseL20bsrxmvn_17_32_kernelILj27E21rocsparse_complex_numIdEiiS1_IfES2_S2_EEvT2_20rocsparse_direction_NS_24const_host_device_scalarIT0_EES4_PKS4_PKT1_SD_SA_PKT3_PKT4_S8_PT5_21rocsparse_index_base_b.has_dyn_sized_stack, 0
	.set _ZN9rocsparseL20bsrxmvn_17_32_kernelILj27E21rocsparse_complex_numIdEiiS1_IfES2_S2_EEvT2_20rocsparse_direction_NS_24const_host_device_scalarIT0_EES4_PKS4_PKT1_SD_SA_PKT3_PKT4_S8_PT5_21rocsparse_index_base_b.has_recursion, 0
	.set _ZN9rocsparseL20bsrxmvn_17_32_kernelILj27E21rocsparse_complex_numIdEiiS1_IfES2_S2_EEvT2_20rocsparse_direction_NS_24const_host_device_scalarIT0_EES4_PKS4_PKT1_SD_SA_PKT3_PKT4_S8_PT5_21rocsparse_index_base_b.has_indirect_call, 0
	.section	.AMDGPU.csdata,"",@progbits
; Kernel info:
; codeLenInByte = 1656
; TotalNumSgprs: 22
; NumVgprs: 26
; ScratchSize: 0
; MemoryBound: 0
; FloatMode: 240
; IeeeMode: 1
; LDSByteSize: 11664 bytes/workgroup (compile time only)
; SGPRBlocks: 8
; VGPRBlocks: 6
; NumSGPRsForWavesPerEU: 65
; NumVGPRsForWavesPerEU: 26
; Occupancy: 9
; WaveLimiterHint : 1
; COMPUTE_PGM_RSRC2:SCRATCH_EN: 0
; COMPUTE_PGM_RSRC2:USER_SGPR: 6
; COMPUTE_PGM_RSRC2:TRAP_HANDLER: 0
; COMPUTE_PGM_RSRC2:TGID_X_EN: 1
; COMPUTE_PGM_RSRC2:TGID_Y_EN: 0
; COMPUTE_PGM_RSRC2:TGID_Z_EN: 0
; COMPUTE_PGM_RSRC2:TIDIG_COMP_CNT: 0
	.section	.text._ZN9rocsparseL20bsrxmvn_17_32_kernelILj28E21rocsparse_complex_numIdEiiS1_IfES2_S2_EEvT2_20rocsparse_direction_NS_24const_host_device_scalarIT0_EES4_PKS4_PKT1_SD_SA_PKT3_PKT4_S8_PT5_21rocsparse_index_base_b,"axG",@progbits,_ZN9rocsparseL20bsrxmvn_17_32_kernelILj28E21rocsparse_complex_numIdEiiS1_IfES2_S2_EEvT2_20rocsparse_direction_NS_24const_host_device_scalarIT0_EES4_PKS4_PKT1_SD_SA_PKT3_PKT4_S8_PT5_21rocsparse_index_base_b,comdat
	.globl	_ZN9rocsparseL20bsrxmvn_17_32_kernelILj28E21rocsparse_complex_numIdEiiS1_IfES2_S2_EEvT2_20rocsparse_direction_NS_24const_host_device_scalarIT0_EES4_PKS4_PKT1_SD_SA_PKT3_PKT4_S8_PT5_21rocsparse_index_base_b ; -- Begin function _ZN9rocsparseL20bsrxmvn_17_32_kernelILj28E21rocsparse_complex_numIdEiiS1_IfES2_S2_EEvT2_20rocsparse_direction_NS_24const_host_device_scalarIT0_EES4_PKS4_PKT1_SD_SA_PKT3_PKT4_S8_PT5_21rocsparse_index_base_b
	.p2align	8
	.type	_ZN9rocsparseL20bsrxmvn_17_32_kernelILj28E21rocsparse_complex_numIdEiiS1_IfES2_S2_EEvT2_20rocsparse_direction_NS_24const_host_device_scalarIT0_EES4_PKS4_PKT1_SD_SA_PKT3_PKT4_S8_PT5_21rocsparse_index_base_b,@function
_ZN9rocsparseL20bsrxmvn_17_32_kernelILj28E21rocsparse_complex_numIdEiiS1_IfES2_S2_EEvT2_20rocsparse_direction_NS_24const_host_device_scalarIT0_EES4_PKS4_PKT1_SD_SA_PKT3_PKT4_S8_PT5_21rocsparse_index_base_b: ; @_ZN9rocsparseL20bsrxmvn_17_32_kernelILj28E21rocsparse_complex_numIdEiiS1_IfES2_S2_EEvT2_20rocsparse_direction_NS_24const_host_device_scalarIT0_EES4_PKS4_PKT1_SD_SA_PKT3_PKT4_S8_PT5_21rocsparse_index_base_b
; %bb.0:
	s_load_dwordx2 s[0:1], s[4:5], 0x8
	s_load_dwordx2 s[14:15], s[4:5], 0x68
	s_add_u32 s7, s4, 8
	s_addc_u32 s8, s5, 0
	s_add_u32 s9, s4, 0x50
	s_addc_u32 s10, s5, 0
	s_waitcnt lgkmcnt(0)
	s_bitcmp1_b32 s15, 0
	s_cselect_b32 s1, s8, s1
	s_cselect_b32 s0, s7, s0
	v_mov_b32_e32 v1, s0
	v_mov_b32_e32 v2, s1
	flat_load_dwordx4 v[5:8], v[1:2]
	s_load_dwordx2 s[2:3], s[4:5], 0x50
	s_waitcnt lgkmcnt(0)
	s_cselect_b32 s0, s10, s3
	s_cselect_b32 s1, s9, s2
	v_mov_b32_e32 v1, s1
	v_mov_b32_e32 v2, s0
	flat_load_dwordx4 v[1:4], v[1:2]
	s_waitcnt vmcnt(0)
	v_cmp_eq_f64_e32 vcc, 0, v[5:6]
	v_cmp_eq_f64_e64 s[0:1], 0, v[7:8]
	s_and_b64 s[8:9], vcc, s[0:1]
	s_mov_b64 s[0:1], -1
	s_and_saveexec_b64 s[2:3], s[8:9]
	s_cbranch_execz .LBB539_2
; %bb.1:
	s_waitcnt lgkmcnt(0)
	v_cmp_neq_f64_e32 vcc, 1.0, v[1:2]
	v_cmp_neq_f64_e64 s[0:1], 0, v[3:4]
	s_or_b64 s[0:1], vcc, s[0:1]
	s_orn2_b64 s[0:1], s[0:1], exec
.LBB539_2:
	s_or_b64 exec, exec, s[2:3]
	s_and_saveexec_b64 s[2:3], s[0:1]
	s_cbranch_execz .LBB539_39
; %bb.3:
	s_load_dwordx4 s[0:3], s[4:5], 0x20
	s_load_dwordx2 s[8:9], s[4:5], 0x30
	s_waitcnt lgkmcnt(0)
	s_cmp_eq_u64 s[0:1], 0
	s_cbranch_scc1 .LBB539_5
; %bb.4:
	s_ashr_i32 s7, s6, 31
	s_lshl_b64 s[6:7], s[6:7], 2
	s_add_u32 s0, s0, s6
	s_addc_u32 s1, s1, s7
	s_load_dword s0, s[0:1], 0x0
	s_waitcnt lgkmcnt(0)
	s_sub_i32 s6, s0, s14
.LBB539_5:
	s_load_dword s0, s[4:5], 0x4
	s_load_dwordx2 s[12:13], s[4:5], 0x60
	v_mul_u32_u24_e32 v13, 0x925, v0
	v_mov_b32_e32 v9, 28
	v_mul_lo_u16_sdwa v14, v13, v9 dst_sel:DWORD dst_unused:UNUSED_PAD src0_sel:WORD_1 src1_sel:DWORD
	s_waitcnt lgkmcnt(0)
	s_cmp_eq_u32 s0, 1
	s_cselect_b64 vcc, -1, 0
	s_cmp_lg_u32 s0, 1
	s_cselect_b64 s[16:17], -1, 0
	s_ashr_i32 s7, s6, 31
	s_lshl_b64 s[0:1], s[6:7], 2
	s_add_u32 s2, s2, s0
	s_addc_u32 s3, s3, s1
	s_load_dword s7, s[2:3], 0x0
	s_add_u32 s2, s2, 4
	s_addc_u32 s3, s3, 0
	s_add_u32 s0, s8, s0
	s_addc_u32 s1, s9, s1
	s_cmp_eq_u64 s[8:9], 0
	s_cselect_b32 s1, s3, s1
	s_cselect_b32 s0, s2, s0
	s_load_dword s0, s[0:1], 0x0
	v_mov_b32_e32 v11, 0
	v_mov_b32_e32 v9, 0
	v_mov_b32_e32 v12, 0
	v_mov_b32_e32 v10, 0
	s_waitcnt lgkmcnt(0)
	s_cmp_ge_i32 s7, s0
	v_sub_u16_e32 v18, v0, v14
	s_cbranch_scc1 .LBB539_10
; %bb.6:
	s_load_dwordx2 s[2:3], s[4:5], 0x48
	s_load_dwordx4 s[8:11], s[4:5], 0x38
	s_sub_i32 s4, s0, s14
	s_mov_b32 s0, 0xffff
	s_movk_i32 s1, 0x310
	v_and_b32_sdwa v9, s0, v13 dst_sel:DWORD dst_unused:UNUSED_PAD src0_sel:DWORD src1_sel:WORD_1
	v_subrev_u32_e32 v10, 28, v9
	v_cmp_gt_u32_e64 s[0:1], s1, v0
	s_sub_i32 s5, s7, s14
	v_cndmask_b32_e64 v9, v10, v9, s[0:1]
	s_mul_i32 s1, s5, 0x1880
	s_mul_hi_i32 s0, s5, 0x1880
	s_waitcnt lgkmcnt(0)
	s_add_u32 s1, s10, s1
	v_cndmask_b32_e32 v13, v18, v9, vcc
	s_addc_u32 s0, s11, s0
	v_lshlrev_b32_e32 v9, 3, v0
	v_mov_b32_e32 v10, s0
	v_add_co_u32_e32 v14, vcc, s1, v9
	v_addc_co_u32_e32 v15, vcc, 0, v10, vcc
	s_movk_i32 s0, 0x30f
	v_mov_b32_e32 v11, 0
	v_mov_b32_e32 v12, 0
	v_cmp_lt_u32_e32 vcc, s0, v0
	v_mov_b32_e32 v9, v11
	v_cndmask_b32_e64 v19, 0, 1, vcc
	v_mov_b32_e32 v10, v12
	s_branch .LBB539_8
.LBB539_7:                              ;   in Loop: Header=BB539_8 Depth=1
	s_or_b64 exec, exec, s[0:1]
	s_add_i32 s5, s5, 1
	s_cmp_lt_i32 s5, s4
	s_cbranch_scc0 .LBB539_10
.LBB539_8:                              ; =>This Inner Loop Header: Depth=1
	v_add_u32_e32 v16, s5, v19
	v_cmp_gt_i32_e32 vcc, s4, v16
	s_and_saveexec_b64 s[0:1], vcc
	s_cbranch_execz .LBB539_7
; %bb.9:                                ;   in Loop: Header=BB539_8 Depth=1
	v_ashrrev_i32_e32 v17, 31, v16
	v_lshlrev_b64 v[16:17], 2, v[16:17]
	v_mov_b32_e32 v20, s9
	v_add_co_u32_e32 v16, vcc, s8, v16
	v_addc_co_u32_e32 v17, vcc, v20, v17, vcc
	global_load_dword v16, v[16:17], off
	v_mov_b32_e32 v20, s3
	global_load_dwordx2 v[24:25], v[14:15], off
	s_waitcnt vmcnt(1)
	v_subrev_u32_e32 v16, s14, v16
	v_mad_u64_u32 v[16:17], s[10:11], v16, 28, v[13:14]
	v_ashrrev_i32_e32 v17, 31, v16
	v_lshlrev_b64 v[16:17], 4, v[16:17]
	v_add_co_u32_e32 v16, vcc, s2, v16
	v_addc_co_u32_e32 v17, vcc, v20, v17, vcc
	global_load_dwordx4 v[20:23], v[16:17], off
	s_waitcnt vmcnt(1)
	v_cvt_f64_f32_e32 v[16:17], v24
	v_cvt_f64_f32_e32 v[24:25], v25
	v_add_co_u32_e32 v14, vcc, 0x1880, v14
	v_addc_co_u32_e32 v15, vcc, 0, v15, vcc
	s_waitcnt vmcnt(0)
	v_fma_f64 v[9:10], v[16:17], v[20:21], v[9:10]
	v_fma_f64 v[11:12], v[24:25], v[20:21], v[11:12]
	v_fma_f64 v[9:10], -v[24:25], v[22:23], v[9:10]
	v_fma_f64 v[11:12], v[16:17], v[22:23], v[11:12]
	s_branch .LBB539_7
.LBB539_10:
	v_lshlrev_b32_e32 v17, 4, v0
	s_and_b64 vcc, exec, s[16:17]
	ds_write_b128 v17, v[9:12]
	s_waitcnt lgkmcnt(0)
	s_barrier
	s_cbranch_vccz .LBB539_22
; %bb.11:
	v_cmp_gt_u16_e32 vcc, 12, v18
	s_and_saveexec_b64 s[0:1], vcc
	s_cbranch_execz .LBB539_13
; %bb.12:
	ds_read_b128 v[13:16], v17 offset:256
	ds_read_b128 v[19:22], v17
	s_waitcnt lgkmcnt(0)
	v_add_f64 v[13:14], v[13:14], v[19:20]
	v_add_f64 v[15:16], v[15:16], v[21:22]
	ds_write_b128 v17, v[13:16]
.LBB539_13:
	s_or_b64 exec, exec, s[0:1]
	v_cmp_gt_u16_e32 vcc, 8, v18
	s_waitcnt lgkmcnt(0)
	s_barrier
	s_and_saveexec_b64 s[0:1], vcc
	s_cbranch_execz .LBB539_15
; %bb.14:
	ds_read_b128 v[13:16], v17 offset:128
	ds_read_b128 v[19:22], v17
	s_waitcnt lgkmcnt(0)
	v_add_f64 v[13:14], v[13:14], v[19:20]
	v_add_f64 v[15:16], v[15:16], v[21:22]
	ds_write_b128 v17, v[13:16]
.LBB539_15:
	s_or_b64 exec, exec, s[0:1]
	v_cmp_gt_u16_e32 vcc, 4, v18
	s_waitcnt lgkmcnt(0)
	s_barrier
	;; [unrolled: 14-line block ×3, first 2 shown]
	s_and_saveexec_b64 s[0:1], vcc
	s_cbranch_execz .LBB539_19
; %bb.18:
	ds_read_b128 v[13:16], v17
	ds_read_b128 v[18:21], v17 offset:32
	s_waitcnt lgkmcnt(0)
	v_add_f64 v[13:14], v[18:19], v[13:14]
	v_add_f64 v[15:16], v[20:21], v[15:16]
	ds_write_b128 v17, v[13:16]
.LBB539_19:
	s_or_b64 exec, exec, s[0:1]
	v_mov_b32_e32 v16, v12
	v_mov_b32_e32 v14, v10
	v_cmp_gt_u32_e32 vcc, 28, v0
	v_mov_b32_e32 v15, v11
	v_mov_b32_e32 v13, v9
	s_waitcnt lgkmcnt(0)
	s_barrier
	s_and_saveexec_b64 s[0:1], vcc
	s_cbranch_execz .LBB539_21
; %bb.20:
	s_movk_i32 s2, 0x1b0
	v_mad_u32_u24 v18, v0, s2, v17
	ds_read_b128 v[13:16], v18
	ds_read_b128 v[18:21], v18 offset:16
	s_waitcnt lgkmcnt(0)
	v_add_f64 v[13:14], v[18:19], v[13:14]
	v_add_f64 v[15:16], v[20:21], v[15:16]
.LBB539_21:
	s_or_b64 exec, exec, s[0:1]
	s_branch .LBB539_34
.LBB539_22:
                                        ; implicit-def: $vgpr15_vgpr16
                                        ; implicit-def: $vgpr13_vgpr14
	s_cbranch_execz .LBB539_34
; %bb.23:
	s_movk_i32 s0, 0x150
	v_cmp_gt_u32_e32 vcc, s0, v0
	s_and_saveexec_b64 s[0:1], vcc
	s_cbranch_execz .LBB539_25
; %bb.24:
	ds_read_b128 v[13:16], v17 offset:7168
	ds_read_b128 v[18:21], v17
	s_waitcnt lgkmcnt(0)
	v_add_f64 v[13:14], v[13:14], v[18:19]
	v_add_f64 v[15:16], v[15:16], v[20:21]
	ds_write_b128 v17, v[13:16]
.LBB539_25:
	s_or_b64 exec, exec, s[0:1]
	s_movk_i32 s0, 0xe0
	v_cmp_gt_u32_e32 vcc, s0, v0
	s_waitcnt lgkmcnt(0)
	s_barrier
	s_and_saveexec_b64 s[0:1], vcc
	s_cbranch_execz .LBB539_27
; %bb.26:
	ds_read_b128 v[13:16], v17 offset:3584
	ds_read_b128 v[18:21], v17
	s_waitcnt lgkmcnt(0)
	v_add_f64 v[13:14], v[13:14], v[18:19]
	v_add_f64 v[15:16], v[15:16], v[20:21]
	ds_write_b128 v17, v[13:16]
.LBB539_27:
	s_or_b64 exec, exec, s[0:1]
	s_movk_i32 s0, 0x70
	v_cmp_gt_u32_e32 vcc, s0, v0
	s_waitcnt lgkmcnt(0)
	s_barrier
	s_and_saveexec_b64 s[0:1], vcc
	s_cbranch_execz .LBB539_29
; %bb.28:
	ds_read_b128 v[13:16], v17 offset:1792
	ds_read_b128 v[18:21], v17
	s_waitcnt lgkmcnt(0)
	v_add_f64 v[13:14], v[13:14], v[18:19]
	v_add_f64 v[15:16], v[15:16], v[20:21]
	ds_write_b128 v17, v[13:16]
.LBB539_29:
	s_or_b64 exec, exec, s[0:1]
	v_cmp_gt_u32_e32 vcc, 56, v0
	s_waitcnt lgkmcnt(0)
	s_barrier
	s_and_saveexec_b64 s[0:1], vcc
	s_cbranch_execz .LBB539_31
; %bb.30:
	ds_read_b128 v[13:16], v17 offset:896
	ds_read_b128 v[18:21], v17
	s_waitcnt lgkmcnt(0)
	v_add_f64 v[13:14], v[13:14], v[18:19]
	v_add_f64 v[15:16], v[15:16], v[20:21]
	ds_write_b128 v17, v[13:16]
.LBB539_31:
	s_or_b64 exec, exec, s[0:1]
	v_cmp_gt_u32_e32 vcc, 28, v0
	s_waitcnt lgkmcnt(0)
	s_and_saveexec_b64 s[0:1], vcc
	s_cbranch_execz .LBB539_33
; %bb.32:
	ds_read_b128 v[9:12], v17 offset:448
	ds_read_b128 v[13:16], v17
	s_waitcnt lgkmcnt(0)
	v_add_f64 v[9:10], v[9:10], v[13:14]
	v_add_f64 v[11:12], v[11:12], v[15:16]
.LBB539_33:
	s_or_b64 exec, exec, s[0:1]
	v_mov_b32_e32 v16, v12
	v_mov_b32_e32 v14, v10
	;; [unrolled: 1-line block ×4, first 2 shown]
.LBB539_34:
	v_cmp_gt_u32_e32 vcc, 28, v0
	s_and_b64 exec, exec, vcc
	s_cbranch_execz .LBB539_39
; %bb.35:
	v_mul_f64 v[9:10], v[15:16], -v[7:8]
	v_mul_f64 v[11:12], v[5:6], v[15:16]
	v_cmp_eq_f64_e32 vcc, 0, v[1:2]
	v_cmp_eq_f64_e64 s[0:1], 0, v[3:4]
	v_fma_f64 v[5:6], v[5:6], v[13:14], v[9:10]
	v_fma_f64 v[7:8], v[7:8], v[13:14], v[11:12]
	s_and_b64 s[0:1], vcc, s[0:1]
	s_and_saveexec_b64 s[2:3], s[0:1]
	s_xor_b64 s[0:1], exec, s[2:3]
	s_cbranch_execz .LBB539_37
; %bb.36:
	v_mad_u64_u32 v[0:1], s[2:3], s6, 28, v[0:1]
	v_mov_b32_e32 v1, 0
	v_mov_b32_e32 v2, s13
	v_lshlrev_b64 v[0:1], 4, v[0:1]
	v_add_co_u32_e32 v0, vcc, s12, v0
	v_addc_co_u32_e32 v1, vcc, v2, v1, vcc
	global_store_dwordx4 v[0:1], v[5:8], off
                                        ; implicit-def: $vgpr0
                                        ; implicit-def: $vgpr1_vgpr2
                                        ; implicit-def: $vgpr5_vgpr6
.LBB539_37:
	s_andn2_saveexec_b64 s[0:1], s[0:1]
	s_cbranch_execz .LBB539_39
; %bb.38:
	v_mad_u64_u32 v[9:10], s[0:1], s6, 28, v[0:1]
	v_mov_b32_e32 v10, 0
	v_mov_b32_e32 v0, s13
	v_lshlrev_b64 v[9:10], 4, v[9:10]
	v_add_co_u32_e32 v13, vcc, s12, v9
	v_addc_co_u32_e32 v14, vcc, v0, v10, vcc
	global_load_dwordx4 v[9:12], v[13:14], off
	s_waitcnt vmcnt(0)
	v_fma_f64 v[5:6], v[1:2], v[9:10], v[5:6]
	v_fma_f64 v[7:8], v[3:4], v[9:10], v[7:8]
	v_fma_f64 v[3:4], -v[3:4], v[11:12], v[5:6]
	v_fma_f64 v[5:6], v[1:2], v[11:12], v[7:8]
	global_store_dwordx4 v[13:14], v[3:6], off
.LBB539_39:
	s_endpgm
	.section	.rodata,"a",@progbits
	.p2align	6, 0x0
	.amdhsa_kernel _ZN9rocsparseL20bsrxmvn_17_32_kernelILj28E21rocsparse_complex_numIdEiiS1_IfES2_S2_EEvT2_20rocsparse_direction_NS_24const_host_device_scalarIT0_EES4_PKS4_PKT1_SD_SA_PKT3_PKT4_S8_PT5_21rocsparse_index_base_b
		.amdhsa_group_segment_fixed_size 12544
		.amdhsa_private_segment_fixed_size 0
		.amdhsa_kernarg_size 112
		.amdhsa_user_sgpr_count 6
		.amdhsa_user_sgpr_private_segment_buffer 1
		.amdhsa_user_sgpr_dispatch_ptr 0
		.amdhsa_user_sgpr_queue_ptr 0
		.amdhsa_user_sgpr_kernarg_segment_ptr 1
		.amdhsa_user_sgpr_dispatch_id 0
		.amdhsa_user_sgpr_flat_scratch_init 0
		.amdhsa_user_sgpr_private_segment_size 0
		.amdhsa_uses_dynamic_stack 0
		.amdhsa_system_sgpr_private_segment_wavefront_offset 0
		.amdhsa_system_sgpr_workgroup_id_x 1
		.amdhsa_system_sgpr_workgroup_id_y 0
		.amdhsa_system_sgpr_workgroup_id_z 0
		.amdhsa_system_sgpr_workgroup_info 0
		.amdhsa_system_vgpr_workitem_id 0
		.amdhsa_next_free_vgpr 26
		.amdhsa_next_free_sgpr 18
		.amdhsa_reserve_vcc 1
		.amdhsa_reserve_flat_scratch 0
		.amdhsa_float_round_mode_32 0
		.amdhsa_float_round_mode_16_64 0
		.amdhsa_float_denorm_mode_32 3
		.amdhsa_float_denorm_mode_16_64 3
		.amdhsa_dx10_clamp 1
		.amdhsa_ieee_mode 1
		.amdhsa_fp16_overflow 0
		.amdhsa_exception_fp_ieee_invalid_op 0
		.amdhsa_exception_fp_denorm_src 0
		.amdhsa_exception_fp_ieee_div_zero 0
		.amdhsa_exception_fp_ieee_overflow 0
		.amdhsa_exception_fp_ieee_underflow 0
		.amdhsa_exception_fp_ieee_inexact 0
		.amdhsa_exception_int_div_zero 0
	.end_amdhsa_kernel
	.section	.text._ZN9rocsparseL20bsrxmvn_17_32_kernelILj28E21rocsparse_complex_numIdEiiS1_IfES2_S2_EEvT2_20rocsparse_direction_NS_24const_host_device_scalarIT0_EES4_PKS4_PKT1_SD_SA_PKT3_PKT4_S8_PT5_21rocsparse_index_base_b,"axG",@progbits,_ZN9rocsparseL20bsrxmvn_17_32_kernelILj28E21rocsparse_complex_numIdEiiS1_IfES2_S2_EEvT2_20rocsparse_direction_NS_24const_host_device_scalarIT0_EES4_PKS4_PKT1_SD_SA_PKT3_PKT4_S8_PT5_21rocsparse_index_base_b,comdat
.Lfunc_end539:
	.size	_ZN9rocsparseL20bsrxmvn_17_32_kernelILj28E21rocsparse_complex_numIdEiiS1_IfES2_S2_EEvT2_20rocsparse_direction_NS_24const_host_device_scalarIT0_EES4_PKS4_PKT1_SD_SA_PKT3_PKT4_S8_PT5_21rocsparse_index_base_b, .Lfunc_end539-_ZN9rocsparseL20bsrxmvn_17_32_kernelILj28E21rocsparse_complex_numIdEiiS1_IfES2_S2_EEvT2_20rocsparse_direction_NS_24const_host_device_scalarIT0_EES4_PKS4_PKT1_SD_SA_PKT3_PKT4_S8_PT5_21rocsparse_index_base_b
                                        ; -- End function
	.set _ZN9rocsparseL20bsrxmvn_17_32_kernelILj28E21rocsparse_complex_numIdEiiS1_IfES2_S2_EEvT2_20rocsparse_direction_NS_24const_host_device_scalarIT0_EES4_PKS4_PKT1_SD_SA_PKT3_PKT4_S8_PT5_21rocsparse_index_base_b.num_vgpr, 26
	.set _ZN9rocsparseL20bsrxmvn_17_32_kernelILj28E21rocsparse_complex_numIdEiiS1_IfES2_S2_EEvT2_20rocsparse_direction_NS_24const_host_device_scalarIT0_EES4_PKS4_PKT1_SD_SA_PKT3_PKT4_S8_PT5_21rocsparse_index_base_b.num_agpr, 0
	.set _ZN9rocsparseL20bsrxmvn_17_32_kernelILj28E21rocsparse_complex_numIdEiiS1_IfES2_S2_EEvT2_20rocsparse_direction_NS_24const_host_device_scalarIT0_EES4_PKS4_PKT1_SD_SA_PKT3_PKT4_S8_PT5_21rocsparse_index_base_b.numbered_sgpr, 18
	.set _ZN9rocsparseL20bsrxmvn_17_32_kernelILj28E21rocsparse_complex_numIdEiiS1_IfES2_S2_EEvT2_20rocsparse_direction_NS_24const_host_device_scalarIT0_EES4_PKS4_PKT1_SD_SA_PKT3_PKT4_S8_PT5_21rocsparse_index_base_b.num_named_barrier, 0
	.set _ZN9rocsparseL20bsrxmvn_17_32_kernelILj28E21rocsparse_complex_numIdEiiS1_IfES2_S2_EEvT2_20rocsparse_direction_NS_24const_host_device_scalarIT0_EES4_PKS4_PKT1_SD_SA_PKT3_PKT4_S8_PT5_21rocsparse_index_base_b.private_seg_size, 0
	.set _ZN9rocsparseL20bsrxmvn_17_32_kernelILj28E21rocsparse_complex_numIdEiiS1_IfES2_S2_EEvT2_20rocsparse_direction_NS_24const_host_device_scalarIT0_EES4_PKS4_PKT1_SD_SA_PKT3_PKT4_S8_PT5_21rocsparse_index_base_b.uses_vcc, 1
	.set _ZN9rocsparseL20bsrxmvn_17_32_kernelILj28E21rocsparse_complex_numIdEiiS1_IfES2_S2_EEvT2_20rocsparse_direction_NS_24const_host_device_scalarIT0_EES4_PKS4_PKT1_SD_SA_PKT3_PKT4_S8_PT5_21rocsparse_index_base_b.uses_flat_scratch, 0
	.set _ZN9rocsparseL20bsrxmvn_17_32_kernelILj28E21rocsparse_complex_numIdEiiS1_IfES2_S2_EEvT2_20rocsparse_direction_NS_24const_host_device_scalarIT0_EES4_PKS4_PKT1_SD_SA_PKT3_PKT4_S8_PT5_21rocsparse_index_base_b.has_dyn_sized_stack, 0
	.set _ZN9rocsparseL20bsrxmvn_17_32_kernelILj28E21rocsparse_complex_numIdEiiS1_IfES2_S2_EEvT2_20rocsparse_direction_NS_24const_host_device_scalarIT0_EES4_PKS4_PKT1_SD_SA_PKT3_PKT4_S8_PT5_21rocsparse_index_base_b.has_recursion, 0
	.set _ZN9rocsparseL20bsrxmvn_17_32_kernelILj28E21rocsparse_complex_numIdEiiS1_IfES2_S2_EEvT2_20rocsparse_direction_NS_24const_host_device_scalarIT0_EES4_PKS4_PKT1_SD_SA_PKT3_PKT4_S8_PT5_21rocsparse_index_base_b.has_indirect_call, 0
	.section	.AMDGPU.csdata,"",@progbits
; Kernel info:
; codeLenInByte = 1656
; TotalNumSgprs: 22
; NumVgprs: 26
; ScratchSize: 0
; MemoryBound: 0
; FloatMode: 240
; IeeeMode: 1
; LDSByteSize: 12544 bytes/workgroup (compile time only)
; SGPRBlocks: 2
; VGPRBlocks: 6
; NumSGPRsForWavesPerEU: 22
; NumVGPRsForWavesPerEU: 26
; Occupancy: 9
; WaveLimiterHint : 1
; COMPUTE_PGM_RSRC2:SCRATCH_EN: 0
; COMPUTE_PGM_RSRC2:USER_SGPR: 6
; COMPUTE_PGM_RSRC2:TRAP_HANDLER: 0
; COMPUTE_PGM_RSRC2:TGID_X_EN: 1
; COMPUTE_PGM_RSRC2:TGID_Y_EN: 0
; COMPUTE_PGM_RSRC2:TGID_Z_EN: 0
; COMPUTE_PGM_RSRC2:TIDIG_COMP_CNT: 0
	.section	.text._ZN9rocsparseL20bsrxmvn_17_32_kernelILj29E21rocsparse_complex_numIdEiiS1_IfES2_S2_EEvT2_20rocsparse_direction_NS_24const_host_device_scalarIT0_EES4_PKS4_PKT1_SD_SA_PKT3_PKT4_S8_PT5_21rocsparse_index_base_b,"axG",@progbits,_ZN9rocsparseL20bsrxmvn_17_32_kernelILj29E21rocsparse_complex_numIdEiiS1_IfES2_S2_EEvT2_20rocsparse_direction_NS_24const_host_device_scalarIT0_EES4_PKS4_PKT1_SD_SA_PKT3_PKT4_S8_PT5_21rocsparse_index_base_b,comdat
	.globl	_ZN9rocsparseL20bsrxmvn_17_32_kernelILj29E21rocsparse_complex_numIdEiiS1_IfES2_S2_EEvT2_20rocsparse_direction_NS_24const_host_device_scalarIT0_EES4_PKS4_PKT1_SD_SA_PKT3_PKT4_S8_PT5_21rocsparse_index_base_b ; -- Begin function _ZN9rocsparseL20bsrxmvn_17_32_kernelILj29E21rocsparse_complex_numIdEiiS1_IfES2_S2_EEvT2_20rocsparse_direction_NS_24const_host_device_scalarIT0_EES4_PKS4_PKT1_SD_SA_PKT3_PKT4_S8_PT5_21rocsparse_index_base_b
	.p2align	8
	.type	_ZN9rocsparseL20bsrxmvn_17_32_kernelILj29E21rocsparse_complex_numIdEiiS1_IfES2_S2_EEvT2_20rocsparse_direction_NS_24const_host_device_scalarIT0_EES4_PKS4_PKT1_SD_SA_PKT3_PKT4_S8_PT5_21rocsparse_index_base_b,@function
_ZN9rocsparseL20bsrxmvn_17_32_kernelILj29E21rocsparse_complex_numIdEiiS1_IfES2_S2_EEvT2_20rocsparse_direction_NS_24const_host_device_scalarIT0_EES4_PKS4_PKT1_SD_SA_PKT3_PKT4_S8_PT5_21rocsparse_index_base_b: ; @_ZN9rocsparseL20bsrxmvn_17_32_kernelILj29E21rocsparse_complex_numIdEiiS1_IfES2_S2_EEvT2_20rocsparse_direction_NS_24const_host_device_scalarIT0_EES4_PKS4_PKT1_SD_SA_PKT3_PKT4_S8_PT5_21rocsparse_index_base_b
; %bb.0:
	s_load_dwordx2 s[0:1], s[4:5], 0x8
	s_load_dwordx2 s[14:15], s[4:5], 0x68
	s_add_u32 s7, s4, 8
	s_addc_u32 s8, s5, 0
	s_add_u32 s9, s4, 0x50
	s_addc_u32 s10, s5, 0
	s_waitcnt lgkmcnt(0)
	s_bitcmp1_b32 s15, 0
	s_cselect_b32 s1, s8, s1
	s_cselect_b32 s0, s7, s0
	v_mov_b32_e32 v1, s0
	v_mov_b32_e32 v2, s1
	flat_load_dwordx4 v[5:8], v[1:2]
	s_load_dwordx2 s[2:3], s[4:5], 0x50
	s_waitcnt lgkmcnt(0)
	s_cselect_b32 s0, s10, s3
	s_cselect_b32 s1, s9, s2
	v_mov_b32_e32 v1, s1
	v_mov_b32_e32 v2, s0
	flat_load_dwordx4 v[1:4], v[1:2]
	s_waitcnt vmcnt(0)
	v_cmp_eq_f64_e32 vcc, 0, v[5:6]
	v_cmp_eq_f64_e64 s[0:1], 0, v[7:8]
	s_and_b64 s[8:9], vcc, s[0:1]
	s_mov_b64 s[0:1], -1
	s_and_saveexec_b64 s[2:3], s[8:9]
	s_cbranch_execz .LBB540_2
; %bb.1:
	s_waitcnt lgkmcnt(0)
	v_cmp_neq_f64_e32 vcc, 1.0, v[1:2]
	v_cmp_neq_f64_e64 s[0:1], 0, v[3:4]
	s_or_b64 s[0:1], vcc, s[0:1]
	s_orn2_b64 s[0:1], s[0:1], exec
.LBB540_2:
	s_or_b64 exec, exec, s[2:3]
	s_and_saveexec_b64 s[2:3], s[0:1]
	s_cbranch_execz .LBB540_39
; %bb.3:
	s_load_dwordx4 s[0:3], s[4:5], 0x20
	s_load_dwordx2 s[8:9], s[4:5], 0x30
	s_waitcnt lgkmcnt(0)
	s_cmp_eq_u64 s[0:1], 0
	s_cbranch_scc1 .LBB540_5
; %bb.4:
	s_ashr_i32 s7, s6, 31
	s_lshl_b64 s[6:7], s[6:7], 2
	s_add_u32 s0, s0, s6
	s_addc_u32 s1, s1, s7
	s_load_dword s0, s[0:1], 0x0
	s_waitcnt lgkmcnt(0)
	s_sub_i32 s6, s0, s14
.LBB540_5:
	s_load_dword s0, s[4:5], 0x4
	s_load_dwordx2 s[12:13], s[4:5], 0x60
	v_mul_u32_u24_e32 v13, 0x8d4, v0
	v_mov_b32_e32 v9, 29
	v_mul_lo_u16_sdwa v14, v13, v9 dst_sel:DWORD dst_unused:UNUSED_PAD src0_sel:WORD_1 src1_sel:DWORD
	s_waitcnt lgkmcnt(0)
	s_cmp_eq_u32 s0, 1
	s_cselect_b64 vcc, -1, 0
	s_cmp_lg_u32 s0, 1
	s_cselect_b64 s[16:17], -1, 0
	s_ashr_i32 s7, s6, 31
	s_lshl_b64 s[0:1], s[6:7], 2
	s_add_u32 s2, s2, s0
	s_addc_u32 s3, s3, s1
	s_load_dword s7, s[2:3], 0x0
	s_add_u32 s2, s2, 4
	s_addc_u32 s3, s3, 0
	s_add_u32 s0, s8, s0
	s_addc_u32 s1, s9, s1
	s_cmp_eq_u64 s[8:9], 0
	s_cselect_b32 s1, s3, s1
	s_cselect_b32 s0, s2, s0
	s_load_dword s0, s[0:1], 0x0
	v_mov_b32_e32 v11, 0
	v_mov_b32_e32 v9, 0
	;; [unrolled: 1-line block ×4, first 2 shown]
	s_waitcnt lgkmcnt(0)
	s_cmp_ge_i32 s7, s0
	v_sub_u16_e32 v18, v0, v14
	s_cbranch_scc1 .LBB540_10
; %bb.6:
	s_load_dwordx2 s[2:3], s[4:5], 0x48
	s_load_dwordx4 s[8:11], s[4:5], 0x38
	s_sub_i32 s4, s0, s14
	s_mov_b32 s0, 0xffff
	s_movk_i32 s1, 0x349
	v_and_b32_sdwa v9, s0, v13 dst_sel:DWORD dst_unused:UNUSED_PAD src0_sel:DWORD src1_sel:WORD_1
	v_subrev_u32_e32 v10, 29, v9
	v_cmp_gt_u32_e64 s[0:1], s1, v0
	s_sub_i32 s5, s7, s14
	v_cndmask_b32_e64 v9, v10, v9, s[0:1]
	s_mul_i32 s1, s5, 0x1a48
	s_mul_hi_i32 s0, s5, 0x1a48
	s_waitcnt lgkmcnt(0)
	s_add_u32 s1, s10, s1
	v_cndmask_b32_e32 v13, v18, v9, vcc
	s_addc_u32 s0, s11, s0
	v_lshlrev_b32_e32 v9, 3, v0
	v_mov_b32_e32 v10, s0
	v_add_co_u32_e32 v14, vcc, s1, v9
	v_addc_co_u32_e32 v15, vcc, 0, v10, vcc
	s_movk_i32 s0, 0x348
	v_mov_b32_e32 v11, 0
	v_mov_b32_e32 v12, 0
	v_cmp_lt_u32_e32 vcc, s0, v0
	v_mov_b32_e32 v9, v11
	v_cndmask_b32_e64 v19, 0, 1, vcc
	v_mov_b32_e32 v10, v12
	s_branch .LBB540_8
.LBB540_7:                              ;   in Loop: Header=BB540_8 Depth=1
	s_or_b64 exec, exec, s[0:1]
	s_add_i32 s5, s5, 1
	s_cmp_lt_i32 s5, s4
	s_cbranch_scc0 .LBB540_10
.LBB540_8:                              ; =>This Inner Loop Header: Depth=1
	v_add_u32_e32 v16, s5, v19
	v_cmp_gt_i32_e32 vcc, s4, v16
	s_and_saveexec_b64 s[0:1], vcc
	s_cbranch_execz .LBB540_7
; %bb.9:                                ;   in Loop: Header=BB540_8 Depth=1
	v_ashrrev_i32_e32 v17, 31, v16
	v_lshlrev_b64 v[16:17], 2, v[16:17]
	v_mov_b32_e32 v20, s9
	v_add_co_u32_e32 v16, vcc, s8, v16
	v_addc_co_u32_e32 v17, vcc, v20, v17, vcc
	global_load_dword v16, v[16:17], off
	v_mov_b32_e32 v20, s3
	global_load_dwordx2 v[24:25], v[14:15], off
	s_waitcnt vmcnt(1)
	v_subrev_u32_e32 v16, s14, v16
	v_mad_u64_u32 v[16:17], s[10:11], v16, 29, v[13:14]
	v_ashrrev_i32_e32 v17, 31, v16
	v_lshlrev_b64 v[16:17], 4, v[16:17]
	v_add_co_u32_e32 v16, vcc, s2, v16
	v_addc_co_u32_e32 v17, vcc, v20, v17, vcc
	global_load_dwordx4 v[20:23], v[16:17], off
	s_waitcnt vmcnt(1)
	v_cvt_f64_f32_e32 v[16:17], v24
	v_cvt_f64_f32_e32 v[24:25], v25
	v_add_co_u32_e32 v14, vcc, 0x1a48, v14
	v_addc_co_u32_e32 v15, vcc, 0, v15, vcc
	s_waitcnt vmcnt(0)
	v_fma_f64 v[9:10], v[16:17], v[20:21], v[9:10]
	v_fma_f64 v[11:12], v[24:25], v[20:21], v[11:12]
	v_fma_f64 v[9:10], -v[24:25], v[22:23], v[9:10]
	v_fma_f64 v[11:12], v[16:17], v[22:23], v[11:12]
	s_branch .LBB540_7
.LBB540_10:
	v_lshlrev_b32_e32 v17, 4, v0
	s_and_b64 vcc, exec, s[16:17]
	ds_write_b128 v17, v[9:12]
	s_waitcnt lgkmcnt(0)
	s_barrier
	s_cbranch_vccz .LBB540_22
; %bb.11:
	v_cmp_gt_u16_e32 vcc, 13, v18
	s_and_saveexec_b64 s[0:1], vcc
	s_cbranch_execz .LBB540_13
; %bb.12:
	ds_read_b128 v[13:16], v17 offset:256
	ds_read_b128 v[19:22], v17
	s_waitcnt lgkmcnt(0)
	v_add_f64 v[13:14], v[13:14], v[19:20]
	v_add_f64 v[15:16], v[15:16], v[21:22]
	ds_write_b128 v17, v[13:16]
.LBB540_13:
	s_or_b64 exec, exec, s[0:1]
	v_cmp_gt_u16_e32 vcc, 8, v18
	s_waitcnt lgkmcnt(0)
	s_barrier
	s_and_saveexec_b64 s[0:1], vcc
	s_cbranch_execz .LBB540_15
; %bb.14:
	ds_read_b128 v[13:16], v17 offset:128
	ds_read_b128 v[19:22], v17
	s_waitcnt lgkmcnt(0)
	v_add_f64 v[13:14], v[13:14], v[19:20]
	v_add_f64 v[15:16], v[15:16], v[21:22]
	ds_write_b128 v17, v[13:16]
.LBB540_15:
	s_or_b64 exec, exec, s[0:1]
	v_cmp_gt_u16_e32 vcc, 4, v18
	s_waitcnt lgkmcnt(0)
	s_barrier
	;; [unrolled: 14-line block ×3, first 2 shown]
	s_and_saveexec_b64 s[0:1], vcc
	s_cbranch_execz .LBB540_19
; %bb.18:
	ds_read_b128 v[13:16], v17
	ds_read_b128 v[18:21], v17 offset:32
	s_waitcnt lgkmcnt(0)
	v_add_f64 v[13:14], v[18:19], v[13:14]
	v_add_f64 v[15:16], v[20:21], v[15:16]
	ds_write_b128 v17, v[13:16]
.LBB540_19:
	s_or_b64 exec, exec, s[0:1]
	v_mov_b32_e32 v16, v12
	v_mov_b32_e32 v14, v10
	v_cmp_gt_u32_e32 vcc, 29, v0
	v_mov_b32_e32 v15, v11
	v_mov_b32_e32 v13, v9
	s_waitcnt lgkmcnt(0)
	s_barrier
	s_and_saveexec_b64 s[0:1], vcc
	s_cbranch_execz .LBB540_21
; %bb.20:
	s_movk_i32 s2, 0x1c0
	v_mad_u32_u24 v18, v0, s2, v17
	ds_read_b128 v[13:16], v18
	ds_read_b128 v[18:21], v18 offset:16
	s_waitcnt lgkmcnt(0)
	v_add_f64 v[13:14], v[18:19], v[13:14]
	v_add_f64 v[15:16], v[20:21], v[15:16]
.LBB540_21:
	s_or_b64 exec, exec, s[0:1]
	s_branch .LBB540_34
.LBB540_22:
                                        ; implicit-def: $vgpr15_vgpr16
                                        ; implicit-def: $vgpr13_vgpr14
	s_cbranch_execz .LBB540_34
; %bb.23:
	s_movk_i32 s0, 0x179
	v_cmp_gt_u32_e32 vcc, s0, v0
	s_and_saveexec_b64 s[0:1], vcc
	s_cbranch_execz .LBB540_25
; %bb.24:
	ds_read_b128 v[13:16], v17 offset:7424
	ds_read_b128 v[18:21], v17
	s_waitcnt lgkmcnt(0)
	v_add_f64 v[13:14], v[13:14], v[18:19]
	v_add_f64 v[15:16], v[15:16], v[20:21]
	ds_write_b128 v17, v[13:16]
.LBB540_25:
	s_or_b64 exec, exec, s[0:1]
	s_movk_i32 s0, 0xe8
	v_cmp_gt_u32_e32 vcc, s0, v0
	s_waitcnt lgkmcnt(0)
	s_barrier
	s_and_saveexec_b64 s[0:1], vcc
	s_cbranch_execz .LBB540_27
; %bb.26:
	ds_read_b128 v[13:16], v17 offset:3712
	ds_read_b128 v[18:21], v17
	s_waitcnt lgkmcnt(0)
	v_add_f64 v[13:14], v[13:14], v[18:19]
	v_add_f64 v[15:16], v[15:16], v[20:21]
	ds_write_b128 v17, v[13:16]
.LBB540_27:
	s_or_b64 exec, exec, s[0:1]
	s_movk_i32 s0, 0x74
	v_cmp_gt_u32_e32 vcc, s0, v0
	s_waitcnt lgkmcnt(0)
	s_barrier
	s_and_saveexec_b64 s[0:1], vcc
	s_cbranch_execz .LBB540_29
; %bb.28:
	ds_read_b128 v[13:16], v17 offset:1856
	ds_read_b128 v[18:21], v17
	s_waitcnt lgkmcnt(0)
	v_add_f64 v[13:14], v[13:14], v[18:19]
	v_add_f64 v[15:16], v[15:16], v[20:21]
	ds_write_b128 v17, v[13:16]
.LBB540_29:
	s_or_b64 exec, exec, s[0:1]
	v_cmp_gt_u32_e32 vcc, 58, v0
	s_waitcnt lgkmcnt(0)
	s_barrier
	s_and_saveexec_b64 s[0:1], vcc
	s_cbranch_execz .LBB540_31
; %bb.30:
	ds_read_b128 v[13:16], v17 offset:928
	ds_read_b128 v[18:21], v17
	s_waitcnt lgkmcnt(0)
	v_add_f64 v[13:14], v[13:14], v[18:19]
	v_add_f64 v[15:16], v[15:16], v[20:21]
	ds_write_b128 v17, v[13:16]
.LBB540_31:
	s_or_b64 exec, exec, s[0:1]
	v_cmp_gt_u32_e32 vcc, 29, v0
	s_waitcnt lgkmcnt(0)
	s_and_saveexec_b64 s[0:1], vcc
	s_cbranch_execz .LBB540_33
; %bb.32:
	ds_read_b128 v[9:12], v17 offset:464
	ds_read_b128 v[13:16], v17
	s_waitcnt lgkmcnt(0)
	v_add_f64 v[9:10], v[9:10], v[13:14]
	v_add_f64 v[11:12], v[11:12], v[15:16]
.LBB540_33:
	s_or_b64 exec, exec, s[0:1]
	v_mov_b32_e32 v16, v12
	v_mov_b32_e32 v14, v10
	;; [unrolled: 1-line block ×4, first 2 shown]
.LBB540_34:
	v_cmp_gt_u32_e32 vcc, 29, v0
	s_and_b64 exec, exec, vcc
	s_cbranch_execz .LBB540_39
; %bb.35:
	v_mul_f64 v[9:10], v[15:16], -v[7:8]
	v_mul_f64 v[11:12], v[5:6], v[15:16]
	v_cmp_eq_f64_e32 vcc, 0, v[1:2]
	v_cmp_eq_f64_e64 s[0:1], 0, v[3:4]
	v_fma_f64 v[5:6], v[5:6], v[13:14], v[9:10]
	v_fma_f64 v[7:8], v[7:8], v[13:14], v[11:12]
	s_and_b64 s[0:1], vcc, s[0:1]
	s_and_saveexec_b64 s[2:3], s[0:1]
	s_xor_b64 s[0:1], exec, s[2:3]
	s_cbranch_execz .LBB540_37
; %bb.36:
	v_mad_u64_u32 v[0:1], s[2:3], s6, 29, v[0:1]
	v_mov_b32_e32 v1, 0
	v_mov_b32_e32 v2, s13
	v_lshlrev_b64 v[0:1], 4, v[0:1]
	v_add_co_u32_e32 v0, vcc, s12, v0
	v_addc_co_u32_e32 v1, vcc, v2, v1, vcc
	global_store_dwordx4 v[0:1], v[5:8], off
                                        ; implicit-def: $vgpr0
                                        ; implicit-def: $vgpr1_vgpr2
                                        ; implicit-def: $vgpr5_vgpr6
.LBB540_37:
	s_andn2_saveexec_b64 s[0:1], s[0:1]
	s_cbranch_execz .LBB540_39
; %bb.38:
	v_mad_u64_u32 v[9:10], s[0:1], s6, 29, v[0:1]
	v_mov_b32_e32 v10, 0
	v_mov_b32_e32 v0, s13
	v_lshlrev_b64 v[9:10], 4, v[9:10]
	v_add_co_u32_e32 v13, vcc, s12, v9
	v_addc_co_u32_e32 v14, vcc, v0, v10, vcc
	global_load_dwordx4 v[9:12], v[13:14], off
	s_waitcnt vmcnt(0)
	v_fma_f64 v[5:6], v[1:2], v[9:10], v[5:6]
	v_fma_f64 v[7:8], v[3:4], v[9:10], v[7:8]
	v_fma_f64 v[3:4], -v[3:4], v[11:12], v[5:6]
	v_fma_f64 v[5:6], v[1:2], v[11:12], v[7:8]
	global_store_dwordx4 v[13:14], v[3:6], off
.LBB540_39:
	s_endpgm
	.section	.rodata,"a",@progbits
	.p2align	6, 0x0
	.amdhsa_kernel _ZN9rocsparseL20bsrxmvn_17_32_kernelILj29E21rocsparse_complex_numIdEiiS1_IfES2_S2_EEvT2_20rocsparse_direction_NS_24const_host_device_scalarIT0_EES4_PKS4_PKT1_SD_SA_PKT3_PKT4_S8_PT5_21rocsparse_index_base_b
		.amdhsa_group_segment_fixed_size 13456
		.amdhsa_private_segment_fixed_size 0
		.amdhsa_kernarg_size 112
		.amdhsa_user_sgpr_count 6
		.amdhsa_user_sgpr_private_segment_buffer 1
		.amdhsa_user_sgpr_dispatch_ptr 0
		.amdhsa_user_sgpr_queue_ptr 0
		.amdhsa_user_sgpr_kernarg_segment_ptr 1
		.amdhsa_user_sgpr_dispatch_id 0
		.amdhsa_user_sgpr_flat_scratch_init 0
		.amdhsa_user_sgpr_private_segment_size 0
		.amdhsa_uses_dynamic_stack 0
		.amdhsa_system_sgpr_private_segment_wavefront_offset 0
		.amdhsa_system_sgpr_workgroup_id_x 1
		.amdhsa_system_sgpr_workgroup_id_y 0
		.amdhsa_system_sgpr_workgroup_id_z 0
		.amdhsa_system_sgpr_workgroup_info 0
		.amdhsa_system_vgpr_workitem_id 0
		.amdhsa_next_free_vgpr 33
		.amdhsa_next_free_sgpr 77
		.amdhsa_reserve_vcc 1
		.amdhsa_reserve_flat_scratch 0
		.amdhsa_float_round_mode_32 0
		.amdhsa_float_round_mode_16_64 0
		.amdhsa_float_denorm_mode_32 3
		.amdhsa_float_denorm_mode_16_64 3
		.amdhsa_dx10_clamp 1
		.amdhsa_ieee_mode 1
		.amdhsa_fp16_overflow 0
		.amdhsa_exception_fp_ieee_invalid_op 0
		.amdhsa_exception_fp_denorm_src 0
		.amdhsa_exception_fp_ieee_div_zero 0
		.amdhsa_exception_fp_ieee_overflow 0
		.amdhsa_exception_fp_ieee_underflow 0
		.amdhsa_exception_fp_ieee_inexact 0
		.amdhsa_exception_int_div_zero 0
	.end_amdhsa_kernel
	.section	.text._ZN9rocsparseL20bsrxmvn_17_32_kernelILj29E21rocsparse_complex_numIdEiiS1_IfES2_S2_EEvT2_20rocsparse_direction_NS_24const_host_device_scalarIT0_EES4_PKS4_PKT1_SD_SA_PKT3_PKT4_S8_PT5_21rocsparse_index_base_b,"axG",@progbits,_ZN9rocsparseL20bsrxmvn_17_32_kernelILj29E21rocsparse_complex_numIdEiiS1_IfES2_S2_EEvT2_20rocsparse_direction_NS_24const_host_device_scalarIT0_EES4_PKS4_PKT1_SD_SA_PKT3_PKT4_S8_PT5_21rocsparse_index_base_b,comdat
.Lfunc_end540:
	.size	_ZN9rocsparseL20bsrxmvn_17_32_kernelILj29E21rocsparse_complex_numIdEiiS1_IfES2_S2_EEvT2_20rocsparse_direction_NS_24const_host_device_scalarIT0_EES4_PKS4_PKT1_SD_SA_PKT3_PKT4_S8_PT5_21rocsparse_index_base_b, .Lfunc_end540-_ZN9rocsparseL20bsrxmvn_17_32_kernelILj29E21rocsparse_complex_numIdEiiS1_IfES2_S2_EEvT2_20rocsparse_direction_NS_24const_host_device_scalarIT0_EES4_PKS4_PKT1_SD_SA_PKT3_PKT4_S8_PT5_21rocsparse_index_base_b
                                        ; -- End function
	.set _ZN9rocsparseL20bsrxmvn_17_32_kernelILj29E21rocsparse_complex_numIdEiiS1_IfES2_S2_EEvT2_20rocsparse_direction_NS_24const_host_device_scalarIT0_EES4_PKS4_PKT1_SD_SA_PKT3_PKT4_S8_PT5_21rocsparse_index_base_b.num_vgpr, 26
	.set _ZN9rocsparseL20bsrxmvn_17_32_kernelILj29E21rocsparse_complex_numIdEiiS1_IfES2_S2_EEvT2_20rocsparse_direction_NS_24const_host_device_scalarIT0_EES4_PKS4_PKT1_SD_SA_PKT3_PKT4_S8_PT5_21rocsparse_index_base_b.num_agpr, 0
	.set _ZN9rocsparseL20bsrxmvn_17_32_kernelILj29E21rocsparse_complex_numIdEiiS1_IfES2_S2_EEvT2_20rocsparse_direction_NS_24const_host_device_scalarIT0_EES4_PKS4_PKT1_SD_SA_PKT3_PKT4_S8_PT5_21rocsparse_index_base_b.numbered_sgpr, 18
	.set _ZN9rocsparseL20bsrxmvn_17_32_kernelILj29E21rocsparse_complex_numIdEiiS1_IfES2_S2_EEvT2_20rocsparse_direction_NS_24const_host_device_scalarIT0_EES4_PKS4_PKT1_SD_SA_PKT3_PKT4_S8_PT5_21rocsparse_index_base_b.num_named_barrier, 0
	.set _ZN9rocsparseL20bsrxmvn_17_32_kernelILj29E21rocsparse_complex_numIdEiiS1_IfES2_S2_EEvT2_20rocsparse_direction_NS_24const_host_device_scalarIT0_EES4_PKS4_PKT1_SD_SA_PKT3_PKT4_S8_PT5_21rocsparse_index_base_b.private_seg_size, 0
	.set _ZN9rocsparseL20bsrxmvn_17_32_kernelILj29E21rocsparse_complex_numIdEiiS1_IfES2_S2_EEvT2_20rocsparse_direction_NS_24const_host_device_scalarIT0_EES4_PKS4_PKT1_SD_SA_PKT3_PKT4_S8_PT5_21rocsparse_index_base_b.uses_vcc, 1
	.set _ZN9rocsparseL20bsrxmvn_17_32_kernelILj29E21rocsparse_complex_numIdEiiS1_IfES2_S2_EEvT2_20rocsparse_direction_NS_24const_host_device_scalarIT0_EES4_PKS4_PKT1_SD_SA_PKT3_PKT4_S8_PT5_21rocsparse_index_base_b.uses_flat_scratch, 0
	.set _ZN9rocsparseL20bsrxmvn_17_32_kernelILj29E21rocsparse_complex_numIdEiiS1_IfES2_S2_EEvT2_20rocsparse_direction_NS_24const_host_device_scalarIT0_EES4_PKS4_PKT1_SD_SA_PKT3_PKT4_S8_PT5_21rocsparse_index_base_b.has_dyn_sized_stack, 0
	.set _ZN9rocsparseL20bsrxmvn_17_32_kernelILj29E21rocsparse_complex_numIdEiiS1_IfES2_S2_EEvT2_20rocsparse_direction_NS_24const_host_device_scalarIT0_EES4_PKS4_PKT1_SD_SA_PKT3_PKT4_S8_PT5_21rocsparse_index_base_b.has_recursion, 0
	.set _ZN9rocsparseL20bsrxmvn_17_32_kernelILj29E21rocsparse_complex_numIdEiiS1_IfES2_S2_EEvT2_20rocsparse_direction_NS_24const_host_device_scalarIT0_EES4_PKS4_PKT1_SD_SA_PKT3_PKT4_S8_PT5_21rocsparse_index_base_b.has_indirect_call, 0
	.section	.AMDGPU.csdata,"",@progbits
; Kernel info:
; codeLenInByte = 1656
; TotalNumSgprs: 22
; NumVgprs: 26
; ScratchSize: 0
; MemoryBound: 0
; FloatMode: 240
; IeeeMode: 1
; LDSByteSize: 13456 bytes/workgroup (compile time only)
; SGPRBlocks: 10
; VGPRBlocks: 8
; NumSGPRsForWavesPerEU: 81
; NumVGPRsForWavesPerEU: 33
; Occupancy: 7
; WaveLimiterHint : 1
; COMPUTE_PGM_RSRC2:SCRATCH_EN: 0
; COMPUTE_PGM_RSRC2:USER_SGPR: 6
; COMPUTE_PGM_RSRC2:TRAP_HANDLER: 0
; COMPUTE_PGM_RSRC2:TGID_X_EN: 1
; COMPUTE_PGM_RSRC2:TGID_Y_EN: 0
; COMPUTE_PGM_RSRC2:TGID_Z_EN: 0
; COMPUTE_PGM_RSRC2:TIDIG_COMP_CNT: 0
	.section	.text._ZN9rocsparseL20bsrxmvn_17_32_kernelILj30E21rocsparse_complex_numIdEiiS1_IfES2_S2_EEvT2_20rocsparse_direction_NS_24const_host_device_scalarIT0_EES4_PKS4_PKT1_SD_SA_PKT3_PKT4_S8_PT5_21rocsparse_index_base_b,"axG",@progbits,_ZN9rocsparseL20bsrxmvn_17_32_kernelILj30E21rocsparse_complex_numIdEiiS1_IfES2_S2_EEvT2_20rocsparse_direction_NS_24const_host_device_scalarIT0_EES4_PKS4_PKT1_SD_SA_PKT3_PKT4_S8_PT5_21rocsparse_index_base_b,comdat
	.globl	_ZN9rocsparseL20bsrxmvn_17_32_kernelILj30E21rocsparse_complex_numIdEiiS1_IfES2_S2_EEvT2_20rocsparse_direction_NS_24const_host_device_scalarIT0_EES4_PKS4_PKT1_SD_SA_PKT3_PKT4_S8_PT5_21rocsparse_index_base_b ; -- Begin function _ZN9rocsparseL20bsrxmvn_17_32_kernelILj30E21rocsparse_complex_numIdEiiS1_IfES2_S2_EEvT2_20rocsparse_direction_NS_24const_host_device_scalarIT0_EES4_PKS4_PKT1_SD_SA_PKT3_PKT4_S8_PT5_21rocsparse_index_base_b
	.p2align	8
	.type	_ZN9rocsparseL20bsrxmvn_17_32_kernelILj30E21rocsparse_complex_numIdEiiS1_IfES2_S2_EEvT2_20rocsparse_direction_NS_24const_host_device_scalarIT0_EES4_PKS4_PKT1_SD_SA_PKT3_PKT4_S8_PT5_21rocsparse_index_base_b,@function
_ZN9rocsparseL20bsrxmvn_17_32_kernelILj30E21rocsparse_complex_numIdEiiS1_IfES2_S2_EEvT2_20rocsparse_direction_NS_24const_host_device_scalarIT0_EES4_PKS4_PKT1_SD_SA_PKT3_PKT4_S8_PT5_21rocsparse_index_base_b: ; @_ZN9rocsparseL20bsrxmvn_17_32_kernelILj30E21rocsparse_complex_numIdEiiS1_IfES2_S2_EEvT2_20rocsparse_direction_NS_24const_host_device_scalarIT0_EES4_PKS4_PKT1_SD_SA_PKT3_PKT4_S8_PT5_21rocsparse_index_base_b
; %bb.0:
	s_load_dwordx2 s[0:1], s[4:5], 0x8
	s_load_dwordx2 s[14:15], s[4:5], 0x68
	s_add_u32 s7, s4, 8
	s_addc_u32 s8, s5, 0
	s_add_u32 s9, s4, 0x50
	s_addc_u32 s10, s5, 0
	s_waitcnt lgkmcnt(0)
	s_bitcmp1_b32 s15, 0
	s_cselect_b32 s1, s8, s1
	s_cselect_b32 s0, s7, s0
	v_mov_b32_e32 v1, s0
	v_mov_b32_e32 v2, s1
	flat_load_dwordx4 v[5:8], v[1:2]
	s_load_dwordx2 s[2:3], s[4:5], 0x50
	s_waitcnt lgkmcnt(0)
	s_cselect_b32 s0, s10, s3
	s_cselect_b32 s1, s9, s2
	v_mov_b32_e32 v1, s1
	v_mov_b32_e32 v2, s0
	flat_load_dwordx4 v[1:4], v[1:2]
	s_waitcnt vmcnt(0)
	v_cmp_eq_f64_e32 vcc, 0, v[5:6]
	v_cmp_eq_f64_e64 s[0:1], 0, v[7:8]
	s_and_b64 s[8:9], vcc, s[0:1]
	s_mov_b64 s[0:1], -1
	s_and_saveexec_b64 s[2:3], s[8:9]
	s_cbranch_execz .LBB541_2
; %bb.1:
	s_waitcnt lgkmcnt(0)
	v_cmp_neq_f64_e32 vcc, 1.0, v[1:2]
	v_cmp_neq_f64_e64 s[0:1], 0, v[3:4]
	s_or_b64 s[0:1], vcc, s[0:1]
	s_orn2_b64 s[0:1], s[0:1], exec
.LBB541_2:
	s_or_b64 exec, exec, s[2:3]
	s_and_saveexec_b64 s[2:3], s[0:1]
	s_cbranch_execz .LBB541_39
; %bb.3:
	s_load_dwordx4 s[0:3], s[4:5], 0x20
	s_load_dwordx2 s[8:9], s[4:5], 0x30
	s_waitcnt lgkmcnt(0)
	s_cmp_eq_u64 s[0:1], 0
	s_cbranch_scc1 .LBB541_5
; %bb.4:
	s_ashr_i32 s7, s6, 31
	s_lshl_b64 s[6:7], s[6:7], 2
	s_add_u32 s0, s0, s6
	s_addc_u32 s1, s1, s7
	s_load_dword s0, s[0:1], 0x0
	s_waitcnt lgkmcnt(0)
	s_sub_i32 s6, s0, s14
.LBB541_5:
	s_load_dword s0, s[4:5], 0x4
	s_load_dwordx2 s[12:13], s[4:5], 0x60
	v_mul_u32_u24_e32 v13, 0x889, v0
	v_mov_b32_e32 v9, 30
	v_mul_lo_u16_sdwa v14, v13, v9 dst_sel:DWORD dst_unused:UNUSED_PAD src0_sel:WORD_1 src1_sel:DWORD
	s_waitcnt lgkmcnt(0)
	s_cmp_eq_u32 s0, 1
	s_cselect_b64 vcc, -1, 0
	s_cmp_lg_u32 s0, 1
	s_cselect_b64 s[16:17], -1, 0
	s_ashr_i32 s7, s6, 31
	s_lshl_b64 s[0:1], s[6:7], 2
	s_add_u32 s2, s2, s0
	s_addc_u32 s3, s3, s1
	s_load_dword s7, s[2:3], 0x0
	s_add_u32 s2, s2, 4
	s_addc_u32 s3, s3, 0
	s_add_u32 s0, s8, s0
	s_addc_u32 s1, s9, s1
	s_cmp_eq_u64 s[8:9], 0
	s_cselect_b32 s1, s3, s1
	s_cselect_b32 s0, s2, s0
	s_load_dword s0, s[0:1], 0x0
	v_mov_b32_e32 v11, 0
	v_mov_b32_e32 v9, 0
	v_mov_b32_e32 v12, 0
	v_mov_b32_e32 v10, 0
	s_waitcnt lgkmcnt(0)
	s_cmp_ge_i32 s7, s0
	v_sub_u16_e32 v18, v0, v14
	s_cbranch_scc1 .LBB541_10
; %bb.6:
	s_load_dwordx2 s[2:3], s[4:5], 0x48
	s_load_dwordx4 s[8:11], s[4:5], 0x38
	s_sub_i32 s4, s0, s14
	s_mov_b32 s0, 0xffff
	s_movk_i32 s1, 0x384
	v_and_b32_sdwa v9, s0, v13 dst_sel:DWORD dst_unused:UNUSED_PAD src0_sel:DWORD src1_sel:WORD_1
	v_subrev_u32_e32 v10, 30, v9
	v_cmp_gt_u32_e64 s[0:1], s1, v0
	s_sub_i32 s5, s7, s14
	v_cndmask_b32_e64 v9, v10, v9, s[0:1]
	s_mul_i32 s1, s5, 0x1c20
	s_mul_hi_i32 s0, s5, 0x1c20
	s_waitcnt lgkmcnt(0)
	s_add_u32 s1, s10, s1
	v_cndmask_b32_e32 v13, v18, v9, vcc
	s_addc_u32 s0, s11, s0
	v_lshlrev_b32_e32 v9, 3, v0
	v_mov_b32_e32 v10, s0
	v_add_co_u32_e32 v14, vcc, s1, v9
	v_addc_co_u32_e32 v15, vcc, 0, v10, vcc
	s_movk_i32 s0, 0x383
	v_mov_b32_e32 v11, 0
	v_mov_b32_e32 v12, 0
	v_cmp_lt_u32_e32 vcc, s0, v0
	v_mov_b32_e32 v9, v11
	v_cndmask_b32_e64 v19, 0, 1, vcc
	v_mov_b32_e32 v10, v12
	s_branch .LBB541_8
.LBB541_7:                              ;   in Loop: Header=BB541_8 Depth=1
	s_or_b64 exec, exec, s[0:1]
	s_add_i32 s5, s5, 1
	s_cmp_lt_i32 s5, s4
	s_cbranch_scc0 .LBB541_10
.LBB541_8:                              ; =>This Inner Loop Header: Depth=1
	v_add_u32_e32 v16, s5, v19
	v_cmp_gt_i32_e32 vcc, s4, v16
	s_and_saveexec_b64 s[0:1], vcc
	s_cbranch_execz .LBB541_7
; %bb.9:                                ;   in Loop: Header=BB541_8 Depth=1
	v_ashrrev_i32_e32 v17, 31, v16
	v_lshlrev_b64 v[16:17], 2, v[16:17]
	v_mov_b32_e32 v20, s9
	v_add_co_u32_e32 v16, vcc, s8, v16
	v_addc_co_u32_e32 v17, vcc, v20, v17, vcc
	global_load_dword v16, v[16:17], off
	v_mov_b32_e32 v20, s3
	global_load_dwordx2 v[24:25], v[14:15], off
	s_waitcnt vmcnt(1)
	v_subrev_u32_e32 v16, s14, v16
	v_mad_u64_u32 v[16:17], s[10:11], v16, 30, v[13:14]
	v_ashrrev_i32_e32 v17, 31, v16
	v_lshlrev_b64 v[16:17], 4, v[16:17]
	v_add_co_u32_e32 v16, vcc, s2, v16
	v_addc_co_u32_e32 v17, vcc, v20, v17, vcc
	global_load_dwordx4 v[20:23], v[16:17], off
	s_waitcnt vmcnt(1)
	v_cvt_f64_f32_e32 v[16:17], v24
	v_cvt_f64_f32_e32 v[24:25], v25
	v_add_co_u32_e32 v14, vcc, 0x1c20, v14
	v_addc_co_u32_e32 v15, vcc, 0, v15, vcc
	s_waitcnt vmcnt(0)
	v_fma_f64 v[9:10], v[16:17], v[20:21], v[9:10]
	v_fma_f64 v[11:12], v[24:25], v[20:21], v[11:12]
	v_fma_f64 v[9:10], -v[24:25], v[22:23], v[9:10]
	v_fma_f64 v[11:12], v[16:17], v[22:23], v[11:12]
	s_branch .LBB541_7
.LBB541_10:
	v_lshlrev_b32_e32 v17, 4, v0
	s_and_b64 vcc, exec, s[16:17]
	ds_write_b128 v17, v[9:12]
	s_waitcnt lgkmcnt(0)
	s_barrier
	s_cbranch_vccz .LBB541_22
; %bb.11:
	v_cmp_gt_u16_e32 vcc, 14, v18
	s_and_saveexec_b64 s[0:1], vcc
	s_cbranch_execz .LBB541_13
; %bb.12:
	ds_read_b128 v[13:16], v17 offset:256
	ds_read_b128 v[19:22], v17
	s_waitcnt lgkmcnt(0)
	v_add_f64 v[13:14], v[13:14], v[19:20]
	v_add_f64 v[15:16], v[15:16], v[21:22]
	ds_write_b128 v17, v[13:16]
.LBB541_13:
	s_or_b64 exec, exec, s[0:1]
	v_cmp_gt_u16_e32 vcc, 8, v18
	s_waitcnt lgkmcnt(0)
	s_barrier
	s_and_saveexec_b64 s[0:1], vcc
	s_cbranch_execz .LBB541_15
; %bb.14:
	ds_read_b128 v[13:16], v17 offset:128
	ds_read_b128 v[19:22], v17
	s_waitcnt lgkmcnt(0)
	v_add_f64 v[13:14], v[13:14], v[19:20]
	v_add_f64 v[15:16], v[15:16], v[21:22]
	ds_write_b128 v17, v[13:16]
.LBB541_15:
	s_or_b64 exec, exec, s[0:1]
	v_cmp_gt_u16_e32 vcc, 4, v18
	s_waitcnt lgkmcnt(0)
	s_barrier
	;; [unrolled: 14-line block ×3, first 2 shown]
	s_and_saveexec_b64 s[0:1], vcc
	s_cbranch_execz .LBB541_19
; %bb.18:
	ds_read_b128 v[13:16], v17
	ds_read_b128 v[18:21], v17 offset:32
	s_waitcnt lgkmcnt(0)
	v_add_f64 v[13:14], v[18:19], v[13:14]
	v_add_f64 v[15:16], v[20:21], v[15:16]
	ds_write_b128 v17, v[13:16]
.LBB541_19:
	s_or_b64 exec, exec, s[0:1]
	v_mov_b32_e32 v16, v12
	v_mov_b32_e32 v14, v10
	v_cmp_gt_u32_e32 vcc, 30, v0
	v_mov_b32_e32 v15, v11
	v_mov_b32_e32 v13, v9
	s_waitcnt lgkmcnt(0)
	s_barrier
	s_and_saveexec_b64 s[0:1], vcc
	s_cbranch_execz .LBB541_21
; %bb.20:
	s_movk_i32 s2, 0x1d0
	v_mad_u32_u24 v18, v0, s2, v17
	ds_read_b128 v[13:16], v18
	ds_read_b128 v[18:21], v18 offset:16
	s_waitcnt lgkmcnt(0)
	v_add_f64 v[13:14], v[18:19], v[13:14]
	v_add_f64 v[15:16], v[20:21], v[15:16]
.LBB541_21:
	s_or_b64 exec, exec, s[0:1]
	s_branch .LBB541_34
.LBB541_22:
                                        ; implicit-def: $vgpr15_vgpr16
                                        ; implicit-def: $vgpr13_vgpr14
	s_cbranch_execz .LBB541_34
; %bb.23:
	s_movk_i32 s0, 0x1a4
	v_cmp_gt_u32_e32 vcc, s0, v0
	s_and_saveexec_b64 s[0:1], vcc
	s_cbranch_execz .LBB541_25
; %bb.24:
	ds_read_b128 v[13:16], v17 offset:7680
	ds_read_b128 v[18:21], v17
	s_waitcnt lgkmcnt(0)
	v_add_f64 v[13:14], v[13:14], v[18:19]
	v_add_f64 v[15:16], v[15:16], v[20:21]
	ds_write_b128 v17, v[13:16]
.LBB541_25:
	s_or_b64 exec, exec, s[0:1]
	s_movk_i32 s0, 0xf0
	v_cmp_gt_u32_e32 vcc, s0, v0
	s_waitcnt lgkmcnt(0)
	s_barrier
	s_and_saveexec_b64 s[0:1], vcc
	s_cbranch_execz .LBB541_27
; %bb.26:
	ds_read_b128 v[13:16], v17 offset:3840
	ds_read_b128 v[18:21], v17
	s_waitcnt lgkmcnt(0)
	v_add_f64 v[13:14], v[13:14], v[18:19]
	v_add_f64 v[15:16], v[15:16], v[20:21]
	ds_write_b128 v17, v[13:16]
.LBB541_27:
	s_or_b64 exec, exec, s[0:1]
	s_movk_i32 s0, 0x78
	v_cmp_gt_u32_e32 vcc, s0, v0
	s_waitcnt lgkmcnt(0)
	s_barrier
	s_and_saveexec_b64 s[0:1], vcc
	s_cbranch_execz .LBB541_29
; %bb.28:
	ds_read_b128 v[13:16], v17 offset:1920
	ds_read_b128 v[18:21], v17
	s_waitcnt lgkmcnt(0)
	v_add_f64 v[13:14], v[13:14], v[18:19]
	v_add_f64 v[15:16], v[15:16], v[20:21]
	ds_write_b128 v17, v[13:16]
.LBB541_29:
	s_or_b64 exec, exec, s[0:1]
	v_cmp_gt_u32_e32 vcc, 60, v0
	s_waitcnt lgkmcnt(0)
	s_barrier
	s_and_saveexec_b64 s[0:1], vcc
	s_cbranch_execz .LBB541_31
; %bb.30:
	ds_read_b128 v[13:16], v17 offset:960
	ds_read_b128 v[18:21], v17
	s_waitcnt lgkmcnt(0)
	v_add_f64 v[13:14], v[13:14], v[18:19]
	v_add_f64 v[15:16], v[15:16], v[20:21]
	ds_write_b128 v17, v[13:16]
.LBB541_31:
	s_or_b64 exec, exec, s[0:1]
	v_cmp_gt_u32_e32 vcc, 30, v0
	s_waitcnt lgkmcnt(0)
	s_and_saveexec_b64 s[0:1], vcc
	s_cbranch_execz .LBB541_33
; %bb.32:
	ds_read_b128 v[9:12], v17 offset:480
	ds_read_b128 v[13:16], v17
	s_waitcnt lgkmcnt(0)
	v_add_f64 v[9:10], v[9:10], v[13:14]
	v_add_f64 v[11:12], v[11:12], v[15:16]
.LBB541_33:
	s_or_b64 exec, exec, s[0:1]
	v_mov_b32_e32 v16, v12
	v_mov_b32_e32 v14, v10
	;; [unrolled: 1-line block ×4, first 2 shown]
.LBB541_34:
	v_cmp_gt_u32_e32 vcc, 30, v0
	s_and_b64 exec, exec, vcc
	s_cbranch_execz .LBB541_39
; %bb.35:
	v_mul_f64 v[9:10], v[15:16], -v[7:8]
	v_mul_f64 v[11:12], v[5:6], v[15:16]
	v_cmp_eq_f64_e32 vcc, 0, v[1:2]
	v_cmp_eq_f64_e64 s[0:1], 0, v[3:4]
	v_fma_f64 v[5:6], v[5:6], v[13:14], v[9:10]
	v_fma_f64 v[7:8], v[7:8], v[13:14], v[11:12]
	s_and_b64 s[0:1], vcc, s[0:1]
	s_and_saveexec_b64 s[2:3], s[0:1]
	s_xor_b64 s[0:1], exec, s[2:3]
	s_cbranch_execz .LBB541_37
; %bb.36:
	v_mad_u64_u32 v[0:1], s[2:3], s6, 30, v[0:1]
	v_mov_b32_e32 v1, 0
	v_mov_b32_e32 v2, s13
	v_lshlrev_b64 v[0:1], 4, v[0:1]
	v_add_co_u32_e32 v0, vcc, s12, v0
	v_addc_co_u32_e32 v1, vcc, v2, v1, vcc
	global_store_dwordx4 v[0:1], v[5:8], off
                                        ; implicit-def: $vgpr0
                                        ; implicit-def: $vgpr1_vgpr2
                                        ; implicit-def: $vgpr5_vgpr6
.LBB541_37:
	s_andn2_saveexec_b64 s[0:1], s[0:1]
	s_cbranch_execz .LBB541_39
; %bb.38:
	v_mad_u64_u32 v[9:10], s[0:1], s6, 30, v[0:1]
	v_mov_b32_e32 v10, 0
	v_mov_b32_e32 v0, s13
	v_lshlrev_b64 v[9:10], 4, v[9:10]
	v_add_co_u32_e32 v13, vcc, s12, v9
	v_addc_co_u32_e32 v14, vcc, v0, v10, vcc
	global_load_dwordx4 v[9:12], v[13:14], off
	s_waitcnt vmcnt(0)
	v_fma_f64 v[5:6], v[1:2], v[9:10], v[5:6]
	v_fma_f64 v[7:8], v[3:4], v[9:10], v[7:8]
	v_fma_f64 v[3:4], -v[3:4], v[11:12], v[5:6]
	v_fma_f64 v[5:6], v[1:2], v[11:12], v[7:8]
	global_store_dwordx4 v[13:14], v[3:6], off
.LBB541_39:
	s_endpgm
	.section	.rodata,"a",@progbits
	.p2align	6, 0x0
	.amdhsa_kernel _ZN9rocsparseL20bsrxmvn_17_32_kernelILj30E21rocsparse_complex_numIdEiiS1_IfES2_S2_EEvT2_20rocsparse_direction_NS_24const_host_device_scalarIT0_EES4_PKS4_PKT1_SD_SA_PKT3_PKT4_S8_PT5_21rocsparse_index_base_b
		.amdhsa_group_segment_fixed_size 14400
		.amdhsa_private_segment_fixed_size 0
		.amdhsa_kernarg_size 112
		.amdhsa_user_sgpr_count 6
		.amdhsa_user_sgpr_private_segment_buffer 1
		.amdhsa_user_sgpr_dispatch_ptr 0
		.amdhsa_user_sgpr_queue_ptr 0
		.amdhsa_user_sgpr_kernarg_segment_ptr 1
		.amdhsa_user_sgpr_dispatch_id 0
		.amdhsa_user_sgpr_flat_scratch_init 0
		.amdhsa_user_sgpr_private_segment_size 0
		.amdhsa_uses_dynamic_stack 0
		.amdhsa_system_sgpr_private_segment_wavefront_offset 0
		.amdhsa_system_sgpr_workgroup_id_x 1
		.amdhsa_system_sgpr_workgroup_id_y 0
		.amdhsa_system_sgpr_workgroup_id_z 0
		.amdhsa_system_sgpr_workgroup_info 0
		.amdhsa_system_vgpr_workitem_id 0
		.amdhsa_next_free_vgpr 29
		.amdhsa_next_free_sgpr 61
		.amdhsa_reserve_vcc 1
		.amdhsa_reserve_flat_scratch 0
		.amdhsa_float_round_mode_32 0
		.amdhsa_float_round_mode_16_64 0
		.amdhsa_float_denorm_mode_32 3
		.amdhsa_float_denorm_mode_16_64 3
		.amdhsa_dx10_clamp 1
		.amdhsa_ieee_mode 1
		.amdhsa_fp16_overflow 0
		.amdhsa_exception_fp_ieee_invalid_op 0
		.amdhsa_exception_fp_denorm_src 0
		.amdhsa_exception_fp_ieee_div_zero 0
		.amdhsa_exception_fp_ieee_overflow 0
		.amdhsa_exception_fp_ieee_underflow 0
		.amdhsa_exception_fp_ieee_inexact 0
		.amdhsa_exception_int_div_zero 0
	.end_amdhsa_kernel
	.section	.text._ZN9rocsparseL20bsrxmvn_17_32_kernelILj30E21rocsparse_complex_numIdEiiS1_IfES2_S2_EEvT2_20rocsparse_direction_NS_24const_host_device_scalarIT0_EES4_PKS4_PKT1_SD_SA_PKT3_PKT4_S8_PT5_21rocsparse_index_base_b,"axG",@progbits,_ZN9rocsparseL20bsrxmvn_17_32_kernelILj30E21rocsparse_complex_numIdEiiS1_IfES2_S2_EEvT2_20rocsparse_direction_NS_24const_host_device_scalarIT0_EES4_PKS4_PKT1_SD_SA_PKT3_PKT4_S8_PT5_21rocsparse_index_base_b,comdat
.Lfunc_end541:
	.size	_ZN9rocsparseL20bsrxmvn_17_32_kernelILj30E21rocsparse_complex_numIdEiiS1_IfES2_S2_EEvT2_20rocsparse_direction_NS_24const_host_device_scalarIT0_EES4_PKS4_PKT1_SD_SA_PKT3_PKT4_S8_PT5_21rocsparse_index_base_b, .Lfunc_end541-_ZN9rocsparseL20bsrxmvn_17_32_kernelILj30E21rocsparse_complex_numIdEiiS1_IfES2_S2_EEvT2_20rocsparse_direction_NS_24const_host_device_scalarIT0_EES4_PKS4_PKT1_SD_SA_PKT3_PKT4_S8_PT5_21rocsparse_index_base_b
                                        ; -- End function
	.set _ZN9rocsparseL20bsrxmvn_17_32_kernelILj30E21rocsparse_complex_numIdEiiS1_IfES2_S2_EEvT2_20rocsparse_direction_NS_24const_host_device_scalarIT0_EES4_PKS4_PKT1_SD_SA_PKT3_PKT4_S8_PT5_21rocsparse_index_base_b.num_vgpr, 26
	.set _ZN9rocsparseL20bsrxmvn_17_32_kernelILj30E21rocsparse_complex_numIdEiiS1_IfES2_S2_EEvT2_20rocsparse_direction_NS_24const_host_device_scalarIT0_EES4_PKS4_PKT1_SD_SA_PKT3_PKT4_S8_PT5_21rocsparse_index_base_b.num_agpr, 0
	.set _ZN9rocsparseL20bsrxmvn_17_32_kernelILj30E21rocsparse_complex_numIdEiiS1_IfES2_S2_EEvT2_20rocsparse_direction_NS_24const_host_device_scalarIT0_EES4_PKS4_PKT1_SD_SA_PKT3_PKT4_S8_PT5_21rocsparse_index_base_b.numbered_sgpr, 18
	.set _ZN9rocsparseL20bsrxmvn_17_32_kernelILj30E21rocsparse_complex_numIdEiiS1_IfES2_S2_EEvT2_20rocsparse_direction_NS_24const_host_device_scalarIT0_EES4_PKS4_PKT1_SD_SA_PKT3_PKT4_S8_PT5_21rocsparse_index_base_b.num_named_barrier, 0
	.set _ZN9rocsparseL20bsrxmvn_17_32_kernelILj30E21rocsparse_complex_numIdEiiS1_IfES2_S2_EEvT2_20rocsparse_direction_NS_24const_host_device_scalarIT0_EES4_PKS4_PKT1_SD_SA_PKT3_PKT4_S8_PT5_21rocsparse_index_base_b.private_seg_size, 0
	.set _ZN9rocsparseL20bsrxmvn_17_32_kernelILj30E21rocsparse_complex_numIdEiiS1_IfES2_S2_EEvT2_20rocsparse_direction_NS_24const_host_device_scalarIT0_EES4_PKS4_PKT1_SD_SA_PKT3_PKT4_S8_PT5_21rocsparse_index_base_b.uses_vcc, 1
	.set _ZN9rocsparseL20bsrxmvn_17_32_kernelILj30E21rocsparse_complex_numIdEiiS1_IfES2_S2_EEvT2_20rocsparse_direction_NS_24const_host_device_scalarIT0_EES4_PKS4_PKT1_SD_SA_PKT3_PKT4_S8_PT5_21rocsparse_index_base_b.uses_flat_scratch, 0
	.set _ZN9rocsparseL20bsrxmvn_17_32_kernelILj30E21rocsparse_complex_numIdEiiS1_IfES2_S2_EEvT2_20rocsparse_direction_NS_24const_host_device_scalarIT0_EES4_PKS4_PKT1_SD_SA_PKT3_PKT4_S8_PT5_21rocsparse_index_base_b.has_dyn_sized_stack, 0
	.set _ZN9rocsparseL20bsrxmvn_17_32_kernelILj30E21rocsparse_complex_numIdEiiS1_IfES2_S2_EEvT2_20rocsparse_direction_NS_24const_host_device_scalarIT0_EES4_PKS4_PKT1_SD_SA_PKT3_PKT4_S8_PT5_21rocsparse_index_base_b.has_recursion, 0
	.set _ZN9rocsparseL20bsrxmvn_17_32_kernelILj30E21rocsparse_complex_numIdEiiS1_IfES2_S2_EEvT2_20rocsparse_direction_NS_24const_host_device_scalarIT0_EES4_PKS4_PKT1_SD_SA_PKT3_PKT4_S8_PT5_21rocsparse_index_base_b.has_indirect_call, 0
	.section	.AMDGPU.csdata,"",@progbits
; Kernel info:
; codeLenInByte = 1656
; TotalNumSgprs: 22
; NumVgprs: 26
; ScratchSize: 0
; MemoryBound: 0
; FloatMode: 240
; IeeeMode: 1
; LDSByteSize: 14400 bytes/workgroup (compile time only)
; SGPRBlocks: 8
; VGPRBlocks: 7
; NumSGPRsForWavesPerEU: 65
; NumVGPRsForWavesPerEU: 29
; Occupancy: 8
; WaveLimiterHint : 1
; COMPUTE_PGM_RSRC2:SCRATCH_EN: 0
; COMPUTE_PGM_RSRC2:USER_SGPR: 6
; COMPUTE_PGM_RSRC2:TRAP_HANDLER: 0
; COMPUTE_PGM_RSRC2:TGID_X_EN: 1
; COMPUTE_PGM_RSRC2:TGID_Y_EN: 0
; COMPUTE_PGM_RSRC2:TGID_Z_EN: 0
; COMPUTE_PGM_RSRC2:TIDIG_COMP_CNT: 0
	.section	.text._ZN9rocsparseL20bsrxmvn_17_32_kernelILj31E21rocsparse_complex_numIdEiiS1_IfES2_S2_EEvT2_20rocsparse_direction_NS_24const_host_device_scalarIT0_EES4_PKS4_PKT1_SD_SA_PKT3_PKT4_S8_PT5_21rocsparse_index_base_b,"axG",@progbits,_ZN9rocsparseL20bsrxmvn_17_32_kernelILj31E21rocsparse_complex_numIdEiiS1_IfES2_S2_EEvT2_20rocsparse_direction_NS_24const_host_device_scalarIT0_EES4_PKS4_PKT1_SD_SA_PKT3_PKT4_S8_PT5_21rocsparse_index_base_b,comdat
	.globl	_ZN9rocsparseL20bsrxmvn_17_32_kernelILj31E21rocsparse_complex_numIdEiiS1_IfES2_S2_EEvT2_20rocsparse_direction_NS_24const_host_device_scalarIT0_EES4_PKS4_PKT1_SD_SA_PKT3_PKT4_S8_PT5_21rocsparse_index_base_b ; -- Begin function _ZN9rocsparseL20bsrxmvn_17_32_kernelILj31E21rocsparse_complex_numIdEiiS1_IfES2_S2_EEvT2_20rocsparse_direction_NS_24const_host_device_scalarIT0_EES4_PKS4_PKT1_SD_SA_PKT3_PKT4_S8_PT5_21rocsparse_index_base_b
	.p2align	8
	.type	_ZN9rocsparseL20bsrxmvn_17_32_kernelILj31E21rocsparse_complex_numIdEiiS1_IfES2_S2_EEvT2_20rocsparse_direction_NS_24const_host_device_scalarIT0_EES4_PKS4_PKT1_SD_SA_PKT3_PKT4_S8_PT5_21rocsparse_index_base_b,@function
_ZN9rocsparseL20bsrxmvn_17_32_kernelILj31E21rocsparse_complex_numIdEiiS1_IfES2_S2_EEvT2_20rocsparse_direction_NS_24const_host_device_scalarIT0_EES4_PKS4_PKT1_SD_SA_PKT3_PKT4_S8_PT5_21rocsparse_index_base_b: ; @_ZN9rocsparseL20bsrxmvn_17_32_kernelILj31E21rocsparse_complex_numIdEiiS1_IfES2_S2_EEvT2_20rocsparse_direction_NS_24const_host_device_scalarIT0_EES4_PKS4_PKT1_SD_SA_PKT3_PKT4_S8_PT5_21rocsparse_index_base_b
; %bb.0:
	s_load_dwordx2 s[0:1], s[4:5], 0x8
	s_load_dwordx2 s[14:15], s[4:5], 0x68
	s_add_u32 s7, s4, 8
	s_addc_u32 s8, s5, 0
	s_add_u32 s9, s4, 0x50
	s_addc_u32 s10, s5, 0
	s_waitcnt lgkmcnt(0)
	s_bitcmp1_b32 s15, 0
	s_cselect_b32 s1, s8, s1
	s_cselect_b32 s0, s7, s0
	v_mov_b32_e32 v1, s0
	v_mov_b32_e32 v2, s1
	flat_load_dwordx4 v[5:8], v[1:2]
	s_load_dwordx2 s[2:3], s[4:5], 0x50
	s_waitcnt lgkmcnt(0)
	s_cselect_b32 s0, s10, s3
	s_cselect_b32 s1, s9, s2
	v_mov_b32_e32 v1, s1
	v_mov_b32_e32 v2, s0
	flat_load_dwordx4 v[1:4], v[1:2]
	s_waitcnt vmcnt(0)
	v_cmp_eq_f64_e32 vcc, 0, v[5:6]
	v_cmp_eq_f64_e64 s[0:1], 0, v[7:8]
	s_and_b64 s[8:9], vcc, s[0:1]
	s_mov_b64 s[0:1], -1
	s_and_saveexec_b64 s[2:3], s[8:9]
	s_cbranch_execz .LBB542_2
; %bb.1:
	s_waitcnt lgkmcnt(0)
	v_cmp_neq_f64_e32 vcc, 1.0, v[1:2]
	v_cmp_neq_f64_e64 s[0:1], 0, v[3:4]
	s_or_b64 s[0:1], vcc, s[0:1]
	s_orn2_b64 s[0:1], s[0:1], exec
.LBB542_2:
	s_or_b64 exec, exec, s[2:3]
	s_and_saveexec_b64 s[2:3], s[0:1]
	s_cbranch_execz .LBB542_39
; %bb.3:
	s_load_dwordx4 s[0:3], s[4:5], 0x20
	s_load_dwordx2 s[8:9], s[4:5], 0x30
	s_waitcnt lgkmcnt(0)
	s_cmp_eq_u64 s[0:1], 0
	s_cbranch_scc1 .LBB542_5
; %bb.4:
	s_ashr_i32 s7, s6, 31
	s_lshl_b64 s[6:7], s[6:7], 2
	s_add_u32 s0, s0, s6
	s_addc_u32 s1, s1, s7
	s_load_dword s0, s[0:1], 0x0
	s_waitcnt lgkmcnt(0)
	s_sub_i32 s6, s0, s14
.LBB542_5:
	s_load_dword s0, s[4:5], 0x4
	s_load_dwordx2 s[12:13], s[4:5], 0x60
	v_mul_u32_u24_e32 v13, 0x843, v0
	v_mov_b32_e32 v9, 31
	v_mul_lo_u16_sdwa v14, v13, v9 dst_sel:DWORD dst_unused:UNUSED_PAD src0_sel:WORD_1 src1_sel:DWORD
	s_waitcnt lgkmcnt(0)
	s_cmp_eq_u32 s0, 1
	s_cselect_b64 vcc, -1, 0
	s_cmp_lg_u32 s0, 1
	s_cselect_b64 s[16:17], -1, 0
	s_ashr_i32 s7, s6, 31
	s_lshl_b64 s[0:1], s[6:7], 2
	s_add_u32 s2, s2, s0
	s_addc_u32 s3, s3, s1
	s_load_dword s7, s[2:3], 0x0
	s_add_u32 s2, s2, 4
	s_addc_u32 s3, s3, 0
	s_add_u32 s0, s8, s0
	s_addc_u32 s1, s9, s1
	s_cmp_eq_u64 s[8:9], 0
	s_cselect_b32 s1, s3, s1
	s_cselect_b32 s0, s2, s0
	s_load_dword s0, s[0:1], 0x0
	v_mov_b32_e32 v11, 0
	v_mov_b32_e32 v9, 0
	;; [unrolled: 1-line block ×4, first 2 shown]
	s_waitcnt lgkmcnt(0)
	s_cmp_ge_i32 s7, s0
	v_sub_u16_e32 v18, v0, v14
	s_cbranch_scc1 .LBB542_10
; %bb.6:
	s_load_dwordx2 s[2:3], s[4:5], 0x48
	s_load_dwordx4 s[8:11], s[4:5], 0x38
	s_sub_i32 s4, s0, s14
	s_mov_b32 s0, 0xffff
	s_movk_i32 s1, 0x3c1
	v_and_b32_sdwa v9, s0, v13 dst_sel:DWORD dst_unused:UNUSED_PAD src0_sel:DWORD src1_sel:WORD_1
	v_subrev_u32_e32 v10, 31, v9
	v_cmp_gt_u32_e64 s[0:1], s1, v0
	s_sub_i32 s5, s7, s14
	v_cndmask_b32_e64 v9, v10, v9, s[0:1]
	s_mul_i32 s1, s5, 0x1e08
	s_mul_hi_i32 s0, s5, 0x1e08
	s_waitcnt lgkmcnt(0)
	s_add_u32 s1, s10, s1
	v_cndmask_b32_e32 v13, v18, v9, vcc
	s_addc_u32 s0, s11, s0
	v_lshlrev_b32_e32 v9, 3, v0
	v_mov_b32_e32 v10, s0
	v_add_co_u32_e32 v14, vcc, s1, v9
	v_addc_co_u32_e32 v15, vcc, 0, v10, vcc
	s_movk_i32 s0, 0x3c0
	v_mov_b32_e32 v11, 0
	v_mov_b32_e32 v12, 0
	v_cmp_lt_u32_e32 vcc, s0, v0
	v_mov_b32_e32 v9, v11
	v_cndmask_b32_e64 v19, 0, 1, vcc
	v_mov_b32_e32 v10, v12
	s_branch .LBB542_8
.LBB542_7:                              ;   in Loop: Header=BB542_8 Depth=1
	s_or_b64 exec, exec, s[0:1]
	s_add_i32 s5, s5, 1
	s_cmp_lt_i32 s5, s4
	s_cbranch_scc0 .LBB542_10
.LBB542_8:                              ; =>This Inner Loop Header: Depth=1
	v_add_u32_e32 v16, s5, v19
	v_cmp_gt_i32_e32 vcc, s4, v16
	s_and_saveexec_b64 s[0:1], vcc
	s_cbranch_execz .LBB542_7
; %bb.9:                                ;   in Loop: Header=BB542_8 Depth=1
	v_ashrrev_i32_e32 v17, 31, v16
	v_lshlrev_b64 v[16:17], 2, v[16:17]
	v_mov_b32_e32 v20, s9
	v_add_co_u32_e32 v16, vcc, s8, v16
	v_addc_co_u32_e32 v17, vcc, v20, v17, vcc
	global_load_dword v16, v[16:17], off
	v_mov_b32_e32 v20, s3
	global_load_dwordx2 v[24:25], v[14:15], off
	s_waitcnt vmcnt(1)
	v_subrev_u32_e32 v16, s14, v16
	v_mad_u64_u32 v[16:17], s[10:11], v16, 31, v[13:14]
	v_ashrrev_i32_e32 v17, 31, v16
	v_lshlrev_b64 v[16:17], 4, v[16:17]
	v_add_co_u32_e32 v16, vcc, s2, v16
	v_addc_co_u32_e32 v17, vcc, v20, v17, vcc
	global_load_dwordx4 v[20:23], v[16:17], off
	s_waitcnt vmcnt(1)
	v_cvt_f64_f32_e32 v[16:17], v24
	v_cvt_f64_f32_e32 v[24:25], v25
	v_add_co_u32_e32 v14, vcc, 0x1e08, v14
	v_addc_co_u32_e32 v15, vcc, 0, v15, vcc
	s_waitcnt vmcnt(0)
	v_fma_f64 v[9:10], v[16:17], v[20:21], v[9:10]
	v_fma_f64 v[11:12], v[24:25], v[20:21], v[11:12]
	v_fma_f64 v[9:10], -v[24:25], v[22:23], v[9:10]
	v_fma_f64 v[11:12], v[16:17], v[22:23], v[11:12]
	s_branch .LBB542_7
.LBB542_10:
	v_lshlrev_b32_e32 v17, 4, v0
	s_and_b64 vcc, exec, s[16:17]
	ds_write_b128 v17, v[9:12]
	s_waitcnt lgkmcnt(0)
	s_barrier
	s_cbranch_vccz .LBB542_22
; %bb.11:
	v_cmp_gt_u16_e32 vcc, 15, v18
	s_and_saveexec_b64 s[0:1], vcc
	s_cbranch_execz .LBB542_13
; %bb.12:
	ds_read_b128 v[13:16], v17 offset:256
	ds_read_b128 v[19:22], v17
	s_waitcnt lgkmcnt(0)
	v_add_f64 v[13:14], v[13:14], v[19:20]
	v_add_f64 v[15:16], v[15:16], v[21:22]
	ds_write_b128 v17, v[13:16]
.LBB542_13:
	s_or_b64 exec, exec, s[0:1]
	v_cmp_gt_u16_e32 vcc, 8, v18
	s_waitcnt lgkmcnt(0)
	s_barrier
	s_and_saveexec_b64 s[0:1], vcc
	s_cbranch_execz .LBB542_15
; %bb.14:
	ds_read_b128 v[13:16], v17 offset:128
	ds_read_b128 v[19:22], v17
	s_waitcnt lgkmcnt(0)
	v_add_f64 v[13:14], v[13:14], v[19:20]
	v_add_f64 v[15:16], v[15:16], v[21:22]
	ds_write_b128 v17, v[13:16]
.LBB542_15:
	s_or_b64 exec, exec, s[0:1]
	v_cmp_gt_u16_e32 vcc, 4, v18
	s_waitcnt lgkmcnt(0)
	s_barrier
	s_and_saveexec_b64 s[0:1], vcc
	s_cbranch_execz .LBB542_17
; %bb.16:
	ds_read_b128 v[13:16], v17 offset:64
	ds_read_b128 v[19:22], v17
	s_waitcnt lgkmcnt(0)
	v_add_f64 v[13:14], v[13:14], v[19:20]
	v_add_f64 v[15:16], v[15:16], v[21:22]
	ds_write_b128 v17, v[13:16]
.LBB542_17:
	s_or_b64 exec, exec, s[0:1]
	v_cmp_gt_u16_e32 vcc, 2, v18
	s_waitcnt lgkmcnt(0)
	s_barrier
	s_and_saveexec_b64 s[0:1], vcc
	s_cbranch_execz .LBB542_19
; %bb.18:
	ds_read_b128 v[13:16], v17
	ds_read_b128 v[18:21], v17 offset:32
	s_waitcnt lgkmcnt(0)
	v_add_f64 v[13:14], v[18:19], v[13:14]
	v_add_f64 v[15:16], v[20:21], v[15:16]
	ds_write_b128 v17, v[13:16]
.LBB542_19:
	s_or_b64 exec, exec, s[0:1]
	v_mov_b32_e32 v16, v12
	v_mov_b32_e32 v14, v10
	v_cmp_gt_u32_e32 vcc, 31, v0
	v_mov_b32_e32 v15, v11
	v_mov_b32_e32 v13, v9
	s_waitcnt lgkmcnt(0)
	s_barrier
	s_and_saveexec_b64 s[0:1], vcc
	s_cbranch_execz .LBB542_21
; %bb.20:
	s_movk_i32 s2, 0x1e0
	v_mad_u32_u24 v18, v0, s2, v17
	ds_read_b128 v[13:16], v18
	ds_read_b128 v[18:21], v18 offset:16
	s_waitcnt lgkmcnt(0)
	v_add_f64 v[13:14], v[18:19], v[13:14]
	v_add_f64 v[15:16], v[20:21], v[15:16]
.LBB542_21:
	s_or_b64 exec, exec, s[0:1]
	s_branch .LBB542_34
.LBB542_22:
                                        ; implicit-def: $vgpr15_vgpr16
                                        ; implicit-def: $vgpr13_vgpr14
	s_cbranch_execz .LBB542_34
; %bb.23:
	s_movk_i32 s0, 0x1d1
	v_cmp_gt_u32_e32 vcc, s0, v0
	s_and_saveexec_b64 s[0:1], vcc
	s_cbranch_execz .LBB542_25
; %bb.24:
	ds_read_b128 v[13:16], v17 offset:7936
	ds_read_b128 v[18:21], v17
	s_waitcnt lgkmcnt(0)
	v_add_f64 v[13:14], v[13:14], v[18:19]
	v_add_f64 v[15:16], v[15:16], v[20:21]
	ds_write_b128 v17, v[13:16]
.LBB542_25:
	s_or_b64 exec, exec, s[0:1]
	s_movk_i32 s0, 0xf8
	v_cmp_gt_u32_e32 vcc, s0, v0
	s_waitcnt lgkmcnt(0)
	s_barrier
	s_and_saveexec_b64 s[0:1], vcc
	s_cbranch_execz .LBB542_27
; %bb.26:
	ds_read_b128 v[13:16], v17 offset:3968
	ds_read_b128 v[18:21], v17
	s_waitcnt lgkmcnt(0)
	v_add_f64 v[13:14], v[13:14], v[18:19]
	v_add_f64 v[15:16], v[15:16], v[20:21]
	ds_write_b128 v17, v[13:16]
.LBB542_27:
	s_or_b64 exec, exec, s[0:1]
	s_movk_i32 s0, 0x7c
	v_cmp_gt_u32_e32 vcc, s0, v0
	s_waitcnt lgkmcnt(0)
	s_barrier
	s_and_saveexec_b64 s[0:1], vcc
	s_cbranch_execz .LBB542_29
; %bb.28:
	ds_read_b128 v[13:16], v17 offset:1984
	ds_read_b128 v[18:21], v17
	s_waitcnt lgkmcnt(0)
	v_add_f64 v[13:14], v[13:14], v[18:19]
	v_add_f64 v[15:16], v[15:16], v[20:21]
	ds_write_b128 v17, v[13:16]
.LBB542_29:
	s_or_b64 exec, exec, s[0:1]
	v_cmp_gt_u32_e32 vcc, 62, v0
	s_waitcnt lgkmcnt(0)
	s_barrier
	s_and_saveexec_b64 s[0:1], vcc
	s_cbranch_execz .LBB542_31
; %bb.30:
	ds_read_b128 v[13:16], v17 offset:992
	ds_read_b128 v[18:21], v17
	s_waitcnt lgkmcnt(0)
	v_add_f64 v[13:14], v[13:14], v[18:19]
	v_add_f64 v[15:16], v[15:16], v[20:21]
	ds_write_b128 v17, v[13:16]
.LBB542_31:
	s_or_b64 exec, exec, s[0:1]
	v_cmp_gt_u32_e32 vcc, 31, v0
	s_waitcnt lgkmcnt(0)
	s_and_saveexec_b64 s[0:1], vcc
	s_cbranch_execz .LBB542_33
; %bb.32:
	ds_read_b128 v[9:12], v17 offset:496
	ds_read_b128 v[13:16], v17
	s_waitcnt lgkmcnt(0)
	v_add_f64 v[9:10], v[9:10], v[13:14]
	v_add_f64 v[11:12], v[11:12], v[15:16]
.LBB542_33:
	s_or_b64 exec, exec, s[0:1]
	v_mov_b32_e32 v16, v12
	v_mov_b32_e32 v14, v10
	;; [unrolled: 1-line block ×4, first 2 shown]
.LBB542_34:
	v_cmp_gt_u32_e32 vcc, 31, v0
	s_and_b64 exec, exec, vcc
	s_cbranch_execz .LBB542_39
; %bb.35:
	v_mul_f64 v[9:10], v[15:16], -v[7:8]
	v_mul_f64 v[11:12], v[5:6], v[15:16]
	v_cmp_eq_f64_e32 vcc, 0, v[1:2]
	v_cmp_eq_f64_e64 s[0:1], 0, v[3:4]
	v_fma_f64 v[5:6], v[5:6], v[13:14], v[9:10]
	v_fma_f64 v[7:8], v[7:8], v[13:14], v[11:12]
	s_and_b64 s[0:1], vcc, s[0:1]
	s_and_saveexec_b64 s[2:3], s[0:1]
	s_xor_b64 s[0:1], exec, s[2:3]
	s_cbranch_execz .LBB542_37
; %bb.36:
	v_mad_u64_u32 v[0:1], s[2:3], s6, 31, v[0:1]
	v_mov_b32_e32 v1, 0
	v_mov_b32_e32 v2, s13
	v_lshlrev_b64 v[0:1], 4, v[0:1]
	v_add_co_u32_e32 v0, vcc, s12, v0
	v_addc_co_u32_e32 v1, vcc, v2, v1, vcc
	global_store_dwordx4 v[0:1], v[5:8], off
                                        ; implicit-def: $vgpr0
                                        ; implicit-def: $vgpr1_vgpr2
                                        ; implicit-def: $vgpr5_vgpr6
.LBB542_37:
	s_andn2_saveexec_b64 s[0:1], s[0:1]
	s_cbranch_execz .LBB542_39
; %bb.38:
	v_mad_u64_u32 v[9:10], s[0:1], s6, 31, v[0:1]
	v_mov_b32_e32 v10, 0
	v_mov_b32_e32 v0, s13
	v_lshlrev_b64 v[9:10], 4, v[9:10]
	v_add_co_u32_e32 v13, vcc, s12, v9
	v_addc_co_u32_e32 v14, vcc, v0, v10, vcc
	global_load_dwordx4 v[9:12], v[13:14], off
	s_waitcnt vmcnt(0)
	v_fma_f64 v[5:6], v[1:2], v[9:10], v[5:6]
	v_fma_f64 v[7:8], v[3:4], v[9:10], v[7:8]
	v_fma_f64 v[3:4], -v[3:4], v[11:12], v[5:6]
	v_fma_f64 v[5:6], v[1:2], v[11:12], v[7:8]
	global_store_dwordx4 v[13:14], v[3:6], off
.LBB542_39:
	s_endpgm
	.section	.rodata,"a",@progbits
	.p2align	6, 0x0
	.amdhsa_kernel _ZN9rocsparseL20bsrxmvn_17_32_kernelILj31E21rocsparse_complex_numIdEiiS1_IfES2_S2_EEvT2_20rocsparse_direction_NS_24const_host_device_scalarIT0_EES4_PKS4_PKT1_SD_SA_PKT3_PKT4_S8_PT5_21rocsparse_index_base_b
		.amdhsa_group_segment_fixed_size 15376
		.amdhsa_private_segment_fixed_size 0
		.amdhsa_kernarg_size 112
		.amdhsa_user_sgpr_count 6
		.amdhsa_user_sgpr_private_segment_buffer 1
		.amdhsa_user_sgpr_dispatch_ptr 0
		.amdhsa_user_sgpr_queue_ptr 0
		.amdhsa_user_sgpr_kernarg_segment_ptr 1
		.amdhsa_user_sgpr_dispatch_id 0
		.amdhsa_user_sgpr_flat_scratch_init 0
		.amdhsa_user_sgpr_private_segment_size 0
		.amdhsa_uses_dynamic_stack 0
		.amdhsa_system_sgpr_private_segment_wavefront_offset 0
		.amdhsa_system_sgpr_workgroup_id_x 1
		.amdhsa_system_sgpr_workgroup_id_y 0
		.amdhsa_system_sgpr_workgroup_id_z 0
		.amdhsa_system_sgpr_workgroup_info 0
		.amdhsa_system_vgpr_workitem_id 0
		.amdhsa_next_free_vgpr 29
		.amdhsa_next_free_sgpr 61
		.amdhsa_reserve_vcc 1
		.amdhsa_reserve_flat_scratch 0
		.amdhsa_float_round_mode_32 0
		.amdhsa_float_round_mode_16_64 0
		.amdhsa_float_denorm_mode_32 3
		.amdhsa_float_denorm_mode_16_64 3
		.amdhsa_dx10_clamp 1
		.amdhsa_ieee_mode 1
		.amdhsa_fp16_overflow 0
		.amdhsa_exception_fp_ieee_invalid_op 0
		.amdhsa_exception_fp_denorm_src 0
		.amdhsa_exception_fp_ieee_div_zero 0
		.amdhsa_exception_fp_ieee_overflow 0
		.amdhsa_exception_fp_ieee_underflow 0
		.amdhsa_exception_fp_ieee_inexact 0
		.amdhsa_exception_int_div_zero 0
	.end_amdhsa_kernel
	.section	.text._ZN9rocsparseL20bsrxmvn_17_32_kernelILj31E21rocsparse_complex_numIdEiiS1_IfES2_S2_EEvT2_20rocsparse_direction_NS_24const_host_device_scalarIT0_EES4_PKS4_PKT1_SD_SA_PKT3_PKT4_S8_PT5_21rocsparse_index_base_b,"axG",@progbits,_ZN9rocsparseL20bsrxmvn_17_32_kernelILj31E21rocsparse_complex_numIdEiiS1_IfES2_S2_EEvT2_20rocsparse_direction_NS_24const_host_device_scalarIT0_EES4_PKS4_PKT1_SD_SA_PKT3_PKT4_S8_PT5_21rocsparse_index_base_b,comdat
.Lfunc_end542:
	.size	_ZN9rocsparseL20bsrxmvn_17_32_kernelILj31E21rocsparse_complex_numIdEiiS1_IfES2_S2_EEvT2_20rocsparse_direction_NS_24const_host_device_scalarIT0_EES4_PKS4_PKT1_SD_SA_PKT3_PKT4_S8_PT5_21rocsparse_index_base_b, .Lfunc_end542-_ZN9rocsparseL20bsrxmvn_17_32_kernelILj31E21rocsparse_complex_numIdEiiS1_IfES2_S2_EEvT2_20rocsparse_direction_NS_24const_host_device_scalarIT0_EES4_PKS4_PKT1_SD_SA_PKT3_PKT4_S8_PT5_21rocsparse_index_base_b
                                        ; -- End function
	.set _ZN9rocsparseL20bsrxmvn_17_32_kernelILj31E21rocsparse_complex_numIdEiiS1_IfES2_S2_EEvT2_20rocsparse_direction_NS_24const_host_device_scalarIT0_EES4_PKS4_PKT1_SD_SA_PKT3_PKT4_S8_PT5_21rocsparse_index_base_b.num_vgpr, 26
	.set _ZN9rocsparseL20bsrxmvn_17_32_kernelILj31E21rocsparse_complex_numIdEiiS1_IfES2_S2_EEvT2_20rocsparse_direction_NS_24const_host_device_scalarIT0_EES4_PKS4_PKT1_SD_SA_PKT3_PKT4_S8_PT5_21rocsparse_index_base_b.num_agpr, 0
	.set _ZN9rocsparseL20bsrxmvn_17_32_kernelILj31E21rocsparse_complex_numIdEiiS1_IfES2_S2_EEvT2_20rocsparse_direction_NS_24const_host_device_scalarIT0_EES4_PKS4_PKT1_SD_SA_PKT3_PKT4_S8_PT5_21rocsparse_index_base_b.numbered_sgpr, 18
	.set _ZN9rocsparseL20bsrxmvn_17_32_kernelILj31E21rocsparse_complex_numIdEiiS1_IfES2_S2_EEvT2_20rocsparse_direction_NS_24const_host_device_scalarIT0_EES4_PKS4_PKT1_SD_SA_PKT3_PKT4_S8_PT5_21rocsparse_index_base_b.num_named_barrier, 0
	.set _ZN9rocsparseL20bsrxmvn_17_32_kernelILj31E21rocsparse_complex_numIdEiiS1_IfES2_S2_EEvT2_20rocsparse_direction_NS_24const_host_device_scalarIT0_EES4_PKS4_PKT1_SD_SA_PKT3_PKT4_S8_PT5_21rocsparse_index_base_b.private_seg_size, 0
	.set _ZN9rocsparseL20bsrxmvn_17_32_kernelILj31E21rocsparse_complex_numIdEiiS1_IfES2_S2_EEvT2_20rocsparse_direction_NS_24const_host_device_scalarIT0_EES4_PKS4_PKT1_SD_SA_PKT3_PKT4_S8_PT5_21rocsparse_index_base_b.uses_vcc, 1
	.set _ZN9rocsparseL20bsrxmvn_17_32_kernelILj31E21rocsparse_complex_numIdEiiS1_IfES2_S2_EEvT2_20rocsparse_direction_NS_24const_host_device_scalarIT0_EES4_PKS4_PKT1_SD_SA_PKT3_PKT4_S8_PT5_21rocsparse_index_base_b.uses_flat_scratch, 0
	.set _ZN9rocsparseL20bsrxmvn_17_32_kernelILj31E21rocsparse_complex_numIdEiiS1_IfES2_S2_EEvT2_20rocsparse_direction_NS_24const_host_device_scalarIT0_EES4_PKS4_PKT1_SD_SA_PKT3_PKT4_S8_PT5_21rocsparse_index_base_b.has_dyn_sized_stack, 0
	.set _ZN9rocsparseL20bsrxmvn_17_32_kernelILj31E21rocsparse_complex_numIdEiiS1_IfES2_S2_EEvT2_20rocsparse_direction_NS_24const_host_device_scalarIT0_EES4_PKS4_PKT1_SD_SA_PKT3_PKT4_S8_PT5_21rocsparse_index_base_b.has_recursion, 0
	.set _ZN9rocsparseL20bsrxmvn_17_32_kernelILj31E21rocsparse_complex_numIdEiiS1_IfES2_S2_EEvT2_20rocsparse_direction_NS_24const_host_device_scalarIT0_EES4_PKS4_PKT1_SD_SA_PKT3_PKT4_S8_PT5_21rocsparse_index_base_b.has_indirect_call, 0
	.section	.AMDGPU.csdata,"",@progbits
; Kernel info:
; codeLenInByte = 1656
; TotalNumSgprs: 22
; NumVgprs: 26
; ScratchSize: 0
; MemoryBound: 0
; FloatMode: 240
; IeeeMode: 1
; LDSByteSize: 15376 bytes/workgroup (compile time only)
; SGPRBlocks: 8
; VGPRBlocks: 7
; NumSGPRsForWavesPerEU: 65
; NumVGPRsForWavesPerEU: 29
; Occupancy: 8
; WaveLimiterHint : 1
; COMPUTE_PGM_RSRC2:SCRATCH_EN: 0
; COMPUTE_PGM_RSRC2:USER_SGPR: 6
; COMPUTE_PGM_RSRC2:TRAP_HANDLER: 0
; COMPUTE_PGM_RSRC2:TGID_X_EN: 1
; COMPUTE_PGM_RSRC2:TGID_Y_EN: 0
; COMPUTE_PGM_RSRC2:TGID_Z_EN: 0
; COMPUTE_PGM_RSRC2:TIDIG_COMP_CNT: 0
	.section	.text._ZN9rocsparseL20bsrxmvn_17_32_kernelILj32E21rocsparse_complex_numIdEiiS1_IfES2_S2_EEvT2_20rocsparse_direction_NS_24const_host_device_scalarIT0_EES4_PKS4_PKT1_SD_SA_PKT3_PKT4_S8_PT5_21rocsparse_index_base_b,"axG",@progbits,_ZN9rocsparseL20bsrxmvn_17_32_kernelILj32E21rocsparse_complex_numIdEiiS1_IfES2_S2_EEvT2_20rocsparse_direction_NS_24const_host_device_scalarIT0_EES4_PKS4_PKT1_SD_SA_PKT3_PKT4_S8_PT5_21rocsparse_index_base_b,comdat
	.globl	_ZN9rocsparseL20bsrxmvn_17_32_kernelILj32E21rocsparse_complex_numIdEiiS1_IfES2_S2_EEvT2_20rocsparse_direction_NS_24const_host_device_scalarIT0_EES4_PKS4_PKT1_SD_SA_PKT3_PKT4_S8_PT5_21rocsparse_index_base_b ; -- Begin function _ZN9rocsparseL20bsrxmvn_17_32_kernelILj32E21rocsparse_complex_numIdEiiS1_IfES2_S2_EEvT2_20rocsparse_direction_NS_24const_host_device_scalarIT0_EES4_PKS4_PKT1_SD_SA_PKT3_PKT4_S8_PT5_21rocsparse_index_base_b
	.p2align	8
	.type	_ZN9rocsparseL20bsrxmvn_17_32_kernelILj32E21rocsparse_complex_numIdEiiS1_IfES2_S2_EEvT2_20rocsparse_direction_NS_24const_host_device_scalarIT0_EES4_PKS4_PKT1_SD_SA_PKT3_PKT4_S8_PT5_21rocsparse_index_base_b,@function
_ZN9rocsparseL20bsrxmvn_17_32_kernelILj32E21rocsparse_complex_numIdEiiS1_IfES2_S2_EEvT2_20rocsparse_direction_NS_24const_host_device_scalarIT0_EES4_PKS4_PKT1_SD_SA_PKT3_PKT4_S8_PT5_21rocsparse_index_base_b: ; @_ZN9rocsparseL20bsrxmvn_17_32_kernelILj32E21rocsparse_complex_numIdEiiS1_IfES2_S2_EEvT2_20rocsparse_direction_NS_24const_host_device_scalarIT0_EES4_PKS4_PKT1_SD_SA_PKT3_PKT4_S8_PT5_21rocsparse_index_base_b
; %bb.0:
	s_load_dwordx2 s[0:1], s[4:5], 0x8
	s_load_dwordx2 s[8:9], s[4:5], 0x68
	s_add_u32 s7, s4, 8
	s_addc_u32 s10, s5, 0
	s_add_u32 s11, s4, 0x50
	s_addc_u32 s12, s5, 0
	s_waitcnt lgkmcnt(0)
	s_bitcmp1_b32 s9, 0
	s_cselect_b32 s1, s10, s1
	s_cselect_b32 s0, s7, s0
	v_mov_b32_e32 v1, s0
	v_mov_b32_e32 v2, s1
	flat_load_dwordx4 v[5:8], v[1:2]
	s_load_dwordx2 s[2:3], s[4:5], 0x50
	s_waitcnt lgkmcnt(0)
	s_cselect_b32 s0, s12, s3
	s_cselect_b32 s1, s11, s2
	v_mov_b32_e32 v1, s1
	v_mov_b32_e32 v2, s0
	flat_load_dwordx4 v[1:4], v[1:2]
	s_waitcnt vmcnt(0)
	v_cmp_eq_f64_e32 vcc, 0, v[5:6]
	v_cmp_eq_f64_e64 s[0:1], 0, v[7:8]
	s_and_b64 s[10:11], vcc, s[0:1]
	s_mov_b64 s[0:1], -1
	s_and_saveexec_b64 s[2:3], s[10:11]
	s_cbranch_execz .LBB543_2
; %bb.1:
	s_waitcnt lgkmcnt(0)
	v_cmp_neq_f64_e32 vcc, 1.0, v[1:2]
	v_cmp_neq_f64_e64 s[0:1], 0, v[3:4]
	s_or_b64 s[0:1], vcc, s[0:1]
	s_orn2_b64 s[0:1], s[0:1], exec
.LBB543_2:
	s_or_b64 exec, exec, s[2:3]
	s_and_saveexec_b64 s[2:3], s[0:1]
	s_cbranch_execz .LBB543_37
; %bb.3:
	s_load_dwordx4 s[0:3], s[4:5], 0x20
	s_load_dwordx2 s[10:11], s[4:5], 0x30
	s_waitcnt lgkmcnt(0)
	s_cmp_eq_u64 s[0:1], 0
	s_cbranch_scc1 .LBB543_5
; %bb.4:
	s_ashr_i32 s7, s6, 31
	s_lshl_b64 s[6:7], s[6:7], 2
	s_add_u32 s0, s0, s6
	s_addc_u32 s1, s1, s7
	s_load_dword s0, s[0:1], 0x0
	s_waitcnt lgkmcnt(0)
	s_sub_i32 s6, s0, s8
.LBB543_5:
	s_load_dword s0, s[4:5], 0x4
	v_mov_b32_e32 v11, 0
	v_mov_b32_e32 v9, 0
	;; [unrolled: 1-line block ×4, first 2 shown]
	s_waitcnt lgkmcnt(0)
	s_cmp_eq_u32 s0, 1
	s_cselect_b64 vcc, -1, 0
	s_cmp_lg_u32 s0, 1
	s_cselect_b64 s[0:1], -1, 0
	s_ashr_i32 s7, s6, 31
	s_lshl_b64 s[12:13], s[6:7], 2
	s_add_u32 s2, s2, s12
	s_addc_u32 s3, s3, s13
	s_load_dword s9, s[2:3], 0x0
	s_add_u32 s2, s2, 4
	s_addc_u32 s3, s3, 0
	s_add_u32 s7, s10, s12
	s_addc_u32 s12, s11, s13
	s_cmp_eq_u64 s[10:11], 0
	s_cselect_b32 s11, s3, s12
	s_cselect_b32 s10, s2, s7
	s_load_dword s7, s[10:11], 0x0
	s_load_dwordx2 s[2:3], s[4:5], 0x60
	v_and_b32_e32 v15, 31, v0
	s_waitcnt lgkmcnt(0)
	s_cmp_ge_i32 s9, s7
	s_cbranch_scc1 .LBB543_8
; %bb.6:
	s_load_dwordx2 s[10:11], s[4:5], 0x48
	s_load_dwordx4 s[12:15], s[4:5], 0x38
	s_sub_i32 s4, s9, s8
	s_ashr_i32 s5, s4, 31
	s_sub_i32 s7, s7, s8
	s_lshl_b64 s[16:17], s[4:5], 13
	v_lshrrev_b32_e32 v9, 5, v0
	s_waitcnt lgkmcnt(0)
	s_add_u32 s9, s14, s16
	v_cndmask_b32_e32 v16, v15, v9, vcc
	s_addc_u32 s14, s15, s17
	v_lshlrev_b32_e32 v9, 3, v0
	v_mov_b32_e32 v10, s14
	v_add_co_u32_e32 v13, vcc, s9, v9
	s_lshl_b64 s[14:15], s[4:5], 2
	v_mov_b32_e32 v11, 0
	v_addc_co_u32_e32 v14, vcc, 0, v10, vcc
	s_add_u32 s12, s12, s14
	v_mov_b32_e32 v12, 0
	v_mov_b32_e32 v9, v11
	s_addc_u32 s13, s13, s15
	v_mov_b32_e32 v17, s11
	v_mov_b32_e32 v10, v12
.LBB543_7:                              ; =>This Inner Loop Header: Depth=1
	s_load_dword s5, s[12:13], 0x0
	global_load_dwordx2 v[22:23], v[13:14], off
	s_add_i32 s4, s4, 1
	s_waitcnt lgkmcnt(0)
	s_sub_i32 s5, s5, s8
	v_lshl_or_b32 v18, s5, 5, v16
	v_ashrrev_i32_e32 v19, 31, v18
	v_lshlrev_b64 v[18:19], 4, v[18:19]
	s_add_u32 s12, s12, 4
	v_add_co_u32_e32 v18, vcc, s10, v18
	v_addc_co_u32_e32 v19, vcc, v17, v19, vcc
	global_load_dwordx4 v[18:21], v[18:19], off
	v_add_co_u32_e32 v13, vcc, 0x2000, v13
	s_addc_u32 s13, s13, 0
	s_cmp_lt_i32 s4, s7
	v_addc_co_u32_e32 v14, vcc, 0, v14, vcc
	s_waitcnt vmcnt(1)
	v_cvt_f64_f32_e32 v[24:25], v22
	v_cvt_f64_f32_e32 v[22:23], v23
	s_waitcnt vmcnt(0)
	v_fma_f64 v[9:10], v[24:25], v[18:19], v[9:10]
	v_fma_f64 v[11:12], v[22:23], v[18:19], v[11:12]
	v_fma_f64 v[9:10], -v[22:23], v[20:21], v[9:10]
	v_fma_f64 v[11:12], v[24:25], v[20:21], v[11:12]
	s_cbranch_scc1 .LBB543_7
.LBB543_8:
	v_lshlrev_b32_e32 v17, 4, v0
	s_and_b64 vcc, exec, s[0:1]
	ds_write_b128 v17, v[9:12]
	s_waitcnt lgkmcnt(0)
	s_barrier
	s_cbranch_vccz .LBB543_20
; %bb.9:
	v_cmp_gt_u32_e32 vcc, 16, v15
	s_and_saveexec_b64 s[0:1], vcc
	s_cbranch_execz .LBB543_11
; %bb.10:
	ds_read_b128 v[18:21], v17 offset:256
	ds_read_b128 v[22:25], v17
	s_waitcnt lgkmcnt(0)
	v_add_f64 v[18:19], v[18:19], v[22:23]
	v_add_f64 v[20:21], v[20:21], v[24:25]
	ds_write_b128 v17, v[18:21]
.LBB543_11:
	s_or_b64 exec, exec, s[0:1]
	v_cmp_gt_u32_e32 vcc, 8, v15
	s_waitcnt lgkmcnt(0)
	s_barrier
	s_and_saveexec_b64 s[0:1], vcc
	s_cbranch_execz .LBB543_13
; %bb.12:
	ds_read_b128 v[18:21], v17 offset:128
	ds_read_b128 v[22:25], v17
	s_waitcnt lgkmcnt(0)
	v_add_f64 v[18:19], v[18:19], v[22:23]
	v_add_f64 v[20:21], v[20:21], v[24:25]
	ds_write_b128 v17, v[18:21]
.LBB543_13:
	s_or_b64 exec, exec, s[0:1]
	v_cmp_gt_u32_e32 vcc, 4, v15
	s_waitcnt lgkmcnt(0)
	s_barrier
	;; [unrolled: 14-line block ×3, first 2 shown]
	s_and_saveexec_b64 s[0:1], vcc
	s_cbranch_execz .LBB543_17
; %bb.16:
	ds_read_b128 v[13:16], v17
	ds_read_b128 v[18:21], v17 offset:32
	s_waitcnt lgkmcnt(0)
	v_add_f64 v[13:14], v[18:19], v[13:14]
	v_add_f64 v[15:16], v[20:21], v[15:16]
	ds_write_b128 v17, v[13:16]
.LBB543_17:
	s_or_b64 exec, exec, s[0:1]
	v_mov_b32_e32 v16, v12
	v_mov_b32_e32 v14, v10
	v_cmp_gt_u32_e32 vcc, 32, v0
	v_mov_b32_e32 v15, v11
	v_mov_b32_e32 v13, v9
	s_waitcnt lgkmcnt(0)
	s_barrier
	s_and_saveexec_b64 s[0:1], vcc
	s_cbranch_execz .LBB543_19
; %bb.18:
	s_movk_i32 s4, 0x1f0
	v_mad_u32_u24 v18, v0, s4, v17
	ds_read_b128 v[13:16], v18
	ds_read_b128 v[18:21], v18 offset:16
	s_waitcnt lgkmcnt(0)
	v_add_f64 v[13:14], v[18:19], v[13:14]
	v_add_f64 v[15:16], v[20:21], v[15:16]
.LBB543_19:
	s_or_b64 exec, exec, s[0:1]
	s_branch .LBB543_32
.LBB543_20:
                                        ; implicit-def: $vgpr15_vgpr16
                                        ; implicit-def: $vgpr13_vgpr14
	s_cbranch_execz .LBB543_32
; %bb.21:
	s_movk_i32 s0, 0x200
	v_cmp_gt_u32_e32 vcc, s0, v0
	s_and_saveexec_b64 s[0:1], vcc
	s_cbranch_execz .LBB543_23
; %bb.22:
	ds_read_b128 v[13:16], v17 offset:8192
	ds_read_b128 v[18:21], v17
	s_waitcnt lgkmcnt(0)
	v_add_f64 v[13:14], v[13:14], v[18:19]
	v_add_f64 v[15:16], v[15:16], v[20:21]
	ds_write_b128 v17, v[13:16]
.LBB543_23:
	s_or_b64 exec, exec, s[0:1]
	s_movk_i32 s0, 0x100
	v_cmp_gt_u32_e32 vcc, s0, v0
	s_waitcnt lgkmcnt(0)
	s_barrier
	s_and_saveexec_b64 s[0:1], vcc
	s_cbranch_execz .LBB543_25
; %bb.24:
	ds_read_b128 v[13:16], v17 offset:4096
	ds_read_b128 v[18:21], v17
	s_waitcnt lgkmcnt(0)
	v_add_f64 v[13:14], v[13:14], v[18:19]
	v_add_f64 v[15:16], v[15:16], v[20:21]
	ds_write_b128 v17, v[13:16]
.LBB543_25:
	s_or_b64 exec, exec, s[0:1]
	s_movk_i32 s0, 0x80
	v_cmp_gt_u32_e32 vcc, s0, v0
	s_waitcnt lgkmcnt(0)
	s_barrier
	s_and_saveexec_b64 s[0:1], vcc
	s_cbranch_execz .LBB543_27
; %bb.26:
	ds_read_b128 v[13:16], v17 offset:2048
	ds_read_b128 v[18:21], v17
	s_waitcnt lgkmcnt(0)
	v_add_f64 v[13:14], v[13:14], v[18:19]
	v_add_f64 v[15:16], v[15:16], v[20:21]
	ds_write_b128 v17, v[13:16]
.LBB543_27:
	s_or_b64 exec, exec, s[0:1]
	v_cmp_gt_u32_e32 vcc, 64, v0
	s_waitcnt lgkmcnt(0)
	s_barrier
	s_and_saveexec_b64 s[0:1], vcc
	s_cbranch_execz .LBB543_29
; %bb.28:
	ds_read_b128 v[13:16], v17 offset:1024
	ds_read_b128 v[18:21], v17
	s_waitcnt lgkmcnt(0)
	v_add_f64 v[13:14], v[13:14], v[18:19]
	v_add_f64 v[15:16], v[15:16], v[20:21]
	ds_write_b128 v17, v[13:16]
.LBB543_29:
	s_or_b64 exec, exec, s[0:1]
	v_cmp_gt_u32_e32 vcc, 32, v0
	s_waitcnt lgkmcnt(0)
	s_and_saveexec_b64 s[0:1], vcc
	s_cbranch_execz .LBB543_31
; %bb.30:
	ds_read_b128 v[9:12], v17 offset:512
	ds_read_b128 v[13:16], v17
	s_waitcnt lgkmcnt(0)
	v_add_f64 v[9:10], v[9:10], v[13:14]
	v_add_f64 v[11:12], v[11:12], v[15:16]
.LBB543_31:
	s_or_b64 exec, exec, s[0:1]
	v_mov_b32_e32 v16, v12
	v_mov_b32_e32 v14, v10
	;; [unrolled: 1-line block ×4, first 2 shown]
.LBB543_32:
	v_cmp_gt_u32_e32 vcc, 32, v0
	s_and_b64 exec, exec, vcc
	s_cbranch_execz .LBB543_37
; %bb.33:
	v_mul_f64 v[9:10], v[15:16], -v[7:8]
	v_mul_f64 v[11:12], v[5:6], v[15:16]
	v_cmp_eq_f64_e32 vcc, 0, v[1:2]
	v_cmp_eq_f64_e64 s[0:1], 0, v[3:4]
	v_fma_f64 v[5:6], v[5:6], v[13:14], v[9:10]
	v_fma_f64 v[7:8], v[7:8], v[13:14], v[11:12]
	v_lshl_or_b32 v9, s6, 5, v0
	s_and_b64 s[0:1], vcc, s[0:1]
	s_and_saveexec_b64 s[4:5], s[0:1]
	s_xor_b64 s[0:1], exec, s[4:5]
	s_cbranch_execz .LBB543_35
; %bb.34:
	v_mov_b32_e32 v10, 0
	v_lshlrev_b64 v[0:1], 4, v[9:10]
	v_mov_b32_e32 v2, s3
	v_add_co_u32_e32 v0, vcc, s2, v0
	v_addc_co_u32_e32 v1, vcc, v2, v1, vcc
	global_store_dwordx4 v[0:1], v[5:8], off
                                        ; implicit-def: $vgpr9
                                        ; implicit-def: $vgpr1_vgpr2
                                        ; implicit-def: $vgpr5_vgpr6
.LBB543_35:
	s_andn2_saveexec_b64 s[0:1], s[0:1]
	s_cbranch_execz .LBB543_37
; %bb.36:
	v_mov_b32_e32 v10, 0
	v_lshlrev_b64 v[9:10], 4, v[9:10]
	v_mov_b32_e32 v0, s3
	v_add_co_u32_e32 v13, vcc, s2, v9
	v_addc_co_u32_e32 v14, vcc, v0, v10, vcc
	global_load_dwordx4 v[9:12], v[13:14], off
	s_waitcnt vmcnt(0)
	v_fma_f64 v[5:6], v[1:2], v[9:10], v[5:6]
	v_fma_f64 v[7:8], v[3:4], v[9:10], v[7:8]
	v_fma_f64 v[3:4], -v[3:4], v[11:12], v[5:6]
	v_fma_f64 v[5:6], v[1:2], v[11:12], v[7:8]
	global_store_dwordx4 v[13:14], v[3:6], off
.LBB543_37:
	s_endpgm
	.section	.rodata,"a",@progbits
	.p2align	6, 0x0
	.amdhsa_kernel _ZN9rocsparseL20bsrxmvn_17_32_kernelILj32E21rocsparse_complex_numIdEiiS1_IfES2_S2_EEvT2_20rocsparse_direction_NS_24const_host_device_scalarIT0_EES4_PKS4_PKT1_SD_SA_PKT3_PKT4_S8_PT5_21rocsparse_index_base_b
		.amdhsa_group_segment_fixed_size 16384
		.amdhsa_private_segment_fixed_size 0
		.amdhsa_kernarg_size 112
		.amdhsa_user_sgpr_count 6
		.amdhsa_user_sgpr_private_segment_buffer 1
		.amdhsa_user_sgpr_dispatch_ptr 0
		.amdhsa_user_sgpr_queue_ptr 0
		.amdhsa_user_sgpr_kernarg_segment_ptr 1
		.amdhsa_user_sgpr_dispatch_id 0
		.amdhsa_user_sgpr_flat_scratch_init 0
		.amdhsa_user_sgpr_private_segment_size 0
		.amdhsa_uses_dynamic_stack 0
		.amdhsa_system_sgpr_private_segment_wavefront_offset 0
		.amdhsa_system_sgpr_workgroup_id_x 1
		.amdhsa_system_sgpr_workgroup_id_y 0
		.amdhsa_system_sgpr_workgroup_id_z 0
		.amdhsa_system_sgpr_workgroup_info 0
		.amdhsa_system_vgpr_workitem_id 0
		.amdhsa_next_free_vgpr 29
		.amdhsa_next_free_sgpr 61
		.amdhsa_reserve_vcc 1
		.amdhsa_reserve_flat_scratch 0
		.amdhsa_float_round_mode_32 0
		.amdhsa_float_round_mode_16_64 0
		.amdhsa_float_denorm_mode_32 3
		.amdhsa_float_denorm_mode_16_64 3
		.amdhsa_dx10_clamp 1
		.amdhsa_ieee_mode 1
		.amdhsa_fp16_overflow 0
		.amdhsa_exception_fp_ieee_invalid_op 0
		.amdhsa_exception_fp_denorm_src 0
		.amdhsa_exception_fp_ieee_div_zero 0
		.amdhsa_exception_fp_ieee_overflow 0
		.amdhsa_exception_fp_ieee_underflow 0
		.amdhsa_exception_fp_ieee_inexact 0
		.amdhsa_exception_int_div_zero 0
	.end_amdhsa_kernel
	.section	.text._ZN9rocsparseL20bsrxmvn_17_32_kernelILj32E21rocsparse_complex_numIdEiiS1_IfES2_S2_EEvT2_20rocsparse_direction_NS_24const_host_device_scalarIT0_EES4_PKS4_PKT1_SD_SA_PKT3_PKT4_S8_PT5_21rocsparse_index_base_b,"axG",@progbits,_ZN9rocsparseL20bsrxmvn_17_32_kernelILj32E21rocsparse_complex_numIdEiiS1_IfES2_S2_EEvT2_20rocsparse_direction_NS_24const_host_device_scalarIT0_EES4_PKS4_PKT1_SD_SA_PKT3_PKT4_S8_PT5_21rocsparse_index_base_b,comdat
.Lfunc_end543:
	.size	_ZN9rocsparseL20bsrxmvn_17_32_kernelILj32E21rocsparse_complex_numIdEiiS1_IfES2_S2_EEvT2_20rocsparse_direction_NS_24const_host_device_scalarIT0_EES4_PKS4_PKT1_SD_SA_PKT3_PKT4_S8_PT5_21rocsparse_index_base_b, .Lfunc_end543-_ZN9rocsparseL20bsrxmvn_17_32_kernelILj32E21rocsparse_complex_numIdEiiS1_IfES2_S2_EEvT2_20rocsparse_direction_NS_24const_host_device_scalarIT0_EES4_PKS4_PKT1_SD_SA_PKT3_PKT4_S8_PT5_21rocsparse_index_base_b
                                        ; -- End function
	.set _ZN9rocsparseL20bsrxmvn_17_32_kernelILj32E21rocsparse_complex_numIdEiiS1_IfES2_S2_EEvT2_20rocsparse_direction_NS_24const_host_device_scalarIT0_EES4_PKS4_PKT1_SD_SA_PKT3_PKT4_S8_PT5_21rocsparse_index_base_b.num_vgpr, 26
	.set _ZN9rocsparseL20bsrxmvn_17_32_kernelILj32E21rocsparse_complex_numIdEiiS1_IfES2_S2_EEvT2_20rocsparse_direction_NS_24const_host_device_scalarIT0_EES4_PKS4_PKT1_SD_SA_PKT3_PKT4_S8_PT5_21rocsparse_index_base_b.num_agpr, 0
	.set _ZN9rocsparseL20bsrxmvn_17_32_kernelILj32E21rocsparse_complex_numIdEiiS1_IfES2_S2_EEvT2_20rocsparse_direction_NS_24const_host_device_scalarIT0_EES4_PKS4_PKT1_SD_SA_PKT3_PKT4_S8_PT5_21rocsparse_index_base_b.numbered_sgpr, 18
	.set _ZN9rocsparseL20bsrxmvn_17_32_kernelILj32E21rocsparse_complex_numIdEiiS1_IfES2_S2_EEvT2_20rocsparse_direction_NS_24const_host_device_scalarIT0_EES4_PKS4_PKT1_SD_SA_PKT3_PKT4_S8_PT5_21rocsparse_index_base_b.num_named_barrier, 0
	.set _ZN9rocsparseL20bsrxmvn_17_32_kernelILj32E21rocsparse_complex_numIdEiiS1_IfES2_S2_EEvT2_20rocsparse_direction_NS_24const_host_device_scalarIT0_EES4_PKS4_PKT1_SD_SA_PKT3_PKT4_S8_PT5_21rocsparse_index_base_b.private_seg_size, 0
	.set _ZN9rocsparseL20bsrxmvn_17_32_kernelILj32E21rocsparse_complex_numIdEiiS1_IfES2_S2_EEvT2_20rocsparse_direction_NS_24const_host_device_scalarIT0_EES4_PKS4_PKT1_SD_SA_PKT3_PKT4_S8_PT5_21rocsparse_index_base_b.uses_vcc, 1
	.set _ZN9rocsparseL20bsrxmvn_17_32_kernelILj32E21rocsparse_complex_numIdEiiS1_IfES2_S2_EEvT2_20rocsparse_direction_NS_24const_host_device_scalarIT0_EES4_PKS4_PKT1_SD_SA_PKT3_PKT4_S8_PT5_21rocsparse_index_base_b.uses_flat_scratch, 0
	.set _ZN9rocsparseL20bsrxmvn_17_32_kernelILj32E21rocsparse_complex_numIdEiiS1_IfES2_S2_EEvT2_20rocsparse_direction_NS_24const_host_device_scalarIT0_EES4_PKS4_PKT1_SD_SA_PKT3_PKT4_S8_PT5_21rocsparse_index_base_b.has_dyn_sized_stack, 0
	.set _ZN9rocsparseL20bsrxmvn_17_32_kernelILj32E21rocsparse_complex_numIdEiiS1_IfES2_S2_EEvT2_20rocsparse_direction_NS_24const_host_device_scalarIT0_EES4_PKS4_PKT1_SD_SA_PKT3_PKT4_S8_PT5_21rocsparse_index_base_b.has_recursion, 0
	.set _ZN9rocsparseL20bsrxmvn_17_32_kernelILj32E21rocsparse_complex_numIdEiiS1_IfES2_S2_EEvT2_20rocsparse_direction_NS_24const_host_device_scalarIT0_EES4_PKS4_PKT1_SD_SA_PKT3_PKT4_S8_PT5_21rocsparse_index_base_b.has_indirect_call, 0
	.section	.AMDGPU.csdata,"",@progbits
; Kernel info:
; codeLenInByte = 1536
; TotalNumSgprs: 22
; NumVgprs: 26
; ScratchSize: 0
; MemoryBound: 0
; FloatMode: 240
; IeeeMode: 1
; LDSByteSize: 16384 bytes/workgroup (compile time only)
; SGPRBlocks: 8
; VGPRBlocks: 7
; NumSGPRsForWavesPerEU: 65
; NumVGPRsForWavesPerEU: 29
; Occupancy: 8
; WaveLimiterHint : 1
; COMPUTE_PGM_RSRC2:SCRATCH_EN: 0
; COMPUTE_PGM_RSRC2:USER_SGPR: 6
; COMPUTE_PGM_RSRC2:TRAP_HANDLER: 0
; COMPUTE_PGM_RSRC2:TGID_X_EN: 1
; COMPUTE_PGM_RSRC2:TGID_Y_EN: 0
; COMPUTE_PGM_RSRC2:TGID_Z_EN: 0
; COMPUTE_PGM_RSRC2:TIDIG_COMP_CNT: 0
	.section	.text._ZN9rocsparseL20bsrxmvn_17_32_kernelILj17E21rocsparse_complex_numIdEliS1_IfES2_S2_EEvT2_20rocsparse_direction_NS_24const_host_device_scalarIT0_EES4_PKS4_PKT1_SD_SA_PKT3_PKT4_S8_PT5_21rocsparse_index_base_b,"axG",@progbits,_ZN9rocsparseL20bsrxmvn_17_32_kernelILj17E21rocsparse_complex_numIdEliS1_IfES2_S2_EEvT2_20rocsparse_direction_NS_24const_host_device_scalarIT0_EES4_PKS4_PKT1_SD_SA_PKT3_PKT4_S8_PT5_21rocsparse_index_base_b,comdat
	.globl	_ZN9rocsparseL20bsrxmvn_17_32_kernelILj17E21rocsparse_complex_numIdEliS1_IfES2_S2_EEvT2_20rocsparse_direction_NS_24const_host_device_scalarIT0_EES4_PKS4_PKT1_SD_SA_PKT3_PKT4_S8_PT5_21rocsparse_index_base_b ; -- Begin function _ZN9rocsparseL20bsrxmvn_17_32_kernelILj17E21rocsparse_complex_numIdEliS1_IfES2_S2_EEvT2_20rocsparse_direction_NS_24const_host_device_scalarIT0_EES4_PKS4_PKT1_SD_SA_PKT3_PKT4_S8_PT5_21rocsparse_index_base_b
	.p2align	8
	.type	_ZN9rocsparseL20bsrxmvn_17_32_kernelILj17E21rocsparse_complex_numIdEliS1_IfES2_S2_EEvT2_20rocsparse_direction_NS_24const_host_device_scalarIT0_EES4_PKS4_PKT1_SD_SA_PKT3_PKT4_S8_PT5_21rocsparse_index_base_b,@function
_ZN9rocsparseL20bsrxmvn_17_32_kernelILj17E21rocsparse_complex_numIdEliS1_IfES2_S2_EEvT2_20rocsparse_direction_NS_24const_host_device_scalarIT0_EES4_PKS4_PKT1_SD_SA_PKT3_PKT4_S8_PT5_21rocsparse_index_base_b: ; @_ZN9rocsparseL20bsrxmvn_17_32_kernelILj17E21rocsparse_complex_numIdEliS1_IfES2_S2_EEvT2_20rocsparse_direction_NS_24const_host_device_scalarIT0_EES4_PKS4_PKT1_SD_SA_PKT3_PKT4_S8_PT5_21rocsparse_index_base_b
; %bb.0:
	s_load_dwordx2 s[0:1], s[4:5], 0x8
	s_load_dwordx2 s[14:15], s[4:5], 0x68
	s_add_u32 s7, s4, 8
	s_addc_u32 s8, s5, 0
	s_add_u32 s9, s4, 0x50
	s_addc_u32 s10, s5, 0
	s_waitcnt lgkmcnt(0)
	s_bitcmp1_b32 s15, 0
	s_cselect_b32 s1, s8, s1
	s_cselect_b32 s0, s7, s0
	v_mov_b32_e32 v1, s0
	v_mov_b32_e32 v2, s1
	flat_load_dwordx4 v[5:8], v[1:2]
	s_load_dwordx2 s[2:3], s[4:5], 0x50
	s_waitcnt lgkmcnt(0)
	s_cselect_b32 s0, s10, s3
	s_cselect_b32 s1, s9, s2
	v_mov_b32_e32 v1, s1
	v_mov_b32_e32 v2, s0
	flat_load_dwordx4 v[1:4], v[1:2]
	s_waitcnt vmcnt(0)
	v_cmp_eq_f64_e32 vcc, 0, v[5:6]
	v_cmp_eq_f64_e64 s[0:1], 0, v[7:8]
	s_and_b64 s[8:9], vcc, s[0:1]
	s_mov_b64 s[0:1], -1
	s_and_saveexec_b64 s[2:3], s[8:9]
	s_cbranch_execz .LBB544_2
; %bb.1:
	s_waitcnt lgkmcnt(0)
	v_cmp_neq_f64_e32 vcc, 1.0, v[1:2]
	v_cmp_neq_f64_e64 s[0:1], 0, v[3:4]
	s_or_b64 s[0:1], vcc, s[0:1]
	s_orn2_b64 s[0:1], s[0:1], exec
.LBB544_2:
	s_or_b64 exec, exec, s[2:3]
	s_and_saveexec_b64 s[2:3], s[0:1]
	s_cbranch_execz .LBB544_39
; %bb.3:
	s_load_dwordx4 s[0:3], s[4:5], 0x20
	s_load_dwordx2 s[8:9], s[4:5], 0x30
	s_waitcnt lgkmcnt(0)
	s_cmp_eq_u64 s[0:1], 0
	s_cbranch_scc1 .LBB544_5
; %bb.4:
	s_ashr_i32 s7, s6, 31
	s_lshl_b64 s[6:7], s[6:7], 2
	s_add_u32 s0, s0, s6
	s_addc_u32 s1, s1, s7
	s_load_dword s0, s[0:1], 0x0
	s_waitcnt lgkmcnt(0)
	s_sub_i32 s6, s0, s14
.LBB544_5:
	s_load_dword s7, s[4:5], 0x4
	s_load_dwordx2 s[12:13], s[4:5], 0x60
	v_mul_u32_u24_e32 v13, 0xf10, v0
	v_mov_b32_e32 v9, 17
	v_mul_lo_u16_sdwa v9, v13, v9 dst_sel:DWORD dst_unused:UNUSED_PAD src0_sel:WORD_1 src1_sel:DWORD
	s_waitcnt lgkmcnt(0)
	s_cmp_eq_u32 s7, 1
	s_cselect_b64 s[0:1], -1, 0
	s_cmp_lg_u32 s7, 1
	s_cselect_b64 s[16:17], -1, 0
	s_ashr_i32 s7, s6, 31
	s_lshl_b64 s[10:11], s[6:7], 3
	s_add_u32 s2, s2, s10
	s_addc_u32 s3, s3, s11
	s_add_u32 s7, s2, 8
	s_addc_u32 s15, s3, 0
	;; [unrolled: 2-line block ×3, first 2 shown]
	s_cmp_eq_u64 s[8:9], 0
	s_cselect_b32 s9, s15, s11
	s_cselect_b32 s8, s7, s10
	s_load_dwordx2 s[18:19], s[8:9], 0x0
	s_load_dwordx2 s[20:21], s[2:3], 0x0
	v_sub_u16_e32 v20, v0, v9
	v_mov_b32_e32 v11, 0
	v_mov_b32_e32 v12, 0
	s_waitcnt lgkmcnt(0)
	v_mov_b32_e32 v9, s18
	v_mov_b32_e32 v10, s19
	v_cmp_ge_i64_e32 vcc, s[20:21], v[9:10]
	v_mov_b32_e32 v9, 0
	v_mov_b32_e32 v10, 0
	s_cbranch_vccnz .LBB544_10
; %bb.6:
	v_mov_b32_e32 v9, 31
	v_mul_lo_u16_sdwa v9, v13, v9 dst_sel:DWORD dst_unused:UNUSED_PAD src0_sel:WORD_1 src1_sel:DWORD
	s_load_dwordx2 s[2:3], s[4:5], 0x48
	s_load_dwordx4 s[8:11], s[4:5], 0x38
	s_sub_u32 s4, s18, s14
	v_lshrrev_b16_e32 v9, 9, v9
	s_subb_u32 s5, s19, 0
	v_mul_lo_u16_e32 v9, 17, v9
	v_sub_u16_sdwa v9, v13, v9 dst_sel:DWORD dst_unused:UNUSED_PAD src0_sel:WORD_1 src1_sel:DWORD
	s_sub_u32 s18, s20, s14
	v_and_b32_e32 v9, 0xff, v9
	s_subb_u32 s19, s21, 0
	v_cndmask_b32_e64 v13, v20, v9, s[0:1]
	s_mul_i32 s0, s19, 0x908
	s_mul_hi_u32 s1, s18, 0x908
	s_add_i32 s1, s1, s0
	s_mul_i32 s0, s18, 0x908
	s_waitcnt lgkmcnt(0)
	s_add_u32 s0, s10, s0
	v_lshlrev_b32_e32 v9, 3, v0
	s_addc_u32 s1, s11, s1
	v_add_co_u32_e32 v14, vcc, s0, v9
	s_movk_i32 s0, 0xe3
	v_mov_b32_e32 v10, s1
	v_mul_u32_u24_sdwa v9, v0, s0 dst_sel:DWORD dst_unused:UNUSED_PAD src0_sel:WORD_0 src1_sel:DWORD
	v_addc_co_u32_e32 v15, vcc, 0, v10, vcc
	v_lshrrev_b32_e32 v21, 16, v9
	v_mov_b32_e32 v9, s21
	v_add_co_u32_e32 v10, vcc, s20, v21
	v_addc_co_u32_e32 v11, vcc, 0, v9, vcc
	v_subrev_co_u32_e32 v9, vcc, s14, v10
	v_subbrev_co_u32_e32 v10, vcc, 0, v11, vcc
	v_lshlrev_b64 v[9:10], 2, v[9:10]
	v_mov_b32_e32 v11, s9
	v_add_co_u32_e32 v16, vcc, s8, v9
	v_addc_co_u32_e32 v17, vcc, v11, v10, vcc
	v_mov_b32_e32 v11, 0
	v_mov_b32_e32 v12, 0
	;; [unrolled: 1-line block ×6, first 2 shown]
	s_branch .LBB544_8
.LBB544_7:                              ;   in Loop: Header=BB544_8 Depth=1
	s_or_b64 exec, exec, s[0:1]
	s_add_u32 s18, s18, 1
	s_addc_u32 s19, s19, 0
	v_cmp_lt_i64_e32 vcc, s[18:19], v[18:19]
	v_add_co_u32_e64 v16, s[0:1], 4, v16
	v_addc_co_u32_e64 v17, s[0:1], 0, v17, s[0:1]
	s_cbranch_vccz .LBB544_10
.LBB544_8:                              ; =>This Inner Loop Header: Depth=1
	v_mov_b32_e32 v23, s19
	v_add_co_u32_e32 v22, vcc, s18, v21
	v_addc_co_u32_e32 v23, vcc, 0, v23, vcc
	v_cmp_gt_i64_e32 vcc, s[4:5], v[22:23]
	s_and_saveexec_b64 s[0:1], vcc
	s_cbranch_execz .LBB544_7
; %bb.9:                                ;   in Loop: Header=BB544_8 Depth=1
	global_load_dword v22, v[16:17], off
	global_load_dwordx2 v[26:27], v[14:15], off
	v_mov_b32_e32 v24, s3
	s_waitcnt vmcnt(1)
	v_subrev_u32_e32 v22, s14, v22
	v_mad_u64_u32 v[22:23], s[8:9], v22, 17, v[13:14]
	s_waitcnt vmcnt(0)
	v_cvt_f64_f32_e32 v[28:29], v26
	v_cvt_f64_f32_e32 v[26:27], v27
	v_ashrrev_i32_e32 v23, 31, v22
	v_lshlrev_b64 v[22:23], 4, v[22:23]
	v_add_co_u32_e32 v22, vcc, s2, v22
	v_addc_co_u32_e32 v23, vcc, v24, v23, vcc
	global_load_dwordx4 v[22:25], v[22:23], off
	v_add_co_u32_e32 v14, vcc, 0x908, v14
	v_addc_co_u32_e32 v15, vcc, 0, v15, vcc
	s_waitcnt vmcnt(0)
	v_fma_f64 v[9:10], v[28:29], v[22:23], v[9:10]
	v_fma_f64 v[11:12], v[26:27], v[22:23], v[11:12]
	v_fma_f64 v[9:10], -v[26:27], v[24:25], v[9:10]
	v_fma_f64 v[11:12], v[28:29], v[24:25], v[11:12]
	s_branch .LBB544_7
.LBB544_10:
	v_lshlrev_b32_e32 v17, 4, v0
	s_and_b64 vcc, exec, s[16:17]
	ds_write_b128 v17, v[9:12]
	s_waitcnt lgkmcnt(0)
	s_barrier
	s_cbranch_vccz .LBB544_22
; %bb.11:
	v_cmp_eq_u16_e32 vcc, 0, v20
	s_and_saveexec_b64 s[0:1], vcc
	s_cbranch_execz .LBB544_13
; %bb.12:
	ds_read_b128 v[13:16], v17 offset:256
	ds_read_b128 v[21:24], v17
	s_waitcnt lgkmcnt(0)
	v_add_f64 v[13:14], v[13:14], v[21:22]
	v_add_f64 v[15:16], v[15:16], v[23:24]
	ds_write_b128 v17, v[13:16]
.LBB544_13:
	s_or_b64 exec, exec, s[0:1]
	v_cmp_gt_u16_e32 vcc, 8, v20
	s_waitcnt lgkmcnt(0)
	s_barrier
	s_and_saveexec_b64 s[0:1], vcc
	s_cbranch_execz .LBB544_15
; %bb.14:
	ds_read_b128 v[13:16], v17 offset:128
	ds_read_b128 v[21:24], v17
	s_waitcnt lgkmcnt(0)
	v_add_f64 v[13:14], v[13:14], v[21:22]
	v_add_f64 v[15:16], v[15:16], v[23:24]
	ds_write_b128 v17, v[13:16]
.LBB544_15:
	s_or_b64 exec, exec, s[0:1]
	v_cmp_gt_u16_e32 vcc, 4, v20
	s_waitcnt lgkmcnt(0)
	s_barrier
	;; [unrolled: 14-line block ×3, first 2 shown]
	s_and_saveexec_b64 s[0:1], vcc
	s_cbranch_execz .LBB544_19
; %bb.18:
	ds_read_b128 v[13:16], v17
	ds_read_b128 v[18:21], v17 offset:32
	s_waitcnt lgkmcnt(0)
	v_add_f64 v[13:14], v[18:19], v[13:14]
	v_add_f64 v[15:16], v[20:21], v[15:16]
	ds_write_b128 v17, v[13:16]
.LBB544_19:
	s_or_b64 exec, exec, s[0:1]
	v_mov_b32_e32 v16, v12
	v_mov_b32_e32 v14, v10
	v_cmp_gt_u32_e32 vcc, 17, v0
	v_mov_b32_e32 v15, v11
	v_mov_b32_e32 v13, v9
	s_waitcnt lgkmcnt(0)
	s_barrier
	s_and_saveexec_b64 s[0:1], vcc
	s_cbranch_execz .LBB544_21
; %bb.20:
	v_lshl_add_u32 v18, v0, 8, v17
	ds_read_b128 v[13:16], v18
	ds_read_b128 v[18:21], v18 offset:16
	s_waitcnt lgkmcnt(0)
	v_add_f64 v[13:14], v[18:19], v[13:14]
	v_add_f64 v[15:16], v[20:21], v[15:16]
.LBB544_21:
	s_or_b64 exec, exec, s[0:1]
	v_cmp_gt_u32_e64 s[0:1], 17, v0
	s_branch .LBB544_34
.LBB544_22:
                                        ; implicit-def: $vgpr15_vgpr16
                                        ; implicit-def: $vgpr13_vgpr14
	v_cmp_gt_u32_e64 s[0:1], 17, v0
	s_cbranch_execz .LBB544_34
; %bb.23:
	s_and_saveexec_b64 s[2:3], s[0:1]
	s_cbranch_execz .LBB544_25
; %bb.24:
	ds_read_b128 v[13:16], v17 offset:4352
	ds_read_b128 v[18:21], v17
	s_waitcnt lgkmcnt(0)
	v_add_f64 v[13:14], v[13:14], v[18:19]
	v_add_f64 v[15:16], v[15:16], v[20:21]
	ds_write_b128 v17, v[13:16]
.LBB544_25:
	s_or_b64 exec, exec, s[2:3]
	s_movk_i32 s2, 0x88
	v_cmp_gt_u32_e32 vcc, s2, v0
	s_waitcnt lgkmcnt(0)
	s_barrier
	s_and_saveexec_b64 s[2:3], vcc
	s_cbranch_execz .LBB544_27
; %bb.26:
	ds_read_b128 v[13:16], v17 offset:2176
	ds_read_b128 v[18:21], v17
	s_waitcnt lgkmcnt(0)
	v_add_f64 v[13:14], v[13:14], v[18:19]
	v_add_f64 v[15:16], v[15:16], v[20:21]
	ds_write_b128 v17, v[13:16]
.LBB544_27:
	s_or_b64 exec, exec, s[2:3]
	s_movk_i32 s2, 0x44
	v_cmp_gt_u32_e32 vcc, s2, v0
	s_waitcnt lgkmcnt(0)
	s_barrier
	s_and_saveexec_b64 s[2:3], vcc
	s_cbranch_execz .LBB544_29
; %bb.28:
	ds_read_b128 v[13:16], v17 offset:1088
	ds_read_b128 v[18:21], v17
	s_waitcnt lgkmcnt(0)
	v_add_f64 v[13:14], v[13:14], v[18:19]
	v_add_f64 v[15:16], v[15:16], v[20:21]
	ds_write_b128 v17, v[13:16]
.LBB544_29:
	s_or_b64 exec, exec, s[2:3]
	v_cmp_gt_u32_e32 vcc, 34, v0
	s_waitcnt lgkmcnt(0)
	s_barrier
	s_and_saveexec_b64 s[2:3], vcc
	s_cbranch_execz .LBB544_31
; %bb.30:
	ds_read_b128 v[13:16], v17 offset:544
	ds_read_b128 v[18:21], v17
	s_waitcnt lgkmcnt(0)
	v_add_f64 v[13:14], v[13:14], v[18:19]
	v_add_f64 v[15:16], v[15:16], v[20:21]
	ds_write_b128 v17, v[13:16]
.LBB544_31:
	s_or_b64 exec, exec, s[2:3]
	s_waitcnt lgkmcnt(0)
	s_and_saveexec_b64 s[2:3], s[0:1]
	s_cbranch_execz .LBB544_33
; %bb.32:
	ds_read_b128 v[9:12], v17 offset:272
	ds_read_b128 v[13:16], v17
	s_waitcnt lgkmcnt(0)
	v_add_f64 v[9:10], v[9:10], v[13:14]
	v_add_f64 v[11:12], v[11:12], v[15:16]
.LBB544_33:
	s_or_b64 exec, exec, s[2:3]
	v_mov_b32_e32 v16, v12
	v_mov_b32_e32 v14, v10
	;; [unrolled: 1-line block ×4, first 2 shown]
.LBB544_34:
	v_cmp_gt_u32_e32 vcc, 17, v0
	s_and_b64 exec, exec, vcc
	s_cbranch_execz .LBB544_39
; %bb.35:
	v_mul_f64 v[9:10], v[15:16], -v[7:8]
	v_mul_f64 v[11:12], v[5:6], v[15:16]
	v_cmp_eq_f64_e32 vcc, 0, v[1:2]
	v_cmp_eq_f64_e64 s[0:1], 0, v[3:4]
	v_fma_f64 v[5:6], v[5:6], v[13:14], v[9:10]
	v_fma_f64 v[7:8], v[7:8], v[13:14], v[11:12]
	s_and_b64 s[0:1], vcc, s[0:1]
	s_and_saveexec_b64 s[2:3], s[0:1]
	s_xor_b64 s[0:1], exec, s[2:3]
	s_cbranch_execz .LBB544_37
; %bb.36:
	v_mad_u64_u32 v[0:1], s[2:3], s6, 17, v[0:1]
	v_mov_b32_e32 v1, 0
	v_mov_b32_e32 v2, s13
	v_lshlrev_b64 v[0:1], 4, v[0:1]
	v_add_co_u32_e32 v0, vcc, s12, v0
	v_addc_co_u32_e32 v1, vcc, v2, v1, vcc
	global_store_dwordx4 v[0:1], v[5:8], off
                                        ; implicit-def: $vgpr0
                                        ; implicit-def: $vgpr1_vgpr2
                                        ; implicit-def: $vgpr5_vgpr6
.LBB544_37:
	s_andn2_saveexec_b64 s[0:1], s[0:1]
	s_cbranch_execz .LBB544_39
; %bb.38:
	v_mad_u64_u32 v[9:10], s[0:1], s6, 17, v[0:1]
	v_mov_b32_e32 v10, 0
	v_mov_b32_e32 v0, s13
	v_lshlrev_b64 v[9:10], 4, v[9:10]
	v_add_co_u32_e32 v13, vcc, s12, v9
	v_addc_co_u32_e32 v14, vcc, v0, v10, vcc
	global_load_dwordx4 v[9:12], v[13:14], off
	s_waitcnt vmcnt(0)
	v_fma_f64 v[5:6], v[1:2], v[9:10], v[5:6]
	v_fma_f64 v[7:8], v[3:4], v[9:10], v[7:8]
	v_fma_f64 v[3:4], -v[3:4], v[11:12], v[5:6]
	v_fma_f64 v[5:6], v[1:2], v[11:12], v[7:8]
	global_store_dwordx4 v[13:14], v[3:6], off
.LBB544_39:
	s_endpgm
	.section	.rodata,"a",@progbits
	.p2align	6, 0x0
	.amdhsa_kernel _ZN9rocsparseL20bsrxmvn_17_32_kernelILj17E21rocsparse_complex_numIdEliS1_IfES2_S2_EEvT2_20rocsparse_direction_NS_24const_host_device_scalarIT0_EES4_PKS4_PKT1_SD_SA_PKT3_PKT4_S8_PT5_21rocsparse_index_base_b
		.amdhsa_group_segment_fixed_size 4624
		.amdhsa_private_segment_fixed_size 0
		.amdhsa_kernarg_size 112
		.amdhsa_user_sgpr_count 6
		.amdhsa_user_sgpr_private_segment_buffer 1
		.amdhsa_user_sgpr_dispatch_ptr 0
		.amdhsa_user_sgpr_queue_ptr 0
		.amdhsa_user_sgpr_kernarg_segment_ptr 1
		.amdhsa_user_sgpr_dispatch_id 0
		.amdhsa_user_sgpr_flat_scratch_init 0
		.amdhsa_user_sgpr_private_segment_size 0
		.amdhsa_uses_dynamic_stack 0
		.amdhsa_system_sgpr_private_segment_wavefront_offset 0
		.amdhsa_system_sgpr_workgroup_id_x 1
		.amdhsa_system_sgpr_workgroup_id_y 0
		.amdhsa_system_sgpr_workgroup_id_z 0
		.amdhsa_system_sgpr_workgroup_info 0
		.amdhsa_system_vgpr_workitem_id 0
		.amdhsa_next_free_vgpr 30
		.amdhsa_next_free_sgpr 22
		.amdhsa_reserve_vcc 1
		.amdhsa_reserve_flat_scratch 0
		.amdhsa_float_round_mode_32 0
		.amdhsa_float_round_mode_16_64 0
		.amdhsa_float_denorm_mode_32 3
		.amdhsa_float_denorm_mode_16_64 3
		.amdhsa_dx10_clamp 1
		.amdhsa_ieee_mode 1
		.amdhsa_fp16_overflow 0
		.amdhsa_exception_fp_ieee_invalid_op 0
		.amdhsa_exception_fp_denorm_src 0
		.amdhsa_exception_fp_ieee_div_zero 0
		.amdhsa_exception_fp_ieee_overflow 0
		.amdhsa_exception_fp_ieee_underflow 0
		.amdhsa_exception_fp_ieee_inexact 0
		.amdhsa_exception_int_div_zero 0
	.end_amdhsa_kernel
	.section	.text._ZN9rocsparseL20bsrxmvn_17_32_kernelILj17E21rocsparse_complex_numIdEliS1_IfES2_S2_EEvT2_20rocsparse_direction_NS_24const_host_device_scalarIT0_EES4_PKS4_PKT1_SD_SA_PKT3_PKT4_S8_PT5_21rocsparse_index_base_b,"axG",@progbits,_ZN9rocsparseL20bsrxmvn_17_32_kernelILj17E21rocsparse_complex_numIdEliS1_IfES2_S2_EEvT2_20rocsparse_direction_NS_24const_host_device_scalarIT0_EES4_PKS4_PKT1_SD_SA_PKT3_PKT4_S8_PT5_21rocsparse_index_base_b,comdat
.Lfunc_end544:
	.size	_ZN9rocsparseL20bsrxmvn_17_32_kernelILj17E21rocsparse_complex_numIdEliS1_IfES2_S2_EEvT2_20rocsparse_direction_NS_24const_host_device_scalarIT0_EES4_PKS4_PKT1_SD_SA_PKT3_PKT4_S8_PT5_21rocsparse_index_base_b, .Lfunc_end544-_ZN9rocsparseL20bsrxmvn_17_32_kernelILj17E21rocsparse_complex_numIdEliS1_IfES2_S2_EEvT2_20rocsparse_direction_NS_24const_host_device_scalarIT0_EES4_PKS4_PKT1_SD_SA_PKT3_PKT4_S8_PT5_21rocsparse_index_base_b
                                        ; -- End function
	.set _ZN9rocsparseL20bsrxmvn_17_32_kernelILj17E21rocsparse_complex_numIdEliS1_IfES2_S2_EEvT2_20rocsparse_direction_NS_24const_host_device_scalarIT0_EES4_PKS4_PKT1_SD_SA_PKT3_PKT4_S8_PT5_21rocsparse_index_base_b.num_vgpr, 30
	.set _ZN9rocsparseL20bsrxmvn_17_32_kernelILj17E21rocsparse_complex_numIdEliS1_IfES2_S2_EEvT2_20rocsparse_direction_NS_24const_host_device_scalarIT0_EES4_PKS4_PKT1_SD_SA_PKT3_PKT4_S8_PT5_21rocsparse_index_base_b.num_agpr, 0
	.set _ZN9rocsparseL20bsrxmvn_17_32_kernelILj17E21rocsparse_complex_numIdEliS1_IfES2_S2_EEvT2_20rocsparse_direction_NS_24const_host_device_scalarIT0_EES4_PKS4_PKT1_SD_SA_PKT3_PKT4_S8_PT5_21rocsparse_index_base_b.numbered_sgpr, 22
	.set _ZN9rocsparseL20bsrxmvn_17_32_kernelILj17E21rocsparse_complex_numIdEliS1_IfES2_S2_EEvT2_20rocsparse_direction_NS_24const_host_device_scalarIT0_EES4_PKS4_PKT1_SD_SA_PKT3_PKT4_S8_PT5_21rocsparse_index_base_b.num_named_barrier, 0
	.set _ZN9rocsparseL20bsrxmvn_17_32_kernelILj17E21rocsparse_complex_numIdEliS1_IfES2_S2_EEvT2_20rocsparse_direction_NS_24const_host_device_scalarIT0_EES4_PKS4_PKT1_SD_SA_PKT3_PKT4_S8_PT5_21rocsparse_index_base_b.private_seg_size, 0
	.set _ZN9rocsparseL20bsrxmvn_17_32_kernelILj17E21rocsparse_complex_numIdEliS1_IfES2_S2_EEvT2_20rocsparse_direction_NS_24const_host_device_scalarIT0_EES4_PKS4_PKT1_SD_SA_PKT3_PKT4_S8_PT5_21rocsparse_index_base_b.uses_vcc, 1
	.set _ZN9rocsparseL20bsrxmvn_17_32_kernelILj17E21rocsparse_complex_numIdEliS1_IfES2_S2_EEvT2_20rocsparse_direction_NS_24const_host_device_scalarIT0_EES4_PKS4_PKT1_SD_SA_PKT3_PKT4_S8_PT5_21rocsparse_index_base_b.uses_flat_scratch, 0
	.set _ZN9rocsparseL20bsrxmvn_17_32_kernelILj17E21rocsparse_complex_numIdEliS1_IfES2_S2_EEvT2_20rocsparse_direction_NS_24const_host_device_scalarIT0_EES4_PKS4_PKT1_SD_SA_PKT3_PKT4_S8_PT5_21rocsparse_index_base_b.has_dyn_sized_stack, 0
	.set _ZN9rocsparseL20bsrxmvn_17_32_kernelILj17E21rocsparse_complex_numIdEliS1_IfES2_S2_EEvT2_20rocsparse_direction_NS_24const_host_device_scalarIT0_EES4_PKS4_PKT1_SD_SA_PKT3_PKT4_S8_PT5_21rocsparse_index_base_b.has_recursion, 0
	.set _ZN9rocsparseL20bsrxmvn_17_32_kernelILj17E21rocsparse_complex_numIdEliS1_IfES2_S2_EEvT2_20rocsparse_direction_NS_24const_host_device_scalarIT0_EES4_PKS4_PKT1_SD_SA_PKT3_PKT4_S8_PT5_21rocsparse_index_base_b.has_indirect_call, 0
	.section	.AMDGPU.csdata,"",@progbits
; Kernel info:
; codeLenInByte = 1736
; TotalNumSgprs: 26
; NumVgprs: 30
; ScratchSize: 0
; MemoryBound: 0
; FloatMode: 240
; IeeeMode: 1
; LDSByteSize: 4624 bytes/workgroup (compile time only)
; SGPRBlocks: 3
; VGPRBlocks: 7
; NumSGPRsForWavesPerEU: 26
; NumVGPRsForWavesPerEU: 30
; Occupancy: 8
; WaveLimiterHint : 1
; COMPUTE_PGM_RSRC2:SCRATCH_EN: 0
; COMPUTE_PGM_RSRC2:USER_SGPR: 6
; COMPUTE_PGM_RSRC2:TRAP_HANDLER: 0
; COMPUTE_PGM_RSRC2:TGID_X_EN: 1
; COMPUTE_PGM_RSRC2:TGID_Y_EN: 0
; COMPUTE_PGM_RSRC2:TGID_Z_EN: 0
; COMPUTE_PGM_RSRC2:TIDIG_COMP_CNT: 0
	.section	.text._ZN9rocsparseL20bsrxmvn_17_32_kernelILj18E21rocsparse_complex_numIdEliS1_IfES2_S2_EEvT2_20rocsparse_direction_NS_24const_host_device_scalarIT0_EES4_PKS4_PKT1_SD_SA_PKT3_PKT4_S8_PT5_21rocsparse_index_base_b,"axG",@progbits,_ZN9rocsparseL20bsrxmvn_17_32_kernelILj18E21rocsparse_complex_numIdEliS1_IfES2_S2_EEvT2_20rocsparse_direction_NS_24const_host_device_scalarIT0_EES4_PKS4_PKT1_SD_SA_PKT3_PKT4_S8_PT5_21rocsparse_index_base_b,comdat
	.globl	_ZN9rocsparseL20bsrxmvn_17_32_kernelILj18E21rocsparse_complex_numIdEliS1_IfES2_S2_EEvT2_20rocsparse_direction_NS_24const_host_device_scalarIT0_EES4_PKS4_PKT1_SD_SA_PKT3_PKT4_S8_PT5_21rocsparse_index_base_b ; -- Begin function _ZN9rocsparseL20bsrxmvn_17_32_kernelILj18E21rocsparse_complex_numIdEliS1_IfES2_S2_EEvT2_20rocsparse_direction_NS_24const_host_device_scalarIT0_EES4_PKS4_PKT1_SD_SA_PKT3_PKT4_S8_PT5_21rocsparse_index_base_b
	.p2align	8
	.type	_ZN9rocsparseL20bsrxmvn_17_32_kernelILj18E21rocsparse_complex_numIdEliS1_IfES2_S2_EEvT2_20rocsparse_direction_NS_24const_host_device_scalarIT0_EES4_PKS4_PKT1_SD_SA_PKT3_PKT4_S8_PT5_21rocsparse_index_base_b,@function
_ZN9rocsparseL20bsrxmvn_17_32_kernelILj18E21rocsparse_complex_numIdEliS1_IfES2_S2_EEvT2_20rocsparse_direction_NS_24const_host_device_scalarIT0_EES4_PKS4_PKT1_SD_SA_PKT3_PKT4_S8_PT5_21rocsparse_index_base_b: ; @_ZN9rocsparseL20bsrxmvn_17_32_kernelILj18E21rocsparse_complex_numIdEliS1_IfES2_S2_EEvT2_20rocsparse_direction_NS_24const_host_device_scalarIT0_EES4_PKS4_PKT1_SD_SA_PKT3_PKT4_S8_PT5_21rocsparse_index_base_b
; %bb.0:
	s_load_dwordx2 s[0:1], s[4:5], 0x8
	s_load_dwordx2 s[10:11], s[4:5], 0x68
	s_add_u32 s7, s4, 8
	s_addc_u32 s8, s5, 0
	s_add_u32 s9, s4, 0x50
	s_addc_u32 s12, s5, 0
	s_waitcnt lgkmcnt(0)
	s_bitcmp1_b32 s11, 0
	s_cselect_b32 s1, s8, s1
	s_cselect_b32 s0, s7, s0
	v_mov_b32_e32 v1, s0
	v_mov_b32_e32 v2, s1
	flat_load_dwordx4 v[5:8], v[1:2]
	s_load_dwordx2 s[2:3], s[4:5], 0x50
	s_waitcnt lgkmcnt(0)
	s_cselect_b32 s0, s12, s3
	s_cselect_b32 s1, s9, s2
	v_mov_b32_e32 v1, s1
	v_mov_b32_e32 v2, s0
	flat_load_dwordx4 v[1:4], v[1:2]
	s_waitcnt vmcnt(0)
	v_cmp_eq_f64_e32 vcc, 0, v[5:6]
	v_cmp_eq_f64_e64 s[0:1], 0, v[7:8]
	s_and_b64 s[8:9], vcc, s[0:1]
	s_mov_b64 s[0:1], -1
	s_and_saveexec_b64 s[2:3], s[8:9]
	s_cbranch_execz .LBB545_2
; %bb.1:
	s_waitcnt lgkmcnt(0)
	v_cmp_neq_f64_e32 vcc, 1.0, v[1:2]
	v_cmp_neq_f64_e64 s[0:1], 0, v[3:4]
	s_or_b64 s[0:1], vcc, s[0:1]
	s_orn2_b64 s[0:1], s[0:1], exec
.LBB545_2:
	s_or_b64 exec, exec, s[2:3]
	s_and_saveexec_b64 s[2:3], s[0:1]
	s_cbranch_execz .LBB545_39
; %bb.3:
	s_load_dwordx4 s[0:3], s[4:5], 0x20
	s_load_dwordx2 s[14:15], s[4:5], 0x30
	s_waitcnt lgkmcnt(0)
	s_cmp_eq_u64 s[0:1], 0
	s_cbranch_scc1 .LBB545_5
; %bb.4:
	s_ashr_i32 s7, s6, 31
	s_lshl_b64 s[6:7], s[6:7], 2
	s_add_u32 s0, s0, s6
	s_addc_u32 s1, s1, s7
	s_load_dword s0, s[0:1], 0x0
	s_waitcnt lgkmcnt(0)
	s_sub_i32 s6, s0, s10
.LBB545_5:
	s_load_dword s7, s[4:5], 0x4
	s_load_dwordx2 s[8:9], s[4:5], 0x60
	v_mul_u32_u24_e32 v13, 0xe39, v0
	v_mov_b32_e32 v14, 18
	v_mul_lo_u16_sdwa v9, v13, v14 dst_sel:DWORD dst_unused:UNUSED_PAD src0_sel:WORD_1 src1_sel:DWORD
	s_waitcnt lgkmcnt(0)
	s_cmp_eq_u32 s7, 1
	s_cselect_b64 s[0:1], -1, 0
	s_cmp_lg_u32 s7, 1
	s_cselect_b64 s[12:13], -1, 0
	s_ashr_i32 s7, s6, 31
	s_lshl_b64 s[16:17], s[6:7], 3
	s_add_u32 s2, s2, s16
	s_addc_u32 s3, s3, s17
	s_add_u32 s7, s2, 8
	s_addc_u32 s11, s3, 0
	;; [unrolled: 2-line block ×3, first 2 shown]
	s_cmp_eq_u64 s[14:15], 0
	s_cselect_b32 s19, s11, s17
	s_cselect_b32 s18, s7, s16
	s_load_dwordx2 s[14:15], s[18:19], 0x0
	s_load_dwordx2 s[16:17], s[2:3], 0x0
	v_sub_u16_e32 v20, v0, v9
	v_mov_b32_e32 v11, 0
	v_mov_b32_e32 v12, 0
	s_waitcnt lgkmcnt(0)
	v_mov_b32_e32 v9, s14
	v_mov_b32_e32 v10, s15
	v_cmp_ge_i64_e32 vcc, s[16:17], v[9:10]
	v_mov_b32_e32 v9, 0
	v_mov_b32_e32 v10, 0
	s_cbranch_vccnz .LBB545_10
; %bb.6:
	v_mov_b32_e32 v9, 15
	s_load_dwordx2 s[2:3], s[4:5], 0x48
	s_load_dwordx4 s[20:23], s[4:5], 0x38
	s_sub_u32 s4, s14, s10
	v_mul_lo_u16_sdwa v9, v13, v9 dst_sel:DWORD dst_unused:UNUSED_PAD src0_sel:WORD_1 src1_sel:DWORD
	s_subb_u32 s5, s15, 0
	v_mul_lo_u16_sdwa v9, v9, v14 dst_sel:DWORD dst_unused:UNUSED_PAD src0_sel:BYTE_1 src1_sel:DWORD
	v_sub_u16_sdwa v9, v13, v9 dst_sel:DWORD dst_unused:UNUSED_PAD src0_sel:WORD_1 src1_sel:DWORD
	s_sub_u32 s14, s16, s10
	v_and_b32_e32 v9, 0xff, v9
	s_subb_u32 s15, s17, 0
	v_cndmask_b32_e64 v13, v20, v9, s[0:1]
	s_mul_i32 s0, s15, 0xa20
	s_mul_hi_u32 s1, s14, 0xa20
	s_add_i32 s1, s1, s0
	s_mul_i32 s0, s14, 0xa20
	s_waitcnt lgkmcnt(0)
	s_add_u32 s0, s22, s0
	v_lshlrev_b32_e32 v9, 3, v0
	s_addc_u32 s1, s23, s1
	v_add_co_u32_e32 v14, vcc, s0, v9
	s_movk_i32 s0, 0x195
	v_mov_b32_e32 v10, s1
	v_mul_u32_u24_sdwa v9, v0, s0 dst_sel:DWORD dst_unused:UNUSED_PAD src0_sel:WORD_0 src1_sel:DWORD
	v_addc_co_u32_e32 v15, vcc, 0, v10, vcc
	v_lshrrev_b32_e32 v21, 17, v9
	v_mov_b32_e32 v9, s17
	v_add_co_u32_e32 v10, vcc, s16, v21
	v_addc_co_u32_e32 v11, vcc, 0, v9, vcc
	v_subrev_co_u32_e32 v9, vcc, s10, v10
	v_subbrev_co_u32_e32 v10, vcc, 0, v11, vcc
	v_lshlrev_b64 v[9:10], 2, v[9:10]
	v_mov_b32_e32 v11, s21
	v_add_co_u32_e32 v16, vcc, s20, v9
	v_addc_co_u32_e32 v17, vcc, v11, v10, vcc
	v_mov_b32_e32 v11, 0
	v_mov_b32_e32 v12, 0
	;; [unrolled: 1-line block ×6, first 2 shown]
	s_branch .LBB545_8
.LBB545_7:                              ;   in Loop: Header=BB545_8 Depth=1
	s_or_b64 exec, exec, s[0:1]
	s_add_u32 s14, s14, 1
	s_addc_u32 s15, s15, 0
	v_cmp_lt_i64_e32 vcc, s[14:15], v[18:19]
	v_add_co_u32_e64 v16, s[0:1], 4, v16
	v_addc_co_u32_e64 v17, s[0:1], 0, v17, s[0:1]
	s_cbranch_vccz .LBB545_10
.LBB545_8:                              ; =>This Inner Loop Header: Depth=1
	v_mov_b32_e32 v23, s15
	v_add_co_u32_e32 v22, vcc, s14, v21
	v_addc_co_u32_e32 v23, vcc, 0, v23, vcc
	v_cmp_gt_i64_e32 vcc, s[4:5], v[22:23]
	s_and_saveexec_b64 s[0:1], vcc
	s_cbranch_execz .LBB545_7
; %bb.9:                                ;   in Loop: Header=BB545_8 Depth=1
	global_load_dword v22, v[16:17], off
	global_load_dwordx2 v[26:27], v[14:15], off
	v_mov_b32_e32 v24, s3
	s_waitcnt vmcnt(1)
	v_subrev_u32_e32 v22, s10, v22
	v_mad_u64_u32 v[22:23], s[16:17], v22, 18, v[13:14]
	s_waitcnt vmcnt(0)
	v_cvt_f64_f32_e32 v[28:29], v26
	v_cvt_f64_f32_e32 v[26:27], v27
	v_ashrrev_i32_e32 v23, 31, v22
	v_lshlrev_b64 v[22:23], 4, v[22:23]
	v_add_co_u32_e32 v22, vcc, s2, v22
	v_addc_co_u32_e32 v23, vcc, v24, v23, vcc
	global_load_dwordx4 v[22:25], v[22:23], off
	v_add_co_u32_e32 v14, vcc, 0xa20, v14
	v_addc_co_u32_e32 v15, vcc, 0, v15, vcc
	s_waitcnt vmcnt(0)
	v_fma_f64 v[9:10], v[28:29], v[22:23], v[9:10]
	v_fma_f64 v[11:12], v[26:27], v[22:23], v[11:12]
	v_fma_f64 v[9:10], -v[26:27], v[24:25], v[9:10]
	v_fma_f64 v[11:12], v[28:29], v[24:25], v[11:12]
	s_branch .LBB545_7
.LBB545_10:
	v_lshlrev_b32_e32 v17, 4, v0
	s_and_b64 vcc, exec, s[12:13]
	ds_write_b128 v17, v[9:12]
	s_waitcnt lgkmcnt(0)
	s_barrier
	s_cbranch_vccz .LBB545_22
; %bb.11:
	v_cmp_gt_u16_e32 vcc, 2, v20
	s_and_saveexec_b64 s[0:1], vcc
	s_cbranch_execz .LBB545_13
; %bb.12:
	ds_read_b128 v[13:16], v17 offset:256
	ds_read_b128 v[21:24], v17
	s_waitcnt lgkmcnt(0)
	v_add_f64 v[13:14], v[13:14], v[21:22]
	v_add_f64 v[15:16], v[15:16], v[23:24]
	ds_write_b128 v17, v[13:16]
.LBB545_13:
	s_or_b64 exec, exec, s[0:1]
	v_cmp_gt_u16_e64 s[0:1], 8, v20
	s_waitcnt lgkmcnt(0)
	s_barrier
	s_and_saveexec_b64 s[2:3], s[0:1]
	s_cbranch_execz .LBB545_15
; %bb.14:
	ds_read_b128 v[13:16], v17 offset:128
	ds_read_b128 v[21:24], v17
	s_waitcnt lgkmcnt(0)
	v_add_f64 v[13:14], v[13:14], v[21:22]
	v_add_f64 v[15:16], v[15:16], v[23:24]
	ds_write_b128 v17, v[13:16]
.LBB545_15:
	s_or_b64 exec, exec, s[2:3]
	v_cmp_gt_u16_e64 s[0:1], 4, v20
	s_waitcnt lgkmcnt(0)
	s_barrier
	s_and_saveexec_b64 s[2:3], s[0:1]
	s_cbranch_execz .LBB545_17
; %bb.16:
	ds_read_b128 v[13:16], v17 offset:64
	ds_read_b128 v[18:21], v17
	s_waitcnt lgkmcnt(0)
	v_add_f64 v[13:14], v[13:14], v[18:19]
	v_add_f64 v[15:16], v[15:16], v[20:21]
	ds_write_b128 v17, v[13:16]
.LBB545_17:
	s_or_b64 exec, exec, s[2:3]
	s_waitcnt lgkmcnt(0)
	s_barrier
	s_and_saveexec_b64 s[0:1], vcc
	s_cbranch_execz .LBB545_19
; %bb.18:
	ds_read_b128 v[13:16], v17
	ds_read_b128 v[18:21], v17 offset:32
	s_waitcnt lgkmcnt(0)
	v_add_f64 v[13:14], v[18:19], v[13:14]
	v_add_f64 v[15:16], v[20:21], v[15:16]
	ds_write_b128 v17, v[13:16]
.LBB545_19:
	s_or_b64 exec, exec, s[0:1]
	v_mov_b32_e32 v16, v12
	v_mov_b32_e32 v14, v10
	v_cmp_gt_u32_e32 vcc, 18, v0
	v_mov_b32_e32 v15, v11
	v_mov_b32_e32 v13, v9
	s_waitcnt lgkmcnt(0)
	s_barrier
	s_and_saveexec_b64 s[0:1], vcc
	s_cbranch_execz .LBB545_21
; %bb.20:
	s_movk_i32 s2, 0x110
	v_mad_u32_u24 v18, v0, s2, v17
	ds_read_b128 v[13:16], v18
	ds_read_b128 v[18:21], v18 offset:16
	s_waitcnt lgkmcnt(0)
	v_add_f64 v[13:14], v[18:19], v[13:14]
	v_add_f64 v[15:16], v[20:21], v[15:16]
.LBB545_21:
	s_or_b64 exec, exec, s[0:1]
	s_branch .LBB545_34
.LBB545_22:
                                        ; implicit-def: $vgpr15_vgpr16
                                        ; implicit-def: $vgpr13_vgpr14
	s_cbranch_execz .LBB545_34
; %bb.23:
	v_cmp_gt_u32_e32 vcc, 36, v0
	s_and_saveexec_b64 s[0:1], vcc
	s_cbranch_execz .LBB545_25
; %bb.24:
	ds_read_b128 v[13:16], v17 offset:4608
	ds_read_b128 v[18:21], v17
	s_waitcnt lgkmcnt(0)
	v_add_f64 v[13:14], v[13:14], v[18:19]
	v_add_f64 v[15:16], v[15:16], v[20:21]
	ds_write_b128 v17, v[13:16]
.LBB545_25:
	s_or_b64 exec, exec, s[0:1]
	s_movk_i32 s0, 0x90
	v_cmp_gt_u32_e64 s[0:1], s0, v0
	s_waitcnt lgkmcnt(0)
	s_barrier
	s_and_saveexec_b64 s[2:3], s[0:1]
	s_cbranch_execz .LBB545_27
; %bb.26:
	ds_read_b128 v[13:16], v17 offset:2304
	ds_read_b128 v[18:21], v17
	s_waitcnt lgkmcnt(0)
	v_add_f64 v[13:14], v[13:14], v[18:19]
	v_add_f64 v[15:16], v[15:16], v[20:21]
	ds_write_b128 v17, v[13:16]
.LBB545_27:
	s_or_b64 exec, exec, s[2:3]
	s_movk_i32 s0, 0x48
	v_cmp_gt_u32_e64 s[0:1], s0, v0
	s_waitcnt lgkmcnt(0)
	s_barrier
	s_and_saveexec_b64 s[2:3], s[0:1]
	s_cbranch_execz .LBB545_29
; %bb.28:
	ds_read_b128 v[13:16], v17 offset:1152
	ds_read_b128 v[18:21], v17
	s_waitcnt lgkmcnt(0)
	v_add_f64 v[13:14], v[13:14], v[18:19]
	v_add_f64 v[15:16], v[15:16], v[20:21]
	ds_write_b128 v17, v[13:16]
.LBB545_29:
	s_or_b64 exec, exec, s[2:3]
	s_waitcnt lgkmcnt(0)
	s_barrier
	s_and_saveexec_b64 s[0:1], vcc
	s_cbranch_execz .LBB545_31
; %bb.30:
	ds_read_b128 v[13:16], v17 offset:576
	ds_read_b128 v[18:21], v17
	s_waitcnt lgkmcnt(0)
	v_add_f64 v[13:14], v[13:14], v[18:19]
	v_add_f64 v[15:16], v[15:16], v[20:21]
	ds_write_b128 v17, v[13:16]
.LBB545_31:
	s_or_b64 exec, exec, s[0:1]
	v_cmp_gt_u32_e32 vcc, 18, v0
	s_waitcnt lgkmcnt(0)
	s_and_saveexec_b64 s[0:1], vcc
	s_cbranch_execz .LBB545_33
; %bb.32:
	ds_read_b128 v[9:12], v17 offset:288
	ds_read_b128 v[13:16], v17
	s_waitcnt lgkmcnt(0)
	v_add_f64 v[9:10], v[9:10], v[13:14]
	v_add_f64 v[11:12], v[11:12], v[15:16]
.LBB545_33:
	s_or_b64 exec, exec, s[0:1]
	v_mov_b32_e32 v16, v12
	v_mov_b32_e32 v14, v10
	;; [unrolled: 1-line block ×4, first 2 shown]
.LBB545_34:
	v_cmp_gt_u32_e32 vcc, 18, v0
	s_and_b64 exec, exec, vcc
	s_cbranch_execz .LBB545_39
; %bb.35:
	v_mul_f64 v[9:10], v[15:16], -v[7:8]
	v_mul_f64 v[11:12], v[5:6], v[15:16]
	v_cmp_eq_f64_e32 vcc, 0, v[1:2]
	v_cmp_eq_f64_e64 s[0:1], 0, v[3:4]
	v_fma_f64 v[5:6], v[5:6], v[13:14], v[9:10]
	v_fma_f64 v[7:8], v[7:8], v[13:14], v[11:12]
	s_and_b64 s[0:1], vcc, s[0:1]
	s_and_saveexec_b64 s[2:3], s[0:1]
	s_xor_b64 s[0:1], exec, s[2:3]
	s_cbranch_execz .LBB545_37
; %bb.36:
	v_mad_u64_u32 v[0:1], s[2:3], s6, 18, v[0:1]
	v_mov_b32_e32 v1, 0
	v_mov_b32_e32 v2, s9
	v_lshlrev_b64 v[0:1], 4, v[0:1]
	v_add_co_u32_e32 v0, vcc, s8, v0
	v_addc_co_u32_e32 v1, vcc, v2, v1, vcc
	global_store_dwordx4 v[0:1], v[5:8], off
                                        ; implicit-def: $vgpr0
                                        ; implicit-def: $vgpr1_vgpr2
                                        ; implicit-def: $vgpr5_vgpr6
.LBB545_37:
	s_andn2_saveexec_b64 s[0:1], s[0:1]
	s_cbranch_execz .LBB545_39
; %bb.38:
	v_mad_u64_u32 v[9:10], s[0:1], s6, 18, v[0:1]
	v_mov_b32_e32 v10, 0
	v_mov_b32_e32 v0, s9
	v_lshlrev_b64 v[9:10], 4, v[9:10]
	v_add_co_u32_e32 v13, vcc, s8, v9
	v_addc_co_u32_e32 v14, vcc, v0, v10, vcc
	global_load_dwordx4 v[9:12], v[13:14], off
	s_waitcnt vmcnt(0)
	v_fma_f64 v[5:6], v[1:2], v[9:10], v[5:6]
	v_fma_f64 v[7:8], v[3:4], v[9:10], v[7:8]
	v_fma_f64 v[3:4], -v[3:4], v[11:12], v[5:6]
	v_fma_f64 v[5:6], v[1:2], v[11:12], v[7:8]
	global_store_dwordx4 v[13:14], v[3:6], off
.LBB545_39:
	s_endpgm
	.section	.rodata,"a",@progbits
	.p2align	6, 0x0
	.amdhsa_kernel _ZN9rocsparseL20bsrxmvn_17_32_kernelILj18E21rocsparse_complex_numIdEliS1_IfES2_S2_EEvT2_20rocsparse_direction_NS_24const_host_device_scalarIT0_EES4_PKS4_PKT1_SD_SA_PKT3_PKT4_S8_PT5_21rocsparse_index_base_b
		.amdhsa_group_segment_fixed_size 5184
		.amdhsa_private_segment_fixed_size 0
		.amdhsa_kernarg_size 112
		.amdhsa_user_sgpr_count 6
		.amdhsa_user_sgpr_private_segment_buffer 1
		.amdhsa_user_sgpr_dispatch_ptr 0
		.amdhsa_user_sgpr_queue_ptr 0
		.amdhsa_user_sgpr_kernarg_segment_ptr 1
		.amdhsa_user_sgpr_dispatch_id 0
		.amdhsa_user_sgpr_flat_scratch_init 0
		.amdhsa_user_sgpr_private_segment_size 0
		.amdhsa_uses_dynamic_stack 0
		.amdhsa_system_sgpr_private_segment_wavefront_offset 0
		.amdhsa_system_sgpr_workgroup_id_x 1
		.amdhsa_system_sgpr_workgroup_id_y 0
		.amdhsa_system_sgpr_workgroup_id_z 0
		.amdhsa_system_sgpr_workgroup_info 0
		.amdhsa_system_vgpr_workitem_id 0
		.amdhsa_next_free_vgpr 30
		.amdhsa_next_free_sgpr 61
		.amdhsa_reserve_vcc 1
		.amdhsa_reserve_flat_scratch 0
		.amdhsa_float_round_mode_32 0
		.amdhsa_float_round_mode_16_64 0
		.amdhsa_float_denorm_mode_32 3
		.amdhsa_float_denorm_mode_16_64 3
		.amdhsa_dx10_clamp 1
		.amdhsa_ieee_mode 1
		.amdhsa_fp16_overflow 0
		.amdhsa_exception_fp_ieee_invalid_op 0
		.amdhsa_exception_fp_denorm_src 0
		.amdhsa_exception_fp_ieee_div_zero 0
		.amdhsa_exception_fp_ieee_overflow 0
		.amdhsa_exception_fp_ieee_underflow 0
		.amdhsa_exception_fp_ieee_inexact 0
		.amdhsa_exception_int_div_zero 0
	.end_amdhsa_kernel
	.section	.text._ZN9rocsparseL20bsrxmvn_17_32_kernelILj18E21rocsparse_complex_numIdEliS1_IfES2_S2_EEvT2_20rocsparse_direction_NS_24const_host_device_scalarIT0_EES4_PKS4_PKT1_SD_SA_PKT3_PKT4_S8_PT5_21rocsparse_index_base_b,"axG",@progbits,_ZN9rocsparseL20bsrxmvn_17_32_kernelILj18E21rocsparse_complex_numIdEliS1_IfES2_S2_EEvT2_20rocsparse_direction_NS_24const_host_device_scalarIT0_EES4_PKS4_PKT1_SD_SA_PKT3_PKT4_S8_PT5_21rocsparse_index_base_b,comdat
.Lfunc_end545:
	.size	_ZN9rocsparseL20bsrxmvn_17_32_kernelILj18E21rocsparse_complex_numIdEliS1_IfES2_S2_EEvT2_20rocsparse_direction_NS_24const_host_device_scalarIT0_EES4_PKS4_PKT1_SD_SA_PKT3_PKT4_S8_PT5_21rocsparse_index_base_b, .Lfunc_end545-_ZN9rocsparseL20bsrxmvn_17_32_kernelILj18E21rocsparse_complex_numIdEliS1_IfES2_S2_EEvT2_20rocsparse_direction_NS_24const_host_device_scalarIT0_EES4_PKS4_PKT1_SD_SA_PKT3_PKT4_S8_PT5_21rocsparse_index_base_b
                                        ; -- End function
	.set _ZN9rocsparseL20bsrxmvn_17_32_kernelILj18E21rocsparse_complex_numIdEliS1_IfES2_S2_EEvT2_20rocsparse_direction_NS_24const_host_device_scalarIT0_EES4_PKS4_PKT1_SD_SA_PKT3_PKT4_S8_PT5_21rocsparse_index_base_b.num_vgpr, 30
	.set _ZN9rocsparseL20bsrxmvn_17_32_kernelILj18E21rocsparse_complex_numIdEliS1_IfES2_S2_EEvT2_20rocsparse_direction_NS_24const_host_device_scalarIT0_EES4_PKS4_PKT1_SD_SA_PKT3_PKT4_S8_PT5_21rocsparse_index_base_b.num_agpr, 0
	.set _ZN9rocsparseL20bsrxmvn_17_32_kernelILj18E21rocsparse_complex_numIdEliS1_IfES2_S2_EEvT2_20rocsparse_direction_NS_24const_host_device_scalarIT0_EES4_PKS4_PKT1_SD_SA_PKT3_PKT4_S8_PT5_21rocsparse_index_base_b.numbered_sgpr, 24
	.set _ZN9rocsparseL20bsrxmvn_17_32_kernelILj18E21rocsparse_complex_numIdEliS1_IfES2_S2_EEvT2_20rocsparse_direction_NS_24const_host_device_scalarIT0_EES4_PKS4_PKT1_SD_SA_PKT3_PKT4_S8_PT5_21rocsparse_index_base_b.num_named_barrier, 0
	.set _ZN9rocsparseL20bsrxmvn_17_32_kernelILj18E21rocsparse_complex_numIdEliS1_IfES2_S2_EEvT2_20rocsparse_direction_NS_24const_host_device_scalarIT0_EES4_PKS4_PKT1_SD_SA_PKT3_PKT4_S8_PT5_21rocsparse_index_base_b.private_seg_size, 0
	.set _ZN9rocsparseL20bsrxmvn_17_32_kernelILj18E21rocsparse_complex_numIdEliS1_IfES2_S2_EEvT2_20rocsparse_direction_NS_24const_host_device_scalarIT0_EES4_PKS4_PKT1_SD_SA_PKT3_PKT4_S8_PT5_21rocsparse_index_base_b.uses_vcc, 1
	.set _ZN9rocsparseL20bsrxmvn_17_32_kernelILj18E21rocsparse_complex_numIdEliS1_IfES2_S2_EEvT2_20rocsparse_direction_NS_24const_host_device_scalarIT0_EES4_PKS4_PKT1_SD_SA_PKT3_PKT4_S8_PT5_21rocsparse_index_base_b.uses_flat_scratch, 0
	.set _ZN9rocsparseL20bsrxmvn_17_32_kernelILj18E21rocsparse_complex_numIdEliS1_IfES2_S2_EEvT2_20rocsparse_direction_NS_24const_host_device_scalarIT0_EES4_PKS4_PKT1_SD_SA_PKT3_PKT4_S8_PT5_21rocsparse_index_base_b.has_dyn_sized_stack, 0
	.set _ZN9rocsparseL20bsrxmvn_17_32_kernelILj18E21rocsparse_complex_numIdEliS1_IfES2_S2_EEvT2_20rocsparse_direction_NS_24const_host_device_scalarIT0_EES4_PKS4_PKT1_SD_SA_PKT3_PKT4_S8_PT5_21rocsparse_index_base_b.has_recursion, 0
	.set _ZN9rocsparseL20bsrxmvn_17_32_kernelILj18E21rocsparse_complex_numIdEliS1_IfES2_S2_EEvT2_20rocsparse_direction_NS_24const_host_device_scalarIT0_EES4_PKS4_PKT1_SD_SA_PKT3_PKT4_S8_PT5_21rocsparse_index_base_b.has_indirect_call, 0
	.section	.AMDGPU.csdata,"",@progbits
; Kernel info:
; codeLenInByte = 1740
; TotalNumSgprs: 28
; NumVgprs: 30
; ScratchSize: 0
; MemoryBound: 0
; FloatMode: 240
; IeeeMode: 1
; LDSByteSize: 5184 bytes/workgroup (compile time only)
; SGPRBlocks: 8
; VGPRBlocks: 7
; NumSGPRsForWavesPerEU: 65
; NumVGPRsForWavesPerEU: 30
; Occupancy: 8
; WaveLimiterHint : 1
; COMPUTE_PGM_RSRC2:SCRATCH_EN: 0
; COMPUTE_PGM_RSRC2:USER_SGPR: 6
; COMPUTE_PGM_RSRC2:TRAP_HANDLER: 0
; COMPUTE_PGM_RSRC2:TGID_X_EN: 1
; COMPUTE_PGM_RSRC2:TGID_Y_EN: 0
; COMPUTE_PGM_RSRC2:TGID_Z_EN: 0
; COMPUTE_PGM_RSRC2:TIDIG_COMP_CNT: 0
	.section	.text._ZN9rocsparseL20bsrxmvn_17_32_kernelILj19E21rocsparse_complex_numIdEliS1_IfES2_S2_EEvT2_20rocsparse_direction_NS_24const_host_device_scalarIT0_EES4_PKS4_PKT1_SD_SA_PKT3_PKT4_S8_PT5_21rocsparse_index_base_b,"axG",@progbits,_ZN9rocsparseL20bsrxmvn_17_32_kernelILj19E21rocsparse_complex_numIdEliS1_IfES2_S2_EEvT2_20rocsparse_direction_NS_24const_host_device_scalarIT0_EES4_PKS4_PKT1_SD_SA_PKT3_PKT4_S8_PT5_21rocsparse_index_base_b,comdat
	.globl	_ZN9rocsparseL20bsrxmvn_17_32_kernelILj19E21rocsparse_complex_numIdEliS1_IfES2_S2_EEvT2_20rocsparse_direction_NS_24const_host_device_scalarIT0_EES4_PKS4_PKT1_SD_SA_PKT3_PKT4_S8_PT5_21rocsparse_index_base_b ; -- Begin function _ZN9rocsparseL20bsrxmvn_17_32_kernelILj19E21rocsparse_complex_numIdEliS1_IfES2_S2_EEvT2_20rocsparse_direction_NS_24const_host_device_scalarIT0_EES4_PKS4_PKT1_SD_SA_PKT3_PKT4_S8_PT5_21rocsparse_index_base_b
	.p2align	8
	.type	_ZN9rocsparseL20bsrxmvn_17_32_kernelILj19E21rocsparse_complex_numIdEliS1_IfES2_S2_EEvT2_20rocsparse_direction_NS_24const_host_device_scalarIT0_EES4_PKS4_PKT1_SD_SA_PKT3_PKT4_S8_PT5_21rocsparse_index_base_b,@function
_ZN9rocsparseL20bsrxmvn_17_32_kernelILj19E21rocsparse_complex_numIdEliS1_IfES2_S2_EEvT2_20rocsparse_direction_NS_24const_host_device_scalarIT0_EES4_PKS4_PKT1_SD_SA_PKT3_PKT4_S8_PT5_21rocsparse_index_base_b: ; @_ZN9rocsparseL20bsrxmvn_17_32_kernelILj19E21rocsparse_complex_numIdEliS1_IfES2_S2_EEvT2_20rocsparse_direction_NS_24const_host_device_scalarIT0_EES4_PKS4_PKT1_SD_SA_PKT3_PKT4_S8_PT5_21rocsparse_index_base_b
; %bb.0:
	s_load_dwordx2 s[0:1], s[4:5], 0x8
	s_load_dwordx2 s[10:11], s[4:5], 0x68
	s_add_u32 s7, s4, 8
	s_addc_u32 s8, s5, 0
	s_add_u32 s9, s4, 0x50
	s_addc_u32 s12, s5, 0
	s_waitcnt lgkmcnt(0)
	s_bitcmp1_b32 s11, 0
	s_cselect_b32 s1, s8, s1
	s_cselect_b32 s0, s7, s0
	v_mov_b32_e32 v1, s0
	v_mov_b32_e32 v2, s1
	flat_load_dwordx4 v[5:8], v[1:2]
	s_load_dwordx2 s[2:3], s[4:5], 0x50
	s_waitcnt lgkmcnt(0)
	s_cselect_b32 s0, s12, s3
	s_cselect_b32 s1, s9, s2
	v_mov_b32_e32 v1, s1
	v_mov_b32_e32 v2, s0
	flat_load_dwordx4 v[1:4], v[1:2]
	s_waitcnt vmcnt(0)
	v_cmp_eq_f64_e32 vcc, 0, v[5:6]
	v_cmp_eq_f64_e64 s[0:1], 0, v[7:8]
	s_and_b64 s[8:9], vcc, s[0:1]
	s_mov_b64 s[0:1], -1
	s_and_saveexec_b64 s[2:3], s[8:9]
	s_cbranch_execz .LBB546_2
; %bb.1:
	s_waitcnt lgkmcnt(0)
	v_cmp_neq_f64_e32 vcc, 1.0, v[1:2]
	v_cmp_neq_f64_e64 s[0:1], 0, v[3:4]
	s_or_b64 s[0:1], vcc, s[0:1]
	s_orn2_b64 s[0:1], s[0:1], exec
.LBB546_2:
	s_or_b64 exec, exec, s[2:3]
	s_and_saveexec_b64 s[2:3], s[0:1]
	s_cbranch_execz .LBB546_39
; %bb.3:
	s_load_dwordx4 s[0:3], s[4:5], 0x20
	s_load_dwordx2 s[14:15], s[4:5], 0x30
	s_waitcnt lgkmcnt(0)
	s_cmp_eq_u64 s[0:1], 0
	s_cbranch_scc1 .LBB546_5
; %bb.4:
	s_ashr_i32 s7, s6, 31
	s_lshl_b64 s[6:7], s[6:7], 2
	s_add_u32 s0, s0, s6
	s_addc_u32 s1, s1, s7
	s_load_dword s0, s[0:1], 0x0
	s_waitcnt lgkmcnt(0)
	s_sub_i32 s6, s0, s10
.LBB546_5:
	s_load_dword s7, s[4:5], 0x4
	s_load_dwordx2 s[8:9], s[4:5], 0x60
	v_mul_u32_u24_e32 v13, 0xd7a, v0
	v_mov_b32_e32 v14, 19
	v_mul_lo_u16_sdwa v9, v13, v14 dst_sel:DWORD dst_unused:UNUSED_PAD src0_sel:WORD_1 src1_sel:DWORD
	s_waitcnt lgkmcnt(0)
	s_cmp_eq_u32 s7, 1
	s_cselect_b64 s[0:1], -1, 0
	s_cmp_lg_u32 s7, 1
	s_cselect_b64 s[12:13], -1, 0
	s_ashr_i32 s7, s6, 31
	s_lshl_b64 s[16:17], s[6:7], 3
	s_add_u32 s2, s2, s16
	s_addc_u32 s3, s3, s17
	s_add_u32 s7, s2, 8
	s_addc_u32 s11, s3, 0
	;; [unrolled: 2-line block ×3, first 2 shown]
	s_cmp_eq_u64 s[14:15], 0
	s_cselect_b32 s19, s11, s17
	s_cselect_b32 s18, s7, s16
	s_load_dwordx2 s[14:15], s[18:19], 0x0
	s_load_dwordx2 s[16:17], s[2:3], 0x0
	v_sub_u16_e32 v20, v0, v9
	v_mov_b32_e32 v11, 0
	v_mov_b32_e32 v12, 0
	s_waitcnt lgkmcnt(0)
	v_mov_b32_e32 v9, s14
	v_mov_b32_e32 v10, s15
	v_cmp_ge_i64_e32 vcc, s[16:17], v[9:10]
	v_mov_b32_e32 v9, 0
	v_mov_b32_e32 v10, 0
	s_cbranch_vccnz .LBB546_10
; %bb.6:
	v_mov_b32_e32 v9, 14
	s_load_dwordx2 s[2:3], s[4:5], 0x48
	s_load_dwordx4 s[20:23], s[4:5], 0x38
	s_sub_u32 s4, s14, s10
	v_mul_lo_u16_sdwa v9, v13, v9 dst_sel:DWORD dst_unused:UNUSED_PAD src0_sel:WORD_1 src1_sel:DWORD
	s_subb_u32 s5, s15, 0
	v_mul_lo_u16_sdwa v9, v9, v14 dst_sel:DWORD dst_unused:UNUSED_PAD src0_sel:BYTE_1 src1_sel:DWORD
	v_sub_u16_sdwa v9, v13, v9 dst_sel:DWORD dst_unused:UNUSED_PAD src0_sel:WORD_1 src1_sel:DWORD
	s_sub_u32 s14, s16, s10
	v_and_b32_e32 v9, 0xff, v9
	s_subb_u32 s15, s17, 0
	v_cndmask_b32_e64 v13, v20, v9, s[0:1]
	s_mul_i32 s0, s15, 0xb48
	s_mul_hi_u32 s1, s14, 0xb48
	s_add_i32 s1, s1, s0
	s_mul_i32 s0, s14, 0xb48
	s_waitcnt lgkmcnt(0)
	s_add_u32 s0, s22, s0
	v_lshlrev_b32_e32 v9, 3, v0
	s_addc_u32 s1, s23, s1
	v_add_co_u32_e32 v14, vcc, s0, v9
	s_movk_i32 s0, 0xb6
	v_mov_b32_e32 v10, s1
	v_mul_u32_u24_sdwa v9, v0, s0 dst_sel:DWORD dst_unused:UNUSED_PAD src0_sel:WORD_0 src1_sel:DWORD
	v_addc_co_u32_e32 v15, vcc, 0, v10, vcc
	v_lshrrev_b32_e32 v21, 16, v9
	v_mov_b32_e32 v9, s17
	v_add_co_u32_e32 v10, vcc, s16, v21
	v_addc_co_u32_e32 v11, vcc, 0, v9, vcc
	v_subrev_co_u32_e32 v9, vcc, s10, v10
	v_subbrev_co_u32_e32 v10, vcc, 0, v11, vcc
	v_lshlrev_b64 v[9:10], 2, v[9:10]
	v_mov_b32_e32 v11, s21
	v_add_co_u32_e32 v16, vcc, s20, v9
	v_addc_co_u32_e32 v17, vcc, v11, v10, vcc
	v_mov_b32_e32 v11, 0
	v_mov_b32_e32 v12, 0
	;; [unrolled: 1-line block ×6, first 2 shown]
	s_branch .LBB546_8
.LBB546_7:                              ;   in Loop: Header=BB546_8 Depth=1
	s_or_b64 exec, exec, s[0:1]
	s_add_u32 s14, s14, 1
	s_addc_u32 s15, s15, 0
	v_cmp_lt_i64_e32 vcc, s[14:15], v[18:19]
	v_add_co_u32_e64 v16, s[0:1], 4, v16
	v_addc_co_u32_e64 v17, s[0:1], 0, v17, s[0:1]
	s_cbranch_vccz .LBB546_10
.LBB546_8:                              ; =>This Inner Loop Header: Depth=1
	v_mov_b32_e32 v23, s15
	v_add_co_u32_e32 v22, vcc, s14, v21
	v_addc_co_u32_e32 v23, vcc, 0, v23, vcc
	v_cmp_gt_i64_e32 vcc, s[4:5], v[22:23]
	s_and_saveexec_b64 s[0:1], vcc
	s_cbranch_execz .LBB546_7
; %bb.9:                                ;   in Loop: Header=BB546_8 Depth=1
	global_load_dword v22, v[16:17], off
	global_load_dwordx2 v[26:27], v[14:15], off
	v_mov_b32_e32 v24, s3
	s_waitcnt vmcnt(1)
	v_subrev_u32_e32 v22, s10, v22
	v_mad_u64_u32 v[22:23], s[16:17], v22, 19, v[13:14]
	s_waitcnt vmcnt(0)
	v_cvt_f64_f32_e32 v[28:29], v26
	v_cvt_f64_f32_e32 v[26:27], v27
	v_ashrrev_i32_e32 v23, 31, v22
	v_lshlrev_b64 v[22:23], 4, v[22:23]
	v_add_co_u32_e32 v22, vcc, s2, v22
	v_addc_co_u32_e32 v23, vcc, v24, v23, vcc
	global_load_dwordx4 v[22:25], v[22:23], off
	v_add_co_u32_e32 v14, vcc, 0xb48, v14
	v_addc_co_u32_e32 v15, vcc, 0, v15, vcc
	s_waitcnt vmcnt(0)
	v_fma_f64 v[9:10], v[28:29], v[22:23], v[9:10]
	v_fma_f64 v[11:12], v[26:27], v[22:23], v[11:12]
	v_fma_f64 v[9:10], -v[26:27], v[24:25], v[9:10]
	v_fma_f64 v[11:12], v[28:29], v[24:25], v[11:12]
	s_branch .LBB546_7
.LBB546_10:
	v_lshlrev_b32_e32 v17, 4, v0
	s_and_b64 vcc, exec, s[12:13]
	ds_write_b128 v17, v[9:12]
	s_waitcnt lgkmcnt(0)
	s_barrier
	s_cbranch_vccz .LBB546_22
; %bb.11:
	v_cmp_gt_u16_e32 vcc, 3, v20
	s_and_saveexec_b64 s[0:1], vcc
	s_cbranch_execz .LBB546_13
; %bb.12:
	ds_read_b128 v[13:16], v17 offset:256
	ds_read_b128 v[21:24], v17
	s_waitcnt lgkmcnt(0)
	v_add_f64 v[13:14], v[13:14], v[21:22]
	v_add_f64 v[15:16], v[15:16], v[23:24]
	ds_write_b128 v17, v[13:16]
.LBB546_13:
	s_or_b64 exec, exec, s[0:1]
	v_cmp_gt_u16_e32 vcc, 8, v20
	s_waitcnt lgkmcnt(0)
	s_barrier
	s_and_saveexec_b64 s[0:1], vcc
	s_cbranch_execz .LBB546_15
; %bb.14:
	ds_read_b128 v[13:16], v17 offset:128
	ds_read_b128 v[21:24], v17
	s_waitcnt lgkmcnt(0)
	v_add_f64 v[13:14], v[13:14], v[21:22]
	v_add_f64 v[15:16], v[15:16], v[23:24]
	ds_write_b128 v17, v[13:16]
.LBB546_15:
	s_or_b64 exec, exec, s[0:1]
	v_cmp_gt_u16_e32 vcc, 4, v20
	s_waitcnt lgkmcnt(0)
	s_barrier
	s_and_saveexec_b64 s[0:1], vcc
	s_cbranch_execz .LBB546_17
; %bb.16:
	ds_read_b128 v[13:16], v17 offset:64
	ds_read_b128 v[21:24], v17
	s_waitcnt lgkmcnt(0)
	v_add_f64 v[13:14], v[13:14], v[21:22]
	v_add_f64 v[15:16], v[15:16], v[23:24]
	ds_write_b128 v17, v[13:16]
.LBB546_17:
	s_or_b64 exec, exec, s[0:1]
	v_cmp_gt_u16_e32 vcc, 2, v20
	s_waitcnt lgkmcnt(0)
	s_barrier
	s_and_saveexec_b64 s[0:1], vcc
	s_cbranch_execz .LBB546_19
; %bb.18:
	ds_read_b128 v[13:16], v17
	ds_read_b128 v[18:21], v17 offset:32
	s_waitcnt lgkmcnt(0)
	v_add_f64 v[13:14], v[18:19], v[13:14]
	v_add_f64 v[15:16], v[20:21], v[15:16]
	ds_write_b128 v17, v[13:16]
.LBB546_19:
	s_or_b64 exec, exec, s[0:1]
	v_mov_b32_e32 v16, v12
	v_mov_b32_e32 v14, v10
	v_cmp_gt_u32_e32 vcc, 19, v0
	v_mov_b32_e32 v15, v11
	v_mov_b32_e32 v13, v9
	s_waitcnt lgkmcnt(0)
	s_barrier
	s_and_saveexec_b64 s[0:1], vcc
	s_cbranch_execz .LBB546_21
; %bb.20:
	s_movk_i32 s2, 0x120
	v_mad_u32_u24 v18, v0, s2, v17
	ds_read_b128 v[13:16], v18
	ds_read_b128 v[18:21], v18 offset:16
	s_waitcnt lgkmcnt(0)
	v_add_f64 v[13:14], v[18:19], v[13:14]
	v_add_f64 v[15:16], v[20:21], v[15:16]
.LBB546_21:
	s_or_b64 exec, exec, s[0:1]
	s_branch .LBB546_34
.LBB546_22:
                                        ; implicit-def: $vgpr15_vgpr16
                                        ; implicit-def: $vgpr13_vgpr14
	s_cbranch_execz .LBB546_34
; %bb.23:
	v_cmp_gt_u32_e32 vcc, 57, v0
	s_and_saveexec_b64 s[0:1], vcc
	s_cbranch_execz .LBB546_25
; %bb.24:
	ds_read_b128 v[13:16], v17 offset:4864
	ds_read_b128 v[18:21], v17
	s_waitcnt lgkmcnt(0)
	v_add_f64 v[13:14], v[13:14], v[18:19]
	v_add_f64 v[15:16], v[15:16], v[20:21]
	ds_write_b128 v17, v[13:16]
.LBB546_25:
	s_or_b64 exec, exec, s[0:1]
	s_movk_i32 s0, 0x98
	v_cmp_gt_u32_e32 vcc, s0, v0
	s_waitcnt lgkmcnt(0)
	s_barrier
	s_and_saveexec_b64 s[0:1], vcc
	s_cbranch_execz .LBB546_27
; %bb.26:
	ds_read_b128 v[13:16], v17 offset:2432
	ds_read_b128 v[18:21], v17
	s_waitcnt lgkmcnt(0)
	v_add_f64 v[13:14], v[13:14], v[18:19]
	v_add_f64 v[15:16], v[15:16], v[20:21]
	ds_write_b128 v17, v[13:16]
.LBB546_27:
	s_or_b64 exec, exec, s[0:1]
	s_movk_i32 s0, 0x4c
	v_cmp_gt_u32_e32 vcc, s0, v0
	s_waitcnt lgkmcnt(0)
	s_barrier
	s_and_saveexec_b64 s[0:1], vcc
	s_cbranch_execz .LBB546_29
; %bb.28:
	ds_read_b128 v[13:16], v17 offset:1216
	ds_read_b128 v[18:21], v17
	s_waitcnt lgkmcnt(0)
	v_add_f64 v[13:14], v[13:14], v[18:19]
	v_add_f64 v[15:16], v[15:16], v[20:21]
	ds_write_b128 v17, v[13:16]
.LBB546_29:
	s_or_b64 exec, exec, s[0:1]
	v_cmp_gt_u32_e32 vcc, 38, v0
	s_waitcnt lgkmcnt(0)
	s_barrier
	s_and_saveexec_b64 s[0:1], vcc
	s_cbranch_execz .LBB546_31
; %bb.30:
	ds_read_b128 v[13:16], v17 offset:608
	ds_read_b128 v[18:21], v17
	s_waitcnt lgkmcnt(0)
	v_add_f64 v[13:14], v[13:14], v[18:19]
	v_add_f64 v[15:16], v[15:16], v[20:21]
	ds_write_b128 v17, v[13:16]
.LBB546_31:
	s_or_b64 exec, exec, s[0:1]
	v_cmp_gt_u32_e32 vcc, 19, v0
	s_waitcnt lgkmcnt(0)
	s_and_saveexec_b64 s[0:1], vcc
	s_cbranch_execz .LBB546_33
; %bb.32:
	ds_read_b128 v[9:12], v17 offset:304
	ds_read_b128 v[13:16], v17
	s_waitcnt lgkmcnt(0)
	v_add_f64 v[9:10], v[9:10], v[13:14]
	v_add_f64 v[11:12], v[11:12], v[15:16]
.LBB546_33:
	s_or_b64 exec, exec, s[0:1]
	v_mov_b32_e32 v16, v12
	v_mov_b32_e32 v14, v10
	;; [unrolled: 1-line block ×4, first 2 shown]
.LBB546_34:
	v_cmp_gt_u32_e32 vcc, 19, v0
	s_and_b64 exec, exec, vcc
	s_cbranch_execz .LBB546_39
; %bb.35:
	v_mul_f64 v[9:10], v[15:16], -v[7:8]
	v_mul_f64 v[11:12], v[5:6], v[15:16]
	v_cmp_eq_f64_e32 vcc, 0, v[1:2]
	v_cmp_eq_f64_e64 s[0:1], 0, v[3:4]
	v_fma_f64 v[5:6], v[5:6], v[13:14], v[9:10]
	v_fma_f64 v[7:8], v[7:8], v[13:14], v[11:12]
	s_and_b64 s[0:1], vcc, s[0:1]
	s_and_saveexec_b64 s[2:3], s[0:1]
	s_xor_b64 s[0:1], exec, s[2:3]
	s_cbranch_execz .LBB546_37
; %bb.36:
	v_mad_u64_u32 v[0:1], s[2:3], s6, 19, v[0:1]
	v_mov_b32_e32 v1, 0
	v_mov_b32_e32 v2, s9
	v_lshlrev_b64 v[0:1], 4, v[0:1]
	v_add_co_u32_e32 v0, vcc, s8, v0
	v_addc_co_u32_e32 v1, vcc, v2, v1, vcc
	global_store_dwordx4 v[0:1], v[5:8], off
                                        ; implicit-def: $vgpr0
                                        ; implicit-def: $vgpr1_vgpr2
                                        ; implicit-def: $vgpr5_vgpr6
.LBB546_37:
	s_andn2_saveexec_b64 s[0:1], s[0:1]
	s_cbranch_execz .LBB546_39
; %bb.38:
	v_mad_u64_u32 v[9:10], s[0:1], s6, 19, v[0:1]
	v_mov_b32_e32 v10, 0
	v_mov_b32_e32 v0, s9
	v_lshlrev_b64 v[9:10], 4, v[9:10]
	v_add_co_u32_e32 v13, vcc, s8, v9
	v_addc_co_u32_e32 v14, vcc, v0, v10, vcc
	global_load_dwordx4 v[9:12], v[13:14], off
	s_waitcnt vmcnt(0)
	v_fma_f64 v[5:6], v[1:2], v[9:10], v[5:6]
	v_fma_f64 v[7:8], v[3:4], v[9:10], v[7:8]
	v_fma_f64 v[3:4], -v[3:4], v[11:12], v[5:6]
	v_fma_f64 v[5:6], v[1:2], v[11:12], v[7:8]
	global_store_dwordx4 v[13:14], v[3:6], off
.LBB546_39:
	s_endpgm
	.section	.rodata,"a",@progbits
	.p2align	6, 0x0
	.amdhsa_kernel _ZN9rocsparseL20bsrxmvn_17_32_kernelILj19E21rocsparse_complex_numIdEliS1_IfES2_S2_EEvT2_20rocsparse_direction_NS_24const_host_device_scalarIT0_EES4_PKS4_PKT1_SD_SA_PKT3_PKT4_S8_PT5_21rocsparse_index_base_b
		.amdhsa_group_segment_fixed_size 5776
		.amdhsa_private_segment_fixed_size 0
		.amdhsa_kernarg_size 112
		.amdhsa_user_sgpr_count 6
		.amdhsa_user_sgpr_private_segment_buffer 1
		.amdhsa_user_sgpr_dispatch_ptr 0
		.amdhsa_user_sgpr_queue_ptr 0
		.amdhsa_user_sgpr_kernarg_segment_ptr 1
		.amdhsa_user_sgpr_dispatch_id 0
		.amdhsa_user_sgpr_flat_scratch_init 0
		.amdhsa_user_sgpr_private_segment_size 0
		.amdhsa_uses_dynamic_stack 0
		.amdhsa_system_sgpr_private_segment_wavefront_offset 0
		.amdhsa_system_sgpr_workgroup_id_x 1
		.amdhsa_system_sgpr_workgroup_id_y 0
		.amdhsa_system_sgpr_workgroup_id_z 0
		.amdhsa_system_sgpr_workgroup_info 0
		.amdhsa_system_vgpr_workitem_id 0
		.amdhsa_next_free_vgpr 30
		.amdhsa_next_free_sgpr 61
		.amdhsa_reserve_vcc 1
		.amdhsa_reserve_flat_scratch 0
		.amdhsa_float_round_mode_32 0
		.amdhsa_float_round_mode_16_64 0
		.amdhsa_float_denorm_mode_32 3
		.amdhsa_float_denorm_mode_16_64 3
		.amdhsa_dx10_clamp 1
		.amdhsa_ieee_mode 1
		.amdhsa_fp16_overflow 0
		.amdhsa_exception_fp_ieee_invalid_op 0
		.amdhsa_exception_fp_denorm_src 0
		.amdhsa_exception_fp_ieee_div_zero 0
		.amdhsa_exception_fp_ieee_overflow 0
		.amdhsa_exception_fp_ieee_underflow 0
		.amdhsa_exception_fp_ieee_inexact 0
		.amdhsa_exception_int_div_zero 0
	.end_amdhsa_kernel
	.section	.text._ZN9rocsparseL20bsrxmvn_17_32_kernelILj19E21rocsparse_complex_numIdEliS1_IfES2_S2_EEvT2_20rocsparse_direction_NS_24const_host_device_scalarIT0_EES4_PKS4_PKT1_SD_SA_PKT3_PKT4_S8_PT5_21rocsparse_index_base_b,"axG",@progbits,_ZN9rocsparseL20bsrxmvn_17_32_kernelILj19E21rocsparse_complex_numIdEliS1_IfES2_S2_EEvT2_20rocsparse_direction_NS_24const_host_device_scalarIT0_EES4_PKS4_PKT1_SD_SA_PKT3_PKT4_S8_PT5_21rocsparse_index_base_b,comdat
.Lfunc_end546:
	.size	_ZN9rocsparseL20bsrxmvn_17_32_kernelILj19E21rocsparse_complex_numIdEliS1_IfES2_S2_EEvT2_20rocsparse_direction_NS_24const_host_device_scalarIT0_EES4_PKS4_PKT1_SD_SA_PKT3_PKT4_S8_PT5_21rocsparse_index_base_b, .Lfunc_end546-_ZN9rocsparseL20bsrxmvn_17_32_kernelILj19E21rocsparse_complex_numIdEliS1_IfES2_S2_EEvT2_20rocsparse_direction_NS_24const_host_device_scalarIT0_EES4_PKS4_PKT1_SD_SA_PKT3_PKT4_S8_PT5_21rocsparse_index_base_b
                                        ; -- End function
	.set _ZN9rocsparseL20bsrxmvn_17_32_kernelILj19E21rocsparse_complex_numIdEliS1_IfES2_S2_EEvT2_20rocsparse_direction_NS_24const_host_device_scalarIT0_EES4_PKS4_PKT1_SD_SA_PKT3_PKT4_S8_PT5_21rocsparse_index_base_b.num_vgpr, 30
	.set _ZN9rocsparseL20bsrxmvn_17_32_kernelILj19E21rocsparse_complex_numIdEliS1_IfES2_S2_EEvT2_20rocsparse_direction_NS_24const_host_device_scalarIT0_EES4_PKS4_PKT1_SD_SA_PKT3_PKT4_S8_PT5_21rocsparse_index_base_b.num_agpr, 0
	.set _ZN9rocsparseL20bsrxmvn_17_32_kernelILj19E21rocsparse_complex_numIdEliS1_IfES2_S2_EEvT2_20rocsparse_direction_NS_24const_host_device_scalarIT0_EES4_PKS4_PKT1_SD_SA_PKT3_PKT4_S8_PT5_21rocsparse_index_base_b.numbered_sgpr, 24
	.set _ZN9rocsparseL20bsrxmvn_17_32_kernelILj19E21rocsparse_complex_numIdEliS1_IfES2_S2_EEvT2_20rocsparse_direction_NS_24const_host_device_scalarIT0_EES4_PKS4_PKT1_SD_SA_PKT3_PKT4_S8_PT5_21rocsparse_index_base_b.num_named_barrier, 0
	.set _ZN9rocsparseL20bsrxmvn_17_32_kernelILj19E21rocsparse_complex_numIdEliS1_IfES2_S2_EEvT2_20rocsparse_direction_NS_24const_host_device_scalarIT0_EES4_PKS4_PKT1_SD_SA_PKT3_PKT4_S8_PT5_21rocsparse_index_base_b.private_seg_size, 0
	.set _ZN9rocsparseL20bsrxmvn_17_32_kernelILj19E21rocsparse_complex_numIdEliS1_IfES2_S2_EEvT2_20rocsparse_direction_NS_24const_host_device_scalarIT0_EES4_PKS4_PKT1_SD_SA_PKT3_PKT4_S8_PT5_21rocsparse_index_base_b.uses_vcc, 1
	.set _ZN9rocsparseL20bsrxmvn_17_32_kernelILj19E21rocsparse_complex_numIdEliS1_IfES2_S2_EEvT2_20rocsparse_direction_NS_24const_host_device_scalarIT0_EES4_PKS4_PKT1_SD_SA_PKT3_PKT4_S8_PT5_21rocsparse_index_base_b.uses_flat_scratch, 0
	.set _ZN9rocsparseL20bsrxmvn_17_32_kernelILj19E21rocsparse_complex_numIdEliS1_IfES2_S2_EEvT2_20rocsparse_direction_NS_24const_host_device_scalarIT0_EES4_PKS4_PKT1_SD_SA_PKT3_PKT4_S8_PT5_21rocsparse_index_base_b.has_dyn_sized_stack, 0
	.set _ZN9rocsparseL20bsrxmvn_17_32_kernelILj19E21rocsparse_complex_numIdEliS1_IfES2_S2_EEvT2_20rocsparse_direction_NS_24const_host_device_scalarIT0_EES4_PKS4_PKT1_SD_SA_PKT3_PKT4_S8_PT5_21rocsparse_index_base_b.has_recursion, 0
	.set _ZN9rocsparseL20bsrxmvn_17_32_kernelILj19E21rocsparse_complex_numIdEliS1_IfES2_S2_EEvT2_20rocsparse_direction_NS_24const_host_device_scalarIT0_EES4_PKS4_PKT1_SD_SA_PKT3_PKT4_S8_PT5_21rocsparse_index_base_b.has_indirect_call, 0
	.section	.AMDGPU.csdata,"",@progbits
; Kernel info:
; codeLenInByte = 1732
; TotalNumSgprs: 28
; NumVgprs: 30
; ScratchSize: 0
; MemoryBound: 0
; FloatMode: 240
; IeeeMode: 1
; LDSByteSize: 5776 bytes/workgroup (compile time only)
; SGPRBlocks: 8
; VGPRBlocks: 7
; NumSGPRsForWavesPerEU: 65
; NumVGPRsForWavesPerEU: 30
; Occupancy: 8
; WaveLimiterHint : 1
; COMPUTE_PGM_RSRC2:SCRATCH_EN: 0
; COMPUTE_PGM_RSRC2:USER_SGPR: 6
; COMPUTE_PGM_RSRC2:TRAP_HANDLER: 0
; COMPUTE_PGM_RSRC2:TGID_X_EN: 1
; COMPUTE_PGM_RSRC2:TGID_Y_EN: 0
; COMPUTE_PGM_RSRC2:TGID_Z_EN: 0
; COMPUTE_PGM_RSRC2:TIDIG_COMP_CNT: 0
	.section	.text._ZN9rocsparseL20bsrxmvn_17_32_kernelILj20E21rocsparse_complex_numIdEliS1_IfES2_S2_EEvT2_20rocsparse_direction_NS_24const_host_device_scalarIT0_EES4_PKS4_PKT1_SD_SA_PKT3_PKT4_S8_PT5_21rocsparse_index_base_b,"axG",@progbits,_ZN9rocsparseL20bsrxmvn_17_32_kernelILj20E21rocsparse_complex_numIdEliS1_IfES2_S2_EEvT2_20rocsparse_direction_NS_24const_host_device_scalarIT0_EES4_PKS4_PKT1_SD_SA_PKT3_PKT4_S8_PT5_21rocsparse_index_base_b,comdat
	.globl	_ZN9rocsparseL20bsrxmvn_17_32_kernelILj20E21rocsparse_complex_numIdEliS1_IfES2_S2_EEvT2_20rocsparse_direction_NS_24const_host_device_scalarIT0_EES4_PKS4_PKT1_SD_SA_PKT3_PKT4_S8_PT5_21rocsparse_index_base_b ; -- Begin function _ZN9rocsparseL20bsrxmvn_17_32_kernelILj20E21rocsparse_complex_numIdEliS1_IfES2_S2_EEvT2_20rocsparse_direction_NS_24const_host_device_scalarIT0_EES4_PKS4_PKT1_SD_SA_PKT3_PKT4_S8_PT5_21rocsparse_index_base_b
	.p2align	8
	.type	_ZN9rocsparseL20bsrxmvn_17_32_kernelILj20E21rocsparse_complex_numIdEliS1_IfES2_S2_EEvT2_20rocsparse_direction_NS_24const_host_device_scalarIT0_EES4_PKS4_PKT1_SD_SA_PKT3_PKT4_S8_PT5_21rocsparse_index_base_b,@function
_ZN9rocsparseL20bsrxmvn_17_32_kernelILj20E21rocsparse_complex_numIdEliS1_IfES2_S2_EEvT2_20rocsparse_direction_NS_24const_host_device_scalarIT0_EES4_PKS4_PKT1_SD_SA_PKT3_PKT4_S8_PT5_21rocsparse_index_base_b: ; @_ZN9rocsparseL20bsrxmvn_17_32_kernelILj20E21rocsparse_complex_numIdEliS1_IfES2_S2_EEvT2_20rocsparse_direction_NS_24const_host_device_scalarIT0_EES4_PKS4_PKT1_SD_SA_PKT3_PKT4_S8_PT5_21rocsparse_index_base_b
; %bb.0:
	s_load_dwordx2 s[0:1], s[4:5], 0x8
	s_load_dwordx2 s[10:11], s[4:5], 0x68
	s_add_u32 s7, s4, 8
	s_addc_u32 s8, s5, 0
	s_add_u32 s9, s4, 0x50
	s_addc_u32 s12, s5, 0
	s_waitcnt lgkmcnt(0)
	s_bitcmp1_b32 s11, 0
	s_cselect_b32 s1, s8, s1
	s_cselect_b32 s0, s7, s0
	v_mov_b32_e32 v1, s0
	v_mov_b32_e32 v2, s1
	flat_load_dwordx4 v[5:8], v[1:2]
	s_load_dwordx2 s[2:3], s[4:5], 0x50
	s_waitcnt lgkmcnt(0)
	s_cselect_b32 s0, s12, s3
	s_cselect_b32 s1, s9, s2
	v_mov_b32_e32 v1, s1
	v_mov_b32_e32 v2, s0
	flat_load_dwordx4 v[1:4], v[1:2]
	s_waitcnt vmcnt(0)
	v_cmp_eq_f64_e32 vcc, 0, v[5:6]
	v_cmp_eq_f64_e64 s[0:1], 0, v[7:8]
	s_and_b64 s[8:9], vcc, s[0:1]
	s_mov_b64 s[0:1], -1
	s_and_saveexec_b64 s[2:3], s[8:9]
	s_cbranch_execz .LBB547_2
; %bb.1:
	s_waitcnt lgkmcnt(0)
	v_cmp_neq_f64_e32 vcc, 1.0, v[1:2]
	v_cmp_neq_f64_e64 s[0:1], 0, v[3:4]
	s_or_b64 s[0:1], vcc, s[0:1]
	s_orn2_b64 s[0:1], s[0:1], exec
.LBB547_2:
	s_or_b64 exec, exec, s[2:3]
	s_and_saveexec_b64 s[2:3], s[0:1]
	s_cbranch_execz .LBB547_39
; %bb.3:
	s_load_dwordx4 s[0:3], s[4:5], 0x20
	s_load_dwordx2 s[14:15], s[4:5], 0x30
	s_waitcnt lgkmcnt(0)
	s_cmp_eq_u64 s[0:1], 0
	s_cbranch_scc1 .LBB547_5
; %bb.4:
	s_ashr_i32 s7, s6, 31
	s_lshl_b64 s[6:7], s[6:7], 2
	s_add_u32 s0, s0, s6
	s_addc_u32 s1, s1, s7
	s_load_dword s0, s[0:1], 0x0
	s_waitcnt lgkmcnt(0)
	s_sub_i32 s6, s0, s10
.LBB547_5:
	s_load_dword s7, s[4:5], 0x4
	s_load_dwordx2 s[8:9], s[4:5], 0x60
	v_mul_u32_u24_e32 v13, 0xccd, v0
	v_mov_b32_e32 v14, 20
	v_mul_lo_u16_sdwa v9, v13, v14 dst_sel:DWORD dst_unused:UNUSED_PAD src0_sel:WORD_1 src1_sel:DWORD
	s_waitcnt lgkmcnt(0)
	s_cmp_eq_u32 s7, 1
	s_cselect_b64 s[0:1], -1, 0
	s_cmp_lg_u32 s7, 1
	s_cselect_b64 s[12:13], -1, 0
	s_ashr_i32 s7, s6, 31
	s_lshl_b64 s[16:17], s[6:7], 3
	s_add_u32 s2, s2, s16
	s_addc_u32 s3, s3, s17
	s_add_u32 s7, s2, 8
	s_addc_u32 s11, s3, 0
	;; [unrolled: 2-line block ×3, first 2 shown]
	s_cmp_eq_u64 s[14:15], 0
	s_cselect_b32 s19, s11, s17
	s_cselect_b32 s18, s7, s16
	s_load_dwordx2 s[14:15], s[18:19], 0x0
	s_load_dwordx2 s[16:17], s[2:3], 0x0
	v_sub_u16_e32 v20, v0, v9
	v_mov_b32_e32 v11, 0
	v_mov_b32_e32 v12, 0
	s_waitcnt lgkmcnt(0)
	v_mov_b32_e32 v9, s14
	v_mov_b32_e32 v10, s15
	v_cmp_ge_i64_e32 vcc, s[16:17], v[9:10]
	v_mov_b32_e32 v9, 0
	v_mov_b32_e32 v10, 0
	s_cbranch_vccnz .LBB547_10
; %bb.6:
	v_mov_b32_e32 v9, 13
	s_load_dwordx2 s[2:3], s[4:5], 0x48
	s_load_dwordx4 s[20:23], s[4:5], 0x38
	s_sub_u32 s4, s14, s10
	v_mul_lo_u16_sdwa v9, v13, v9 dst_sel:DWORD dst_unused:UNUSED_PAD src0_sel:WORD_1 src1_sel:DWORD
	s_subb_u32 s5, s15, 0
	v_mul_lo_u16_sdwa v9, v9, v14 dst_sel:DWORD dst_unused:UNUSED_PAD src0_sel:BYTE_1 src1_sel:DWORD
	v_sub_u16_sdwa v9, v13, v9 dst_sel:DWORD dst_unused:UNUSED_PAD src0_sel:WORD_1 src1_sel:DWORD
	s_sub_u32 s14, s16, s10
	v_and_b32_e32 v9, 0xff, v9
	s_subb_u32 s15, s17, 0
	v_cndmask_b32_e64 v13, v20, v9, s[0:1]
	s_mul_i32 s0, s15, 0xc80
	s_mul_hi_u32 s1, s14, 0xc80
	s_add_i32 s1, s1, s0
	s_mul_i32 s0, s14, 0xc80
	s_waitcnt lgkmcnt(0)
	s_add_u32 s0, s22, s0
	v_lshlrev_b32_e32 v9, 3, v0
	s_addc_u32 s1, s23, s1
	v_add_co_u32_e32 v14, vcc, s0, v9
	s_movk_i32 s0, 0xa4
	v_mov_b32_e32 v10, s1
	v_mul_u32_u24_sdwa v9, v0, s0 dst_sel:DWORD dst_unused:UNUSED_PAD src0_sel:WORD_0 src1_sel:DWORD
	v_addc_co_u32_e32 v15, vcc, 0, v10, vcc
	v_lshrrev_b32_e32 v21, 16, v9
	v_mov_b32_e32 v9, s17
	v_add_co_u32_e32 v10, vcc, s16, v21
	v_addc_co_u32_e32 v11, vcc, 0, v9, vcc
	v_subrev_co_u32_e32 v9, vcc, s10, v10
	v_subbrev_co_u32_e32 v10, vcc, 0, v11, vcc
	v_lshlrev_b64 v[9:10], 2, v[9:10]
	v_mov_b32_e32 v11, s21
	v_add_co_u32_e32 v16, vcc, s20, v9
	v_addc_co_u32_e32 v17, vcc, v11, v10, vcc
	v_mov_b32_e32 v11, 0
	v_mov_b32_e32 v12, 0
	;; [unrolled: 1-line block ×6, first 2 shown]
	s_branch .LBB547_8
.LBB547_7:                              ;   in Loop: Header=BB547_8 Depth=1
	s_or_b64 exec, exec, s[0:1]
	s_add_u32 s14, s14, 1
	s_addc_u32 s15, s15, 0
	v_cmp_lt_i64_e32 vcc, s[14:15], v[18:19]
	v_add_co_u32_e64 v16, s[0:1], 4, v16
	v_addc_co_u32_e64 v17, s[0:1], 0, v17, s[0:1]
	s_cbranch_vccz .LBB547_10
.LBB547_8:                              ; =>This Inner Loop Header: Depth=1
	v_mov_b32_e32 v23, s15
	v_add_co_u32_e32 v22, vcc, s14, v21
	v_addc_co_u32_e32 v23, vcc, 0, v23, vcc
	v_cmp_gt_i64_e32 vcc, s[4:5], v[22:23]
	s_and_saveexec_b64 s[0:1], vcc
	s_cbranch_execz .LBB547_7
; %bb.9:                                ;   in Loop: Header=BB547_8 Depth=1
	global_load_dword v22, v[16:17], off
	global_load_dwordx2 v[26:27], v[14:15], off
	v_mov_b32_e32 v24, s3
	s_waitcnt vmcnt(1)
	v_subrev_u32_e32 v22, s10, v22
	v_mad_u64_u32 v[22:23], s[16:17], v22, 20, v[13:14]
	s_waitcnt vmcnt(0)
	v_cvt_f64_f32_e32 v[28:29], v26
	v_cvt_f64_f32_e32 v[26:27], v27
	v_ashrrev_i32_e32 v23, 31, v22
	v_lshlrev_b64 v[22:23], 4, v[22:23]
	v_add_co_u32_e32 v22, vcc, s2, v22
	v_addc_co_u32_e32 v23, vcc, v24, v23, vcc
	global_load_dwordx4 v[22:25], v[22:23], off
	v_add_co_u32_e32 v14, vcc, 0xc80, v14
	v_addc_co_u32_e32 v15, vcc, 0, v15, vcc
	s_waitcnt vmcnt(0)
	v_fma_f64 v[9:10], v[28:29], v[22:23], v[9:10]
	v_fma_f64 v[11:12], v[26:27], v[22:23], v[11:12]
	v_fma_f64 v[9:10], -v[26:27], v[24:25], v[9:10]
	v_fma_f64 v[11:12], v[28:29], v[24:25], v[11:12]
	s_branch .LBB547_7
.LBB547_10:
	v_lshlrev_b32_e32 v17, 4, v0
	s_and_b64 vcc, exec, s[12:13]
	ds_write_b128 v17, v[9:12]
	s_waitcnt lgkmcnt(0)
	s_barrier
	s_cbranch_vccz .LBB547_22
; %bb.11:
	v_cmp_gt_u16_e32 vcc, 4, v20
	s_and_saveexec_b64 s[0:1], vcc
	s_cbranch_execz .LBB547_13
; %bb.12:
	ds_read_b128 v[13:16], v17 offset:256
	ds_read_b128 v[21:24], v17
	s_waitcnt lgkmcnt(0)
	v_add_f64 v[13:14], v[13:14], v[21:22]
	v_add_f64 v[15:16], v[15:16], v[23:24]
	ds_write_b128 v17, v[13:16]
.LBB547_13:
	s_or_b64 exec, exec, s[0:1]
	v_cmp_gt_u16_e64 s[0:1], 8, v20
	s_waitcnt lgkmcnt(0)
	s_barrier
	s_and_saveexec_b64 s[2:3], s[0:1]
	s_cbranch_execz .LBB547_15
; %bb.14:
	ds_read_b128 v[13:16], v17 offset:128
	ds_read_b128 v[21:24], v17
	s_waitcnt lgkmcnt(0)
	v_add_f64 v[13:14], v[13:14], v[21:22]
	v_add_f64 v[15:16], v[15:16], v[23:24]
	ds_write_b128 v17, v[13:16]
.LBB547_15:
	s_or_b64 exec, exec, s[2:3]
	s_waitcnt lgkmcnt(0)
	s_barrier
	s_and_saveexec_b64 s[0:1], vcc
	s_cbranch_execz .LBB547_17
; %bb.16:
	ds_read_b128 v[13:16], v17 offset:64
	ds_read_b128 v[21:24], v17
	s_waitcnt lgkmcnt(0)
	v_add_f64 v[13:14], v[13:14], v[21:22]
	v_add_f64 v[15:16], v[15:16], v[23:24]
	ds_write_b128 v17, v[13:16]
.LBB547_17:
	s_or_b64 exec, exec, s[0:1]
	v_cmp_gt_u16_e32 vcc, 2, v20
	s_waitcnt lgkmcnt(0)
	s_barrier
	s_and_saveexec_b64 s[0:1], vcc
	s_cbranch_execz .LBB547_19
; %bb.18:
	ds_read_b128 v[13:16], v17
	ds_read_b128 v[18:21], v17 offset:32
	s_waitcnt lgkmcnt(0)
	v_add_f64 v[13:14], v[18:19], v[13:14]
	v_add_f64 v[15:16], v[20:21], v[15:16]
	ds_write_b128 v17, v[13:16]
.LBB547_19:
	s_or_b64 exec, exec, s[0:1]
	v_mov_b32_e32 v16, v12
	v_mov_b32_e32 v14, v10
	v_cmp_gt_u32_e32 vcc, 20, v0
	v_mov_b32_e32 v15, v11
	v_mov_b32_e32 v13, v9
	s_waitcnt lgkmcnt(0)
	s_barrier
	s_and_saveexec_b64 s[0:1], vcc
	s_cbranch_execz .LBB547_21
; %bb.20:
	s_movk_i32 s2, 0x130
	v_mad_u32_u24 v18, v0, s2, v17
	ds_read_b128 v[13:16], v18
	ds_read_b128 v[18:21], v18 offset:16
	s_waitcnt lgkmcnt(0)
	v_add_f64 v[13:14], v[18:19], v[13:14]
	v_add_f64 v[15:16], v[20:21], v[15:16]
.LBB547_21:
	s_or_b64 exec, exec, s[0:1]
	s_branch .LBB547_34
.LBB547_22:
                                        ; implicit-def: $vgpr15_vgpr16
                                        ; implicit-def: $vgpr13_vgpr14
	s_cbranch_execz .LBB547_34
; %bb.23:
	s_movk_i32 s0, 0x50
	v_cmp_gt_u32_e32 vcc, s0, v0
	s_and_saveexec_b64 s[0:1], vcc
	s_cbranch_execz .LBB547_25
; %bb.24:
	ds_read_b128 v[13:16], v17 offset:5120
	ds_read_b128 v[18:21], v17
	s_waitcnt lgkmcnt(0)
	v_add_f64 v[13:14], v[13:14], v[18:19]
	v_add_f64 v[15:16], v[15:16], v[20:21]
	ds_write_b128 v17, v[13:16]
.LBB547_25:
	s_or_b64 exec, exec, s[0:1]
	s_movk_i32 s0, 0xa0
	v_cmp_gt_u32_e64 s[0:1], s0, v0
	s_waitcnt lgkmcnt(0)
	s_barrier
	s_and_saveexec_b64 s[2:3], s[0:1]
	s_cbranch_execz .LBB547_27
; %bb.26:
	ds_read_b128 v[13:16], v17 offset:2560
	ds_read_b128 v[18:21], v17
	s_waitcnt lgkmcnt(0)
	v_add_f64 v[13:14], v[13:14], v[18:19]
	v_add_f64 v[15:16], v[15:16], v[20:21]
	ds_write_b128 v17, v[13:16]
.LBB547_27:
	s_or_b64 exec, exec, s[2:3]
	s_waitcnt lgkmcnt(0)
	s_barrier
	s_and_saveexec_b64 s[0:1], vcc
	s_cbranch_execz .LBB547_29
; %bb.28:
	ds_read_b128 v[13:16], v17 offset:1280
	ds_read_b128 v[18:21], v17
	s_waitcnt lgkmcnt(0)
	v_add_f64 v[13:14], v[13:14], v[18:19]
	v_add_f64 v[15:16], v[15:16], v[20:21]
	ds_write_b128 v17, v[13:16]
.LBB547_29:
	s_or_b64 exec, exec, s[0:1]
	v_cmp_gt_u32_e32 vcc, 40, v0
	s_waitcnt lgkmcnt(0)
	s_barrier
	s_and_saveexec_b64 s[0:1], vcc
	s_cbranch_execz .LBB547_31
; %bb.30:
	ds_read_b128 v[13:16], v17 offset:640
	ds_read_b128 v[18:21], v17
	s_waitcnt lgkmcnt(0)
	v_add_f64 v[13:14], v[13:14], v[18:19]
	v_add_f64 v[15:16], v[15:16], v[20:21]
	ds_write_b128 v17, v[13:16]
.LBB547_31:
	s_or_b64 exec, exec, s[0:1]
	v_cmp_gt_u32_e32 vcc, 20, v0
	s_waitcnt lgkmcnt(0)
	s_and_saveexec_b64 s[0:1], vcc
	s_cbranch_execz .LBB547_33
; %bb.32:
	ds_read_b128 v[9:12], v17 offset:320
	ds_read_b128 v[13:16], v17
	s_waitcnt lgkmcnt(0)
	v_add_f64 v[9:10], v[9:10], v[13:14]
	v_add_f64 v[11:12], v[11:12], v[15:16]
.LBB547_33:
	s_or_b64 exec, exec, s[0:1]
	v_mov_b32_e32 v16, v12
	v_mov_b32_e32 v14, v10
	;; [unrolled: 1-line block ×4, first 2 shown]
.LBB547_34:
	v_cmp_gt_u32_e32 vcc, 20, v0
	s_and_b64 exec, exec, vcc
	s_cbranch_execz .LBB547_39
; %bb.35:
	v_mul_f64 v[9:10], v[15:16], -v[7:8]
	v_mul_f64 v[11:12], v[5:6], v[15:16]
	v_cmp_eq_f64_e32 vcc, 0, v[1:2]
	v_cmp_eq_f64_e64 s[0:1], 0, v[3:4]
	v_fma_f64 v[5:6], v[5:6], v[13:14], v[9:10]
	v_fma_f64 v[7:8], v[7:8], v[13:14], v[11:12]
	s_and_b64 s[0:1], vcc, s[0:1]
	s_and_saveexec_b64 s[2:3], s[0:1]
	s_xor_b64 s[0:1], exec, s[2:3]
	s_cbranch_execz .LBB547_37
; %bb.36:
	v_mad_u64_u32 v[0:1], s[2:3], s6, 20, v[0:1]
	v_mov_b32_e32 v1, 0
	v_mov_b32_e32 v2, s9
	v_lshlrev_b64 v[0:1], 4, v[0:1]
	v_add_co_u32_e32 v0, vcc, s8, v0
	v_addc_co_u32_e32 v1, vcc, v2, v1, vcc
	global_store_dwordx4 v[0:1], v[5:8], off
                                        ; implicit-def: $vgpr0
                                        ; implicit-def: $vgpr1_vgpr2
                                        ; implicit-def: $vgpr5_vgpr6
.LBB547_37:
	s_andn2_saveexec_b64 s[0:1], s[0:1]
	s_cbranch_execz .LBB547_39
; %bb.38:
	v_mad_u64_u32 v[9:10], s[0:1], s6, 20, v[0:1]
	v_mov_b32_e32 v10, 0
	v_mov_b32_e32 v0, s9
	v_lshlrev_b64 v[9:10], 4, v[9:10]
	v_add_co_u32_e32 v13, vcc, s8, v9
	v_addc_co_u32_e32 v14, vcc, v0, v10, vcc
	global_load_dwordx4 v[9:12], v[13:14], off
	s_waitcnt vmcnt(0)
	v_fma_f64 v[5:6], v[1:2], v[9:10], v[5:6]
	v_fma_f64 v[7:8], v[3:4], v[9:10], v[7:8]
	v_fma_f64 v[3:4], -v[3:4], v[11:12], v[5:6]
	v_fma_f64 v[5:6], v[1:2], v[11:12], v[7:8]
	global_store_dwordx4 v[13:14], v[3:6], off
.LBB547_39:
	s_endpgm
	.section	.rodata,"a",@progbits
	.p2align	6, 0x0
	.amdhsa_kernel _ZN9rocsparseL20bsrxmvn_17_32_kernelILj20E21rocsparse_complex_numIdEliS1_IfES2_S2_EEvT2_20rocsparse_direction_NS_24const_host_device_scalarIT0_EES4_PKS4_PKT1_SD_SA_PKT3_PKT4_S8_PT5_21rocsparse_index_base_b
		.amdhsa_group_segment_fixed_size 6400
		.amdhsa_private_segment_fixed_size 0
		.amdhsa_kernarg_size 112
		.amdhsa_user_sgpr_count 6
		.amdhsa_user_sgpr_private_segment_buffer 1
		.amdhsa_user_sgpr_dispatch_ptr 0
		.amdhsa_user_sgpr_queue_ptr 0
		.amdhsa_user_sgpr_kernarg_segment_ptr 1
		.amdhsa_user_sgpr_dispatch_id 0
		.amdhsa_user_sgpr_flat_scratch_init 0
		.amdhsa_user_sgpr_private_segment_size 0
		.amdhsa_uses_dynamic_stack 0
		.amdhsa_system_sgpr_private_segment_wavefront_offset 0
		.amdhsa_system_sgpr_workgroup_id_x 1
		.amdhsa_system_sgpr_workgroup_id_y 0
		.amdhsa_system_sgpr_workgroup_id_z 0
		.amdhsa_system_sgpr_workgroup_info 0
		.amdhsa_system_vgpr_workitem_id 0
		.amdhsa_next_free_vgpr 30
		.amdhsa_next_free_sgpr 61
		.amdhsa_reserve_vcc 1
		.amdhsa_reserve_flat_scratch 0
		.amdhsa_float_round_mode_32 0
		.amdhsa_float_round_mode_16_64 0
		.amdhsa_float_denorm_mode_32 3
		.amdhsa_float_denorm_mode_16_64 3
		.amdhsa_dx10_clamp 1
		.amdhsa_ieee_mode 1
		.amdhsa_fp16_overflow 0
		.amdhsa_exception_fp_ieee_invalid_op 0
		.amdhsa_exception_fp_denorm_src 0
		.amdhsa_exception_fp_ieee_div_zero 0
		.amdhsa_exception_fp_ieee_overflow 0
		.amdhsa_exception_fp_ieee_underflow 0
		.amdhsa_exception_fp_ieee_inexact 0
		.amdhsa_exception_int_div_zero 0
	.end_amdhsa_kernel
	.section	.text._ZN9rocsparseL20bsrxmvn_17_32_kernelILj20E21rocsparse_complex_numIdEliS1_IfES2_S2_EEvT2_20rocsparse_direction_NS_24const_host_device_scalarIT0_EES4_PKS4_PKT1_SD_SA_PKT3_PKT4_S8_PT5_21rocsparse_index_base_b,"axG",@progbits,_ZN9rocsparseL20bsrxmvn_17_32_kernelILj20E21rocsparse_complex_numIdEliS1_IfES2_S2_EEvT2_20rocsparse_direction_NS_24const_host_device_scalarIT0_EES4_PKS4_PKT1_SD_SA_PKT3_PKT4_S8_PT5_21rocsparse_index_base_b,comdat
.Lfunc_end547:
	.size	_ZN9rocsparseL20bsrxmvn_17_32_kernelILj20E21rocsparse_complex_numIdEliS1_IfES2_S2_EEvT2_20rocsparse_direction_NS_24const_host_device_scalarIT0_EES4_PKS4_PKT1_SD_SA_PKT3_PKT4_S8_PT5_21rocsparse_index_base_b, .Lfunc_end547-_ZN9rocsparseL20bsrxmvn_17_32_kernelILj20E21rocsparse_complex_numIdEliS1_IfES2_S2_EEvT2_20rocsparse_direction_NS_24const_host_device_scalarIT0_EES4_PKS4_PKT1_SD_SA_PKT3_PKT4_S8_PT5_21rocsparse_index_base_b
                                        ; -- End function
	.set _ZN9rocsparseL20bsrxmvn_17_32_kernelILj20E21rocsparse_complex_numIdEliS1_IfES2_S2_EEvT2_20rocsparse_direction_NS_24const_host_device_scalarIT0_EES4_PKS4_PKT1_SD_SA_PKT3_PKT4_S8_PT5_21rocsparse_index_base_b.num_vgpr, 30
	.set _ZN9rocsparseL20bsrxmvn_17_32_kernelILj20E21rocsparse_complex_numIdEliS1_IfES2_S2_EEvT2_20rocsparse_direction_NS_24const_host_device_scalarIT0_EES4_PKS4_PKT1_SD_SA_PKT3_PKT4_S8_PT5_21rocsparse_index_base_b.num_agpr, 0
	.set _ZN9rocsparseL20bsrxmvn_17_32_kernelILj20E21rocsparse_complex_numIdEliS1_IfES2_S2_EEvT2_20rocsparse_direction_NS_24const_host_device_scalarIT0_EES4_PKS4_PKT1_SD_SA_PKT3_PKT4_S8_PT5_21rocsparse_index_base_b.numbered_sgpr, 24
	.set _ZN9rocsparseL20bsrxmvn_17_32_kernelILj20E21rocsparse_complex_numIdEliS1_IfES2_S2_EEvT2_20rocsparse_direction_NS_24const_host_device_scalarIT0_EES4_PKS4_PKT1_SD_SA_PKT3_PKT4_S8_PT5_21rocsparse_index_base_b.num_named_barrier, 0
	.set _ZN9rocsparseL20bsrxmvn_17_32_kernelILj20E21rocsparse_complex_numIdEliS1_IfES2_S2_EEvT2_20rocsparse_direction_NS_24const_host_device_scalarIT0_EES4_PKS4_PKT1_SD_SA_PKT3_PKT4_S8_PT5_21rocsparse_index_base_b.private_seg_size, 0
	.set _ZN9rocsparseL20bsrxmvn_17_32_kernelILj20E21rocsparse_complex_numIdEliS1_IfES2_S2_EEvT2_20rocsparse_direction_NS_24const_host_device_scalarIT0_EES4_PKS4_PKT1_SD_SA_PKT3_PKT4_S8_PT5_21rocsparse_index_base_b.uses_vcc, 1
	.set _ZN9rocsparseL20bsrxmvn_17_32_kernelILj20E21rocsparse_complex_numIdEliS1_IfES2_S2_EEvT2_20rocsparse_direction_NS_24const_host_device_scalarIT0_EES4_PKS4_PKT1_SD_SA_PKT3_PKT4_S8_PT5_21rocsparse_index_base_b.uses_flat_scratch, 0
	.set _ZN9rocsparseL20bsrxmvn_17_32_kernelILj20E21rocsparse_complex_numIdEliS1_IfES2_S2_EEvT2_20rocsparse_direction_NS_24const_host_device_scalarIT0_EES4_PKS4_PKT1_SD_SA_PKT3_PKT4_S8_PT5_21rocsparse_index_base_b.has_dyn_sized_stack, 0
	.set _ZN9rocsparseL20bsrxmvn_17_32_kernelILj20E21rocsparse_complex_numIdEliS1_IfES2_S2_EEvT2_20rocsparse_direction_NS_24const_host_device_scalarIT0_EES4_PKS4_PKT1_SD_SA_PKT3_PKT4_S8_PT5_21rocsparse_index_base_b.has_recursion, 0
	.set _ZN9rocsparseL20bsrxmvn_17_32_kernelILj20E21rocsparse_complex_numIdEliS1_IfES2_S2_EEvT2_20rocsparse_direction_NS_24const_host_device_scalarIT0_EES4_PKS4_PKT1_SD_SA_PKT3_PKT4_S8_PT5_21rocsparse_index_base_b.has_indirect_call, 0
	.section	.AMDGPU.csdata,"",@progbits
; Kernel info:
; codeLenInByte = 1732
; TotalNumSgprs: 28
; NumVgprs: 30
; ScratchSize: 0
; MemoryBound: 0
; FloatMode: 240
; IeeeMode: 1
; LDSByteSize: 6400 bytes/workgroup (compile time only)
; SGPRBlocks: 8
; VGPRBlocks: 7
; NumSGPRsForWavesPerEU: 65
; NumVGPRsForWavesPerEU: 30
; Occupancy: 8
; WaveLimiterHint : 1
; COMPUTE_PGM_RSRC2:SCRATCH_EN: 0
; COMPUTE_PGM_RSRC2:USER_SGPR: 6
; COMPUTE_PGM_RSRC2:TRAP_HANDLER: 0
; COMPUTE_PGM_RSRC2:TGID_X_EN: 1
; COMPUTE_PGM_RSRC2:TGID_Y_EN: 0
; COMPUTE_PGM_RSRC2:TGID_Z_EN: 0
; COMPUTE_PGM_RSRC2:TIDIG_COMP_CNT: 0
	.section	.text._ZN9rocsparseL20bsrxmvn_17_32_kernelILj21E21rocsparse_complex_numIdEliS1_IfES2_S2_EEvT2_20rocsparse_direction_NS_24const_host_device_scalarIT0_EES4_PKS4_PKT1_SD_SA_PKT3_PKT4_S8_PT5_21rocsparse_index_base_b,"axG",@progbits,_ZN9rocsparseL20bsrxmvn_17_32_kernelILj21E21rocsparse_complex_numIdEliS1_IfES2_S2_EEvT2_20rocsparse_direction_NS_24const_host_device_scalarIT0_EES4_PKS4_PKT1_SD_SA_PKT3_PKT4_S8_PT5_21rocsparse_index_base_b,comdat
	.globl	_ZN9rocsparseL20bsrxmvn_17_32_kernelILj21E21rocsparse_complex_numIdEliS1_IfES2_S2_EEvT2_20rocsparse_direction_NS_24const_host_device_scalarIT0_EES4_PKS4_PKT1_SD_SA_PKT3_PKT4_S8_PT5_21rocsparse_index_base_b ; -- Begin function _ZN9rocsparseL20bsrxmvn_17_32_kernelILj21E21rocsparse_complex_numIdEliS1_IfES2_S2_EEvT2_20rocsparse_direction_NS_24const_host_device_scalarIT0_EES4_PKS4_PKT1_SD_SA_PKT3_PKT4_S8_PT5_21rocsparse_index_base_b
	.p2align	8
	.type	_ZN9rocsparseL20bsrxmvn_17_32_kernelILj21E21rocsparse_complex_numIdEliS1_IfES2_S2_EEvT2_20rocsparse_direction_NS_24const_host_device_scalarIT0_EES4_PKS4_PKT1_SD_SA_PKT3_PKT4_S8_PT5_21rocsparse_index_base_b,@function
_ZN9rocsparseL20bsrxmvn_17_32_kernelILj21E21rocsparse_complex_numIdEliS1_IfES2_S2_EEvT2_20rocsparse_direction_NS_24const_host_device_scalarIT0_EES4_PKS4_PKT1_SD_SA_PKT3_PKT4_S8_PT5_21rocsparse_index_base_b: ; @_ZN9rocsparseL20bsrxmvn_17_32_kernelILj21E21rocsparse_complex_numIdEliS1_IfES2_S2_EEvT2_20rocsparse_direction_NS_24const_host_device_scalarIT0_EES4_PKS4_PKT1_SD_SA_PKT3_PKT4_S8_PT5_21rocsparse_index_base_b
; %bb.0:
	s_load_dwordx2 s[0:1], s[4:5], 0x8
	s_load_dwordx2 s[14:15], s[4:5], 0x68
	s_add_u32 s7, s4, 8
	s_addc_u32 s8, s5, 0
	s_add_u32 s9, s4, 0x50
	s_addc_u32 s10, s5, 0
	s_waitcnt lgkmcnt(0)
	s_bitcmp1_b32 s15, 0
	s_cselect_b32 s1, s8, s1
	s_cselect_b32 s0, s7, s0
	v_mov_b32_e32 v1, s0
	v_mov_b32_e32 v2, s1
	flat_load_dwordx4 v[5:8], v[1:2]
	s_load_dwordx2 s[2:3], s[4:5], 0x50
	s_waitcnt lgkmcnt(0)
	s_cselect_b32 s0, s10, s3
	s_cselect_b32 s1, s9, s2
	v_mov_b32_e32 v1, s1
	v_mov_b32_e32 v2, s0
	flat_load_dwordx4 v[1:4], v[1:2]
	s_waitcnt vmcnt(0)
	v_cmp_eq_f64_e32 vcc, 0, v[5:6]
	v_cmp_eq_f64_e64 s[0:1], 0, v[7:8]
	s_and_b64 s[8:9], vcc, s[0:1]
	s_mov_b64 s[0:1], -1
	s_and_saveexec_b64 s[2:3], s[8:9]
	s_cbranch_execz .LBB548_2
; %bb.1:
	s_waitcnt lgkmcnt(0)
	v_cmp_neq_f64_e32 vcc, 1.0, v[1:2]
	v_cmp_neq_f64_e64 s[0:1], 0, v[3:4]
	s_or_b64 s[0:1], vcc, s[0:1]
	s_orn2_b64 s[0:1], s[0:1], exec
.LBB548_2:
	s_or_b64 exec, exec, s[2:3]
	s_and_saveexec_b64 s[2:3], s[0:1]
	s_cbranch_execz .LBB548_39
; %bb.3:
	s_load_dwordx4 s[0:3], s[4:5], 0x20
	s_load_dwordx2 s[8:9], s[4:5], 0x30
	s_waitcnt lgkmcnt(0)
	s_cmp_eq_u64 s[0:1], 0
	s_cbranch_scc1 .LBB548_5
; %bb.4:
	s_ashr_i32 s7, s6, 31
	s_lshl_b64 s[6:7], s[6:7], 2
	s_add_u32 s0, s0, s6
	s_addc_u32 s1, s1, s7
	s_load_dword s0, s[0:1], 0x0
	s_waitcnt lgkmcnt(0)
	s_sub_i32 s6, s0, s14
.LBB548_5:
	s_load_dword s7, s[4:5], 0x4
	s_load_dwordx2 s[12:13], s[4:5], 0x60
	v_mul_u32_u24_e32 v13, 0xc31, v0
	v_mov_b32_e32 v9, 21
	v_mul_lo_u16_sdwa v9, v13, v9 dst_sel:DWORD dst_unused:UNUSED_PAD src0_sel:WORD_1 src1_sel:DWORD
	s_waitcnt lgkmcnt(0)
	s_cmp_eq_u32 s7, 1
	s_cselect_b64 s[0:1], -1, 0
	s_cmp_lg_u32 s7, 1
	s_cselect_b64 s[16:17], -1, 0
	s_ashr_i32 s7, s6, 31
	s_lshl_b64 s[10:11], s[6:7], 3
	s_add_u32 s2, s2, s10
	s_addc_u32 s3, s3, s11
	s_add_u32 s7, s2, 8
	s_addc_u32 s15, s3, 0
	;; [unrolled: 2-line block ×3, first 2 shown]
	s_cmp_eq_u64 s[8:9], 0
	s_cselect_b32 s9, s15, s11
	s_cselect_b32 s8, s7, s10
	s_load_dwordx2 s[18:19], s[8:9], 0x0
	s_load_dwordx2 s[20:21], s[2:3], 0x0
	v_sub_u16_e32 v20, v0, v9
	v_mov_b32_e32 v11, 0
	v_mov_b32_e32 v12, 0
	s_waitcnt lgkmcnt(0)
	v_mov_b32_e32 v9, s18
	v_mov_b32_e32 v10, s19
	v_cmp_ge_i64_e32 vcc, s[20:21], v[9:10]
	v_mov_b32_e32 v9, 0
	v_mov_b32_e32 v10, 0
	s_cbranch_vccnz .LBB548_10
; %bb.6:
	v_mov_b32_e32 v9, 25
	v_mul_lo_u16_sdwa v9, v13, v9 dst_sel:DWORD dst_unused:UNUSED_PAD src0_sel:WORD_1 src1_sel:DWORD
	s_load_dwordx2 s[2:3], s[4:5], 0x48
	s_load_dwordx4 s[8:11], s[4:5], 0x38
	s_sub_u32 s4, s18, s14
	v_lshrrev_b16_e32 v9, 9, v9
	s_subb_u32 s5, s19, 0
	v_mul_lo_u16_e32 v9, 21, v9
	v_sub_u16_sdwa v9, v13, v9 dst_sel:DWORD dst_unused:UNUSED_PAD src0_sel:WORD_1 src1_sel:DWORD
	s_sub_u32 s18, s20, s14
	v_and_b32_e32 v9, 0xff, v9
	s_subb_u32 s19, s21, 0
	v_cndmask_b32_e64 v13, v20, v9, s[0:1]
	s_mul_i32 s0, s19, 0xdc8
	s_mul_hi_u32 s1, s18, 0xdc8
	s_add_i32 s1, s1, s0
	s_mul_i32 s0, s18, 0xdc8
	s_waitcnt lgkmcnt(0)
	s_add_u32 s0, s10, s0
	v_lshlrev_b32_e32 v9, 3, v0
	s_addc_u32 s1, s11, s1
	v_add_co_u32_e32 v14, vcc, s0, v9
	s_movk_i32 s0, 0x253
	v_mov_b32_e32 v10, s1
	v_mul_u32_u24_sdwa v9, v0, s0 dst_sel:DWORD dst_unused:UNUSED_PAD src0_sel:WORD_0 src1_sel:DWORD
	v_addc_co_u32_e32 v15, vcc, 0, v10, vcc
	v_lshrrev_b32_e32 v21, 18, v9
	v_mov_b32_e32 v9, s21
	v_add_co_u32_e32 v10, vcc, s20, v21
	v_addc_co_u32_e32 v11, vcc, 0, v9, vcc
	v_subrev_co_u32_e32 v9, vcc, s14, v10
	v_subbrev_co_u32_e32 v10, vcc, 0, v11, vcc
	v_lshlrev_b64 v[9:10], 2, v[9:10]
	v_mov_b32_e32 v11, s9
	v_add_co_u32_e32 v16, vcc, s8, v9
	v_addc_co_u32_e32 v17, vcc, v11, v10, vcc
	v_mov_b32_e32 v11, 0
	v_mov_b32_e32 v12, 0
	;; [unrolled: 1-line block ×6, first 2 shown]
	s_branch .LBB548_8
.LBB548_7:                              ;   in Loop: Header=BB548_8 Depth=1
	s_or_b64 exec, exec, s[0:1]
	s_add_u32 s18, s18, 1
	s_addc_u32 s19, s19, 0
	v_cmp_lt_i64_e32 vcc, s[18:19], v[18:19]
	v_add_co_u32_e64 v16, s[0:1], 4, v16
	v_addc_co_u32_e64 v17, s[0:1], 0, v17, s[0:1]
	s_cbranch_vccz .LBB548_10
.LBB548_8:                              ; =>This Inner Loop Header: Depth=1
	v_mov_b32_e32 v23, s19
	v_add_co_u32_e32 v22, vcc, s18, v21
	v_addc_co_u32_e32 v23, vcc, 0, v23, vcc
	v_cmp_gt_i64_e32 vcc, s[4:5], v[22:23]
	s_and_saveexec_b64 s[0:1], vcc
	s_cbranch_execz .LBB548_7
; %bb.9:                                ;   in Loop: Header=BB548_8 Depth=1
	global_load_dword v22, v[16:17], off
	global_load_dwordx2 v[26:27], v[14:15], off
	v_mov_b32_e32 v24, s3
	s_waitcnt vmcnt(1)
	v_subrev_u32_e32 v22, s14, v22
	v_mad_u64_u32 v[22:23], s[8:9], v22, 21, v[13:14]
	s_waitcnt vmcnt(0)
	v_cvt_f64_f32_e32 v[28:29], v26
	v_cvt_f64_f32_e32 v[26:27], v27
	v_ashrrev_i32_e32 v23, 31, v22
	v_lshlrev_b64 v[22:23], 4, v[22:23]
	v_add_co_u32_e32 v22, vcc, s2, v22
	v_addc_co_u32_e32 v23, vcc, v24, v23, vcc
	global_load_dwordx4 v[22:25], v[22:23], off
	v_add_co_u32_e32 v14, vcc, 0xdc8, v14
	v_addc_co_u32_e32 v15, vcc, 0, v15, vcc
	s_waitcnt vmcnt(0)
	v_fma_f64 v[9:10], v[28:29], v[22:23], v[9:10]
	v_fma_f64 v[11:12], v[26:27], v[22:23], v[11:12]
	v_fma_f64 v[9:10], -v[26:27], v[24:25], v[9:10]
	v_fma_f64 v[11:12], v[28:29], v[24:25], v[11:12]
	s_branch .LBB548_7
.LBB548_10:
	v_lshlrev_b32_e32 v17, 4, v0
	s_and_b64 vcc, exec, s[16:17]
	ds_write_b128 v17, v[9:12]
	s_waitcnt lgkmcnt(0)
	s_barrier
	s_cbranch_vccz .LBB548_22
; %bb.11:
	v_cmp_gt_u16_e32 vcc, 5, v20
	s_and_saveexec_b64 s[0:1], vcc
	s_cbranch_execz .LBB548_13
; %bb.12:
	ds_read_b128 v[13:16], v17 offset:256
	ds_read_b128 v[21:24], v17
	s_waitcnt lgkmcnt(0)
	v_add_f64 v[13:14], v[13:14], v[21:22]
	v_add_f64 v[15:16], v[15:16], v[23:24]
	ds_write_b128 v17, v[13:16]
.LBB548_13:
	s_or_b64 exec, exec, s[0:1]
	v_cmp_gt_u16_e32 vcc, 8, v20
	s_waitcnt lgkmcnt(0)
	s_barrier
	s_and_saveexec_b64 s[0:1], vcc
	s_cbranch_execz .LBB548_15
; %bb.14:
	ds_read_b128 v[13:16], v17 offset:128
	ds_read_b128 v[21:24], v17
	s_waitcnt lgkmcnt(0)
	v_add_f64 v[13:14], v[13:14], v[21:22]
	v_add_f64 v[15:16], v[15:16], v[23:24]
	ds_write_b128 v17, v[13:16]
.LBB548_15:
	s_or_b64 exec, exec, s[0:1]
	v_cmp_gt_u16_e32 vcc, 4, v20
	s_waitcnt lgkmcnt(0)
	s_barrier
	;; [unrolled: 14-line block ×3, first 2 shown]
	s_and_saveexec_b64 s[0:1], vcc
	s_cbranch_execz .LBB548_19
; %bb.18:
	ds_read_b128 v[13:16], v17
	ds_read_b128 v[18:21], v17 offset:32
	s_waitcnt lgkmcnt(0)
	v_add_f64 v[13:14], v[18:19], v[13:14]
	v_add_f64 v[15:16], v[20:21], v[15:16]
	ds_write_b128 v17, v[13:16]
.LBB548_19:
	s_or_b64 exec, exec, s[0:1]
	v_mov_b32_e32 v16, v12
	v_mov_b32_e32 v14, v10
	v_cmp_gt_u32_e32 vcc, 21, v0
	v_mov_b32_e32 v15, v11
	v_mov_b32_e32 v13, v9
	s_waitcnt lgkmcnt(0)
	s_barrier
	s_and_saveexec_b64 s[0:1], vcc
	s_cbranch_execz .LBB548_21
; %bb.20:
	s_movk_i32 s2, 0x140
	v_mad_u32_u24 v18, v0, s2, v17
	ds_read_b128 v[13:16], v18
	ds_read_b128 v[18:21], v18 offset:16
	s_waitcnt lgkmcnt(0)
	v_add_f64 v[13:14], v[18:19], v[13:14]
	v_add_f64 v[15:16], v[20:21], v[15:16]
.LBB548_21:
	s_or_b64 exec, exec, s[0:1]
	s_branch .LBB548_34
.LBB548_22:
                                        ; implicit-def: $vgpr15_vgpr16
                                        ; implicit-def: $vgpr13_vgpr14
	s_cbranch_execz .LBB548_34
; %bb.23:
	s_movk_i32 s0, 0x69
	v_cmp_gt_u32_e32 vcc, s0, v0
	s_and_saveexec_b64 s[0:1], vcc
	s_cbranch_execz .LBB548_25
; %bb.24:
	ds_read_b128 v[13:16], v17 offset:5376
	ds_read_b128 v[18:21], v17
	s_waitcnt lgkmcnt(0)
	v_add_f64 v[13:14], v[13:14], v[18:19]
	v_add_f64 v[15:16], v[15:16], v[20:21]
	ds_write_b128 v17, v[13:16]
.LBB548_25:
	s_or_b64 exec, exec, s[0:1]
	s_movk_i32 s0, 0xa8
	v_cmp_gt_u32_e32 vcc, s0, v0
	s_waitcnt lgkmcnt(0)
	s_barrier
	s_and_saveexec_b64 s[0:1], vcc
	s_cbranch_execz .LBB548_27
; %bb.26:
	ds_read_b128 v[13:16], v17 offset:2688
	ds_read_b128 v[18:21], v17
	s_waitcnt lgkmcnt(0)
	v_add_f64 v[13:14], v[13:14], v[18:19]
	v_add_f64 v[15:16], v[15:16], v[20:21]
	ds_write_b128 v17, v[13:16]
.LBB548_27:
	s_or_b64 exec, exec, s[0:1]
	s_movk_i32 s0, 0x54
	v_cmp_gt_u32_e32 vcc, s0, v0
	s_waitcnt lgkmcnt(0)
	s_barrier
	s_and_saveexec_b64 s[0:1], vcc
	s_cbranch_execz .LBB548_29
; %bb.28:
	ds_read_b128 v[13:16], v17 offset:1344
	ds_read_b128 v[18:21], v17
	s_waitcnt lgkmcnt(0)
	v_add_f64 v[13:14], v[13:14], v[18:19]
	v_add_f64 v[15:16], v[15:16], v[20:21]
	ds_write_b128 v17, v[13:16]
.LBB548_29:
	s_or_b64 exec, exec, s[0:1]
	v_cmp_gt_u32_e32 vcc, 42, v0
	s_waitcnt lgkmcnt(0)
	s_barrier
	s_and_saveexec_b64 s[0:1], vcc
	s_cbranch_execz .LBB548_31
; %bb.30:
	ds_read_b128 v[13:16], v17 offset:672
	ds_read_b128 v[18:21], v17
	s_waitcnt lgkmcnt(0)
	v_add_f64 v[13:14], v[13:14], v[18:19]
	v_add_f64 v[15:16], v[15:16], v[20:21]
	ds_write_b128 v17, v[13:16]
.LBB548_31:
	s_or_b64 exec, exec, s[0:1]
	v_cmp_gt_u32_e32 vcc, 21, v0
	s_waitcnt lgkmcnt(0)
	s_and_saveexec_b64 s[0:1], vcc
	s_cbranch_execz .LBB548_33
; %bb.32:
	ds_read_b128 v[9:12], v17 offset:336
	ds_read_b128 v[13:16], v17
	s_waitcnt lgkmcnt(0)
	v_add_f64 v[9:10], v[9:10], v[13:14]
	v_add_f64 v[11:12], v[11:12], v[15:16]
.LBB548_33:
	s_or_b64 exec, exec, s[0:1]
	v_mov_b32_e32 v16, v12
	v_mov_b32_e32 v14, v10
	;; [unrolled: 1-line block ×4, first 2 shown]
.LBB548_34:
	v_cmp_gt_u32_e32 vcc, 21, v0
	s_and_b64 exec, exec, vcc
	s_cbranch_execz .LBB548_39
; %bb.35:
	v_mul_f64 v[9:10], v[15:16], -v[7:8]
	v_mul_f64 v[11:12], v[5:6], v[15:16]
	v_cmp_eq_f64_e32 vcc, 0, v[1:2]
	v_cmp_eq_f64_e64 s[0:1], 0, v[3:4]
	v_fma_f64 v[5:6], v[5:6], v[13:14], v[9:10]
	v_fma_f64 v[7:8], v[7:8], v[13:14], v[11:12]
	s_and_b64 s[0:1], vcc, s[0:1]
	s_and_saveexec_b64 s[2:3], s[0:1]
	s_xor_b64 s[0:1], exec, s[2:3]
	s_cbranch_execz .LBB548_37
; %bb.36:
	v_mad_u64_u32 v[0:1], s[2:3], s6, 21, v[0:1]
	v_mov_b32_e32 v1, 0
	v_mov_b32_e32 v2, s13
	v_lshlrev_b64 v[0:1], 4, v[0:1]
	v_add_co_u32_e32 v0, vcc, s12, v0
	v_addc_co_u32_e32 v1, vcc, v2, v1, vcc
	global_store_dwordx4 v[0:1], v[5:8], off
                                        ; implicit-def: $vgpr0
                                        ; implicit-def: $vgpr1_vgpr2
                                        ; implicit-def: $vgpr5_vgpr6
.LBB548_37:
	s_andn2_saveexec_b64 s[0:1], s[0:1]
	s_cbranch_execz .LBB548_39
; %bb.38:
	v_mad_u64_u32 v[9:10], s[0:1], s6, 21, v[0:1]
	v_mov_b32_e32 v10, 0
	v_mov_b32_e32 v0, s13
	v_lshlrev_b64 v[9:10], 4, v[9:10]
	v_add_co_u32_e32 v13, vcc, s12, v9
	v_addc_co_u32_e32 v14, vcc, v0, v10, vcc
	global_load_dwordx4 v[9:12], v[13:14], off
	s_waitcnt vmcnt(0)
	v_fma_f64 v[5:6], v[1:2], v[9:10], v[5:6]
	v_fma_f64 v[7:8], v[3:4], v[9:10], v[7:8]
	v_fma_f64 v[3:4], -v[3:4], v[11:12], v[5:6]
	v_fma_f64 v[5:6], v[1:2], v[11:12], v[7:8]
	global_store_dwordx4 v[13:14], v[3:6], off
.LBB548_39:
	s_endpgm
	.section	.rodata,"a",@progbits
	.p2align	6, 0x0
	.amdhsa_kernel _ZN9rocsparseL20bsrxmvn_17_32_kernelILj21E21rocsparse_complex_numIdEliS1_IfES2_S2_EEvT2_20rocsparse_direction_NS_24const_host_device_scalarIT0_EES4_PKS4_PKT1_SD_SA_PKT3_PKT4_S8_PT5_21rocsparse_index_base_b
		.amdhsa_group_segment_fixed_size 7056
		.amdhsa_private_segment_fixed_size 0
		.amdhsa_kernarg_size 112
		.amdhsa_user_sgpr_count 6
		.amdhsa_user_sgpr_private_segment_buffer 1
		.amdhsa_user_sgpr_dispatch_ptr 0
		.amdhsa_user_sgpr_queue_ptr 0
		.amdhsa_user_sgpr_kernarg_segment_ptr 1
		.amdhsa_user_sgpr_dispatch_id 0
		.amdhsa_user_sgpr_flat_scratch_init 0
		.amdhsa_user_sgpr_private_segment_size 0
		.amdhsa_uses_dynamic_stack 0
		.amdhsa_system_sgpr_private_segment_wavefront_offset 0
		.amdhsa_system_sgpr_workgroup_id_x 1
		.amdhsa_system_sgpr_workgroup_id_y 0
		.amdhsa_system_sgpr_workgroup_id_z 0
		.amdhsa_system_sgpr_workgroup_info 0
		.amdhsa_system_vgpr_workitem_id 0
		.amdhsa_next_free_vgpr 30
		.amdhsa_next_free_sgpr 61
		.amdhsa_reserve_vcc 1
		.amdhsa_reserve_flat_scratch 0
		.amdhsa_float_round_mode_32 0
		.amdhsa_float_round_mode_16_64 0
		.amdhsa_float_denorm_mode_32 3
		.amdhsa_float_denorm_mode_16_64 3
		.amdhsa_dx10_clamp 1
		.amdhsa_ieee_mode 1
		.amdhsa_fp16_overflow 0
		.amdhsa_exception_fp_ieee_invalid_op 0
		.amdhsa_exception_fp_denorm_src 0
		.amdhsa_exception_fp_ieee_div_zero 0
		.amdhsa_exception_fp_ieee_overflow 0
		.amdhsa_exception_fp_ieee_underflow 0
		.amdhsa_exception_fp_ieee_inexact 0
		.amdhsa_exception_int_div_zero 0
	.end_amdhsa_kernel
	.section	.text._ZN9rocsparseL20bsrxmvn_17_32_kernelILj21E21rocsparse_complex_numIdEliS1_IfES2_S2_EEvT2_20rocsparse_direction_NS_24const_host_device_scalarIT0_EES4_PKS4_PKT1_SD_SA_PKT3_PKT4_S8_PT5_21rocsparse_index_base_b,"axG",@progbits,_ZN9rocsparseL20bsrxmvn_17_32_kernelILj21E21rocsparse_complex_numIdEliS1_IfES2_S2_EEvT2_20rocsparse_direction_NS_24const_host_device_scalarIT0_EES4_PKS4_PKT1_SD_SA_PKT3_PKT4_S8_PT5_21rocsparse_index_base_b,comdat
.Lfunc_end548:
	.size	_ZN9rocsparseL20bsrxmvn_17_32_kernelILj21E21rocsparse_complex_numIdEliS1_IfES2_S2_EEvT2_20rocsparse_direction_NS_24const_host_device_scalarIT0_EES4_PKS4_PKT1_SD_SA_PKT3_PKT4_S8_PT5_21rocsparse_index_base_b, .Lfunc_end548-_ZN9rocsparseL20bsrxmvn_17_32_kernelILj21E21rocsparse_complex_numIdEliS1_IfES2_S2_EEvT2_20rocsparse_direction_NS_24const_host_device_scalarIT0_EES4_PKS4_PKT1_SD_SA_PKT3_PKT4_S8_PT5_21rocsparse_index_base_b
                                        ; -- End function
	.set _ZN9rocsparseL20bsrxmvn_17_32_kernelILj21E21rocsparse_complex_numIdEliS1_IfES2_S2_EEvT2_20rocsparse_direction_NS_24const_host_device_scalarIT0_EES4_PKS4_PKT1_SD_SA_PKT3_PKT4_S8_PT5_21rocsparse_index_base_b.num_vgpr, 30
	.set _ZN9rocsparseL20bsrxmvn_17_32_kernelILj21E21rocsparse_complex_numIdEliS1_IfES2_S2_EEvT2_20rocsparse_direction_NS_24const_host_device_scalarIT0_EES4_PKS4_PKT1_SD_SA_PKT3_PKT4_S8_PT5_21rocsparse_index_base_b.num_agpr, 0
	.set _ZN9rocsparseL20bsrxmvn_17_32_kernelILj21E21rocsparse_complex_numIdEliS1_IfES2_S2_EEvT2_20rocsparse_direction_NS_24const_host_device_scalarIT0_EES4_PKS4_PKT1_SD_SA_PKT3_PKT4_S8_PT5_21rocsparse_index_base_b.numbered_sgpr, 22
	.set _ZN9rocsparseL20bsrxmvn_17_32_kernelILj21E21rocsparse_complex_numIdEliS1_IfES2_S2_EEvT2_20rocsparse_direction_NS_24const_host_device_scalarIT0_EES4_PKS4_PKT1_SD_SA_PKT3_PKT4_S8_PT5_21rocsparse_index_base_b.num_named_barrier, 0
	.set _ZN9rocsparseL20bsrxmvn_17_32_kernelILj21E21rocsparse_complex_numIdEliS1_IfES2_S2_EEvT2_20rocsparse_direction_NS_24const_host_device_scalarIT0_EES4_PKS4_PKT1_SD_SA_PKT3_PKT4_S8_PT5_21rocsparse_index_base_b.private_seg_size, 0
	.set _ZN9rocsparseL20bsrxmvn_17_32_kernelILj21E21rocsparse_complex_numIdEliS1_IfES2_S2_EEvT2_20rocsparse_direction_NS_24const_host_device_scalarIT0_EES4_PKS4_PKT1_SD_SA_PKT3_PKT4_S8_PT5_21rocsparse_index_base_b.uses_vcc, 1
	.set _ZN9rocsparseL20bsrxmvn_17_32_kernelILj21E21rocsparse_complex_numIdEliS1_IfES2_S2_EEvT2_20rocsparse_direction_NS_24const_host_device_scalarIT0_EES4_PKS4_PKT1_SD_SA_PKT3_PKT4_S8_PT5_21rocsparse_index_base_b.uses_flat_scratch, 0
	.set _ZN9rocsparseL20bsrxmvn_17_32_kernelILj21E21rocsparse_complex_numIdEliS1_IfES2_S2_EEvT2_20rocsparse_direction_NS_24const_host_device_scalarIT0_EES4_PKS4_PKT1_SD_SA_PKT3_PKT4_S8_PT5_21rocsparse_index_base_b.has_dyn_sized_stack, 0
	.set _ZN9rocsparseL20bsrxmvn_17_32_kernelILj21E21rocsparse_complex_numIdEliS1_IfES2_S2_EEvT2_20rocsparse_direction_NS_24const_host_device_scalarIT0_EES4_PKS4_PKT1_SD_SA_PKT3_PKT4_S8_PT5_21rocsparse_index_base_b.has_recursion, 0
	.set _ZN9rocsparseL20bsrxmvn_17_32_kernelILj21E21rocsparse_complex_numIdEliS1_IfES2_S2_EEvT2_20rocsparse_direction_NS_24const_host_device_scalarIT0_EES4_PKS4_PKT1_SD_SA_PKT3_PKT4_S8_PT5_21rocsparse_index_base_b.has_indirect_call, 0
	.section	.AMDGPU.csdata,"",@progbits
; Kernel info:
; codeLenInByte = 1736
; TotalNumSgprs: 26
; NumVgprs: 30
; ScratchSize: 0
; MemoryBound: 0
; FloatMode: 240
; IeeeMode: 1
; LDSByteSize: 7056 bytes/workgroup (compile time only)
; SGPRBlocks: 8
; VGPRBlocks: 7
; NumSGPRsForWavesPerEU: 65
; NumVGPRsForWavesPerEU: 30
; Occupancy: 8
; WaveLimiterHint : 1
; COMPUTE_PGM_RSRC2:SCRATCH_EN: 0
; COMPUTE_PGM_RSRC2:USER_SGPR: 6
; COMPUTE_PGM_RSRC2:TRAP_HANDLER: 0
; COMPUTE_PGM_RSRC2:TGID_X_EN: 1
; COMPUTE_PGM_RSRC2:TGID_Y_EN: 0
; COMPUTE_PGM_RSRC2:TGID_Z_EN: 0
; COMPUTE_PGM_RSRC2:TIDIG_COMP_CNT: 0
	.section	.text._ZN9rocsparseL20bsrxmvn_17_32_kernelILj22E21rocsparse_complex_numIdEliS1_IfES2_S2_EEvT2_20rocsparse_direction_NS_24const_host_device_scalarIT0_EES4_PKS4_PKT1_SD_SA_PKT3_PKT4_S8_PT5_21rocsparse_index_base_b,"axG",@progbits,_ZN9rocsparseL20bsrxmvn_17_32_kernelILj22E21rocsparse_complex_numIdEliS1_IfES2_S2_EEvT2_20rocsparse_direction_NS_24const_host_device_scalarIT0_EES4_PKS4_PKT1_SD_SA_PKT3_PKT4_S8_PT5_21rocsparse_index_base_b,comdat
	.globl	_ZN9rocsparseL20bsrxmvn_17_32_kernelILj22E21rocsparse_complex_numIdEliS1_IfES2_S2_EEvT2_20rocsparse_direction_NS_24const_host_device_scalarIT0_EES4_PKS4_PKT1_SD_SA_PKT3_PKT4_S8_PT5_21rocsparse_index_base_b ; -- Begin function _ZN9rocsparseL20bsrxmvn_17_32_kernelILj22E21rocsparse_complex_numIdEliS1_IfES2_S2_EEvT2_20rocsparse_direction_NS_24const_host_device_scalarIT0_EES4_PKS4_PKT1_SD_SA_PKT3_PKT4_S8_PT5_21rocsparse_index_base_b
	.p2align	8
	.type	_ZN9rocsparseL20bsrxmvn_17_32_kernelILj22E21rocsparse_complex_numIdEliS1_IfES2_S2_EEvT2_20rocsparse_direction_NS_24const_host_device_scalarIT0_EES4_PKS4_PKT1_SD_SA_PKT3_PKT4_S8_PT5_21rocsparse_index_base_b,@function
_ZN9rocsparseL20bsrxmvn_17_32_kernelILj22E21rocsparse_complex_numIdEliS1_IfES2_S2_EEvT2_20rocsparse_direction_NS_24const_host_device_scalarIT0_EES4_PKS4_PKT1_SD_SA_PKT3_PKT4_S8_PT5_21rocsparse_index_base_b: ; @_ZN9rocsparseL20bsrxmvn_17_32_kernelILj22E21rocsparse_complex_numIdEliS1_IfES2_S2_EEvT2_20rocsparse_direction_NS_24const_host_device_scalarIT0_EES4_PKS4_PKT1_SD_SA_PKT3_PKT4_S8_PT5_21rocsparse_index_base_b
; %bb.0:
	s_load_dwordx2 s[0:1], s[4:5], 0x8
	s_load_dwordx2 s[10:11], s[4:5], 0x68
	s_add_u32 s7, s4, 8
	s_addc_u32 s8, s5, 0
	s_add_u32 s9, s4, 0x50
	s_addc_u32 s12, s5, 0
	s_waitcnt lgkmcnt(0)
	s_bitcmp1_b32 s11, 0
	s_cselect_b32 s1, s8, s1
	s_cselect_b32 s0, s7, s0
	v_mov_b32_e32 v1, s0
	v_mov_b32_e32 v2, s1
	flat_load_dwordx4 v[5:8], v[1:2]
	s_load_dwordx2 s[2:3], s[4:5], 0x50
	s_waitcnt lgkmcnt(0)
	s_cselect_b32 s0, s12, s3
	s_cselect_b32 s1, s9, s2
	v_mov_b32_e32 v1, s1
	v_mov_b32_e32 v2, s0
	flat_load_dwordx4 v[1:4], v[1:2]
	s_waitcnt vmcnt(0)
	v_cmp_eq_f64_e32 vcc, 0, v[5:6]
	v_cmp_eq_f64_e64 s[0:1], 0, v[7:8]
	s_and_b64 s[8:9], vcc, s[0:1]
	s_mov_b64 s[0:1], -1
	s_and_saveexec_b64 s[2:3], s[8:9]
	s_cbranch_execz .LBB549_2
; %bb.1:
	s_waitcnt lgkmcnt(0)
	v_cmp_neq_f64_e32 vcc, 1.0, v[1:2]
	v_cmp_neq_f64_e64 s[0:1], 0, v[3:4]
	s_or_b64 s[0:1], vcc, s[0:1]
	s_orn2_b64 s[0:1], s[0:1], exec
.LBB549_2:
	s_or_b64 exec, exec, s[2:3]
	s_and_saveexec_b64 s[2:3], s[0:1]
	s_cbranch_execz .LBB549_39
; %bb.3:
	s_load_dwordx4 s[0:3], s[4:5], 0x20
	s_load_dwordx2 s[14:15], s[4:5], 0x30
	s_waitcnt lgkmcnt(0)
	s_cmp_eq_u64 s[0:1], 0
	s_cbranch_scc1 .LBB549_5
; %bb.4:
	s_ashr_i32 s7, s6, 31
	s_lshl_b64 s[6:7], s[6:7], 2
	s_add_u32 s0, s0, s6
	s_addc_u32 s1, s1, s7
	s_load_dword s0, s[0:1], 0x0
	s_waitcnt lgkmcnt(0)
	s_sub_i32 s6, s0, s10
.LBB549_5:
	s_load_dword s7, s[4:5], 0x4
	s_load_dwordx2 s[8:9], s[4:5], 0x60
	v_mul_u32_u24_e32 v13, 0xba3, v0
	v_mov_b32_e32 v14, 22
	v_mul_lo_u16_sdwa v9, v13, v14 dst_sel:DWORD dst_unused:UNUSED_PAD src0_sel:WORD_1 src1_sel:DWORD
	s_waitcnt lgkmcnt(0)
	s_cmp_eq_u32 s7, 1
	s_cselect_b64 s[0:1], -1, 0
	s_cmp_lg_u32 s7, 1
	s_cselect_b64 s[12:13], -1, 0
	s_ashr_i32 s7, s6, 31
	s_lshl_b64 s[16:17], s[6:7], 3
	s_add_u32 s2, s2, s16
	s_addc_u32 s3, s3, s17
	s_add_u32 s7, s2, 8
	s_addc_u32 s11, s3, 0
	;; [unrolled: 2-line block ×3, first 2 shown]
	s_cmp_eq_u64 s[14:15], 0
	s_cselect_b32 s19, s11, s17
	s_cselect_b32 s18, s7, s16
	s_load_dwordx2 s[14:15], s[18:19], 0x0
	s_load_dwordx2 s[16:17], s[2:3], 0x0
	v_sub_u16_e32 v20, v0, v9
	v_mov_b32_e32 v11, 0
	v_mov_b32_e32 v12, 0
	s_waitcnt lgkmcnt(0)
	v_mov_b32_e32 v9, s14
	v_mov_b32_e32 v10, s15
	v_cmp_ge_i64_e32 vcc, s[16:17], v[9:10]
	v_mov_b32_e32 v9, 0
	v_mov_b32_e32 v10, 0
	s_cbranch_vccnz .LBB549_10
; %bb.6:
	v_mov_b32_e32 v9, 12
	s_load_dwordx2 s[2:3], s[4:5], 0x48
	s_load_dwordx4 s[20:23], s[4:5], 0x38
	s_sub_u32 s4, s14, s10
	v_mul_lo_u16_sdwa v9, v13, v9 dst_sel:DWORD dst_unused:UNUSED_PAD src0_sel:WORD_1 src1_sel:DWORD
	s_subb_u32 s5, s15, 0
	v_mul_lo_u16_sdwa v9, v9, v14 dst_sel:DWORD dst_unused:UNUSED_PAD src0_sel:BYTE_1 src1_sel:DWORD
	v_sub_u16_sdwa v9, v13, v9 dst_sel:DWORD dst_unused:UNUSED_PAD src0_sel:WORD_1 src1_sel:DWORD
	s_sub_u32 s14, s16, s10
	v_and_b32_e32 v9, 0xff, v9
	s_subb_u32 s15, s17, 0
	v_cndmask_b32_e64 v13, v20, v9, s[0:1]
	s_mul_i32 s0, s15, 0xf20
	s_mul_hi_u32 s1, s14, 0xf20
	s_add_i32 s1, s1, s0
	s_mul_i32 s0, s14, 0xf20
	s_waitcnt lgkmcnt(0)
	s_add_u32 s0, s22, s0
	v_lshlrev_b32_e32 v9, 3, v0
	s_addc_u32 s1, s23, s1
	v_add_co_u32_e32 v14, vcc, s0, v9
	s_movk_i32 s0, 0x10f
	v_mov_b32_e32 v10, s1
	v_mul_u32_u24_sdwa v9, v0, s0 dst_sel:DWORD dst_unused:UNUSED_PAD src0_sel:WORD_0 src1_sel:DWORD
	v_addc_co_u32_e32 v15, vcc, 0, v10, vcc
	v_lshrrev_b32_e32 v21, 17, v9
	v_mov_b32_e32 v9, s17
	v_add_co_u32_e32 v10, vcc, s16, v21
	v_addc_co_u32_e32 v11, vcc, 0, v9, vcc
	v_subrev_co_u32_e32 v9, vcc, s10, v10
	v_subbrev_co_u32_e32 v10, vcc, 0, v11, vcc
	v_lshlrev_b64 v[9:10], 2, v[9:10]
	v_mov_b32_e32 v11, s21
	v_add_co_u32_e32 v16, vcc, s20, v9
	v_addc_co_u32_e32 v17, vcc, v11, v10, vcc
	v_mov_b32_e32 v11, 0
	v_mov_b32_e32 v12, 0
	;; [unrolled: 1-line block ×6, first 2 shown]
	s_branch .LBB549_8
.LBB549_7:                              ;   in Loop: Header=BB549_8 Depth=1
	s_or_b64 exec, exec, s[0:1]
	s_add_u32 s14, s14, 1
	s_addc_u32 s15, s15, 0
	v_cmp_lt_i64_e32 vcc, s[14:15], v[18:19]
	v_add_co_u32_e64 v16, s[0:1], 4, v16
	v_addc_co_u32_e64 v17, s[0:1], 0, v17, s[0:1]
	s_cbranch_vccz .LBB549_10
.LBB549_8:                              ; =>This Inner Loop Header: Depth=1
	v_mov_b32_e32 v23, s15
	v_add_co_u32_e32 v22, vcc, s14, v21
	v_addc_co_u32_e32 v23, vcc, 0, v23, vcc
	v_cmp_gt_i64_e32 vcc, s[4:5], v[22:23]
	s_and_saveexec_b64 s[0:1], vcc
	s_cbranch_execz .LBB549_7
; %bb.9:                                ;   in Loop: Header=BB549_8 Depth=1
	global_load_dword v22, v[16:17], off
	global_load_dwordx2 v[26:27], v[14:15], off
	v_mov_b32_e32 v24, s3
	s_waitcnt vmcnt(1)
	v_subrev_u32_e32 v22, s10, v22
	v_mad_u64_u32 v[22:23], s[16:17], v22, 22, v[13:14]
	s_waitcnt vmcnt(0)
	v_cvt_f64_f32_e32 v[28:29], v26
	v_cvt_f64_f32_e32 v[26:27], v27
	v_ashrrev_i32_e32 v23, 31, v22
	v_lshlrev_b64 v[22:23], 4, v[22:23]
	v_add_co_u32_e32 v22, vcc, s2, v22
	v_addc_co_u32_e32 v23, vcc, v24, v23, vcc
	global_load_dwordx4 v[22:25], v[22:23], off
	v_add_co_u32_e32 v14, vcc, 0xf20, v14
	v_addc_co_u32_e32 v15, vcc, 0, v15, vcc
	s_waitcnt vmcnt(0)
	v_fma_f64 v[9:10], v[28:29], v[22:23], v[9:10]
	v_fma_f64 v[11:12], v[26:27], v[22:23], v[11:12]
	v_fma_f64 v[9:10], -v[26:27], v[24:25], v[9:10]
	v_fma_f64 v[11:12], v[28:29], v[24:25], v[11:12]
	s_branch .LBB549_7
.LBB549_10:
	v_lshlrev_b32_e32 v17, 4, v0
	s_and_b64 vcc, exec, s[12:13]
	ds_write_b128 v17, v[9:12]
	s_waitcnt lgkmcnt(0)
	s_barrier
	s_cbranch_vccz .LBB549_22
; %bb.11:
	v_cmp_gt_u16_e32 vcc, 6, v20
	s_and_saveexec_b64 s[0:1], vcc
	s_cbranch_execz .LBB549_13
; %bb.12:
	ds_read_b128 v[13:16], v17 offset:256
	ds_read_b128 v[21:24], v17
	s_waitcnt lgkmcnt(0)
	v_add_f64 v[13:14], v[13:14], v[21:22]
	v_add_f64 v[15:16], v[15:16], v[23:24]
	ds_write_b128 v17, v[13:16]
.LBB549_13:
	s_or_b64 exec, exec, s[0:1]
	v_cmp_gt_u16_e32 vcc, 8, v20
	s_waitcnt lgkmcnt(0)
	s_barrier
	s_and_saveexec_b64 s[0:1], vcc
	s_cbranch_execz .LBB549_15
; %bb.14:
	ds_read_b128 v[13:16], v17 offset:128
	ds_read_b128 v[21:24], v17
	s_waitcnt lgkmcnt(0)
	v_add_f64 v[13:14], v[13:14], v[21:22]
	v_add_f64 v[15:16], v[15:16], v[23:24]
	ds_write_b128 v17, v[13:16]
.LBB549_15:
	s_or_b64 exec, exec, s[0:1]
	v_cmp_gt_u16_e32 vcc, 4, v20
	s_waitcnt lgkmcnt(0)
	s_barrier
	;; [unrolled: 14-line block ×3, first 2 shown]
	s_and_saveexec_b64 s[0:1], vcc
	s_cbranch_execz .LBB549_19
; %bb.18:
	ds_read_b128 v[13:16], v17
	ds_read_b128 v[18:21], v17 offset:32
	s_waitcnt lgkmcnt(0)
	v_add_f64 v[13:14], v[18:19], v[13:14]
	v_add_f64 v[15:16], v[20:21], v[15:16]
	ds_write_b128 v17, v[13:16]
.LBB549_19:
	s_or_b64 exec, exec, s[0:1]
	v_mov_b32_e32 v16, v12
	v_mov_b32_e32 v14, v10
	v_cmp_gt_u32_e32 vcc, 22, v0
	v_mov_b32_e32 v15, v11
	v_mov_b32_e32 v13, v9
	s_waitcnt lgkmcnt(0)
	s_barrier
	s_and_saveexec_b64 s[0:1], vcc
	s_cbranch_execz .LBB549_21
; %bb.20:
	s_movk_i32 s2, 0x150
	v_mad_u32_u24 v18, v0, s2, v17
	ds_read_b128 v[13:16], v18
	ds_read_b128 v[18:21], v18 offset:16
	s_waitcnt lgkmcnt(0)
	v_add_f64 v[13:14], v[18:19], v[13:14]
	v_add_f64 v[15:16], v[20:21], v[15:16]
.LBB549_21:
	s_or_b64 exec, exec, s[0:1]
	s_branch .LBB549_34
.LBB549_22:
                                        ; implicit-def: $vgpr15_vgpr16
                                        ; implicit-def: $vgpr13_vgpr14
	s_cbranch_execz .LBB549_34
; %bb.23:
	s_movk_i32 s0, 0x84
	v_cmp_gt_u32_e32 vcc, s0, v0
	s_and_saveexec_b64 s[0:1], vcc
	s_cbranch_execz .LBB549_25
; %bb.24:
	ds_read_b128 v[13:16], v17 offset:5632
	ds_read_b128 v[18:21], v17
	s_waitcnt lgkmcnt(0)
	v_add_f64 v[13:14], v[13:14], v[18:19]
	v_add_f64 v[15:16], v[15:16], v[20:21]
	ds_write_b128 v17, v[13:16]
.LBB549_25:
	s_or_b64 exec, exec, s[0:1]
	s_movk_i32 s0, 0xb0
	v_cmp_gt_u32_e32 vcc, s0, v0
	s_waitcnt lgkmcnt(0)
	s_barrier
	s_and_saveexec_b64 s[0:1], vcc
	s_cbranch_execz .LBB549_27
; %bb.26:
	ds_read_b128 v[13:16], v17 offset:2816
	ds_read_b128 v[18:21], v17
	s_waitcnt lgkmcnt(0)
	v_add_f64 v[13:14], v[13:14], v[18:19]
	v_add_f64 v[15:16], v[15:16], v[20:21]
	ds_write_b128 v17, v[13:16]
.LBB549_27:
	s_or_b64 exec, exec, s[0:1]
	s_movk_i32 s0, 0x58
	v_cmp_gt_u32_e32 vcc, s0, v0
	s_waitcnt lgkmcnt(0)
	s_barrier
	s_and_saveexec_b64 s[0:1], vcc
	s_cbranch_execz .LBB549_29
; %bb.28:
	ds_read_b128 v[13:16], v17 offset:1408
	ds_read_b128 v[18:21], v17
	s_waitcnt lgkmcnt(0)
	v_add_f64 v[13:14], v[13:14], v[18:19]
	v_add_f64 v[15:16], v[15:16], v[20:21]
	ds_write_b128 v17, v[13:16]
.LBB549_29:
	s_or_b64 exec, exec, s[0:1]
	v_cmp_gt_u32_e32 vcc, 44, v0
	s_waitcnt lgkmcnt(0)
	s_barrier
	s_and_saveexec_b64 s[0:1], vcc
	s_cbranch_execz .LBB549_31
; %bb.30:
	ds_read_b128 v[13:16], v17 offset:704
	ds_read_b128 v[18:21], v17
	s_waitcnt lgkmcnt(0)
	v_add_f64 v[13:14], v[13:14], v[18:19]
	v_add_f64 v[15:16], v[15:16], v[20:21]
	ds_write_b128 v17, v[13:16]
.LBB549_31:
	s_or_b64 exec, exec, s[0:1]
	v_cmp_gt_u32_e32 vcc, 22, v0
	s_waitcnt lgkmcnt(0)
	s_and_saveexec_b64 s[0:1], vcc
	s_cbranch_execz .LBB549_33
; %bb.32:
	ds_read_b128 v[9:12], v17 offset:352
	ds_read_b128 v[13:16], v17
	s_waitcnt lgkmcnt(0)
	v_add_f64 v[9:10], v[9:10], v[13:14]
	v_add_f64 v[11:12], v[11:12], v[15:16]
.LBB549_33:
	s_or_b64 exec, exec, s[0:1]
	v_mov_b32_e32 v16, v12
	v_mov_b32_e32 v14, v10
	;; [unrolled: 1-line block ×4, first 2 shown]
.LBB549_34:
	v_cmp_gt_u32_e32 vcc, 22, v0
	s_and_b64 exec, exec, vcc
	s_cbranch_execz .LBB549_39
; %bb.35:
	v_mul_f64 v[9:10], v[15:16], -v[7:8]
	v_mul_f64 v[11:12], v[5:6], v[15:16]
	v_cmp_eq_f64_e32 vcc, 0, v[1:2]
	v_cmp_eq_f64_e64 s[0:1], 0, v[3:4]
	v_fma_f64 v[5:6], v[5:6], v[13:14], v[9:10]
	v_fma_f64 v[7:8], v[7:8], v[13:14], v[11:12]
	s_and_b64 s[0:1], vcc, s[0:1]
	s_and_saveexec_b64 s[2:3], s[0:1]
	s_xor_b64 s[0:1], exec, s[2:3]
	s_cbranch_execz .LBB549_37
; %bb.36:
	v_mad_u64_u32 v[0:1], s[2:3], s6, 22, v[0:1]
	v_mov_b32_e32 v1, 0
	v_mov_b32_e32 v2, s9
	v_lshlrev_b64 v[0:1], 4, v[0:1]
	v_add_co_u32_e32 v0, vcc, s8, v0
	v_addc_co_u32_e32 v1, vcc, v2, v1, vcc
	global_store_dwordx4 v[0:1], v[5:8], off
                                        ; implicit-def: $vgpr0
                                        ; implicit-def: $vgpr1_vgpr2
                                        ; implicit-def: $vgpr5_vgpr6
.LBB549_37:
	s_andn2_saveexec_b64 s[0:1], s[0:1]
	s_cbranch_execz .LBB549_39
; %bb.38:
	v_mad_u64_u32 v[9:10], s[0:1], s6, 22, v[0:1]
	v_mov_b32_e32 v10, 0
	v_mov_b32_e32 v0, s9
	v_lshlrev_b64 v[9:10], 4, v[9:10]
	v_add_co_u32_e32 v13, vcc, s8, v9
	v_addc_co_u32_e32 v14, vcc, v0, v10, vcc
	global_load_dwordx4 v[9:12], v[13:14], off
	s_waitcnt vmcnt(0)
	v_fma_f64 v[5:6], v[1:2], v[9:10], v[5:6]
	v_fma_f64 v[7:8], v[3:4], v[9:10], v[7:8]
	v_fma_f64 v[3:4], -v[3:4], v[11:12], v[5:6]
	v_fma_f64 v[5:6], v[1:2], v[11:12], v[7:8]
	global_store_dwordx4 v[13:14], v[3:6], off
.LBB549_39:
	s_endpgm
	.section	.rodata,"a",@progbits
	.p2align	6, 0x0
	.amdhsa_kernel _ZN9rocsparseL20bsrxmvn_17_32_kernelILj22E21rocsparse_complex_numIdEliS1_IfES2_S2_EEvT2_20rocsparse_direction_NS_24const_host_device_scalarIT0_EES4_PKS4_PKT1_SD_SA_PKT3_PKT4_S8_PT5_21rocsparse_index_base_b
		.amdhsa_group_segment_fixed_size 7744
		.amdhsa_private_segment_fixed_size 0
		.amdhsa_kernarg_size 112
		.amdhsa_user_sgpr_count 6
		.amdhsa_user_sgpr_private_segment_buffer 1
		.amdhsa_user_sgpr_dispatch_ptr 0
		.amdhsa_user_sgpr_queue_ptr 0
		.amdhsa_user_sgpr_kernarg_segment_ptr 1
		.amdhsa_user_sgpr_dispatch_id 0
		.amdhsa_user_sgpr_flat_scratch_init 0
		.amdhsa_user_sgpr_private_segment_size 0
		.amdhsa_uses_dynamic_stack 0
		.amdhsa_system_sgpr_private_segment_wavefront_offset 0
		.amdhsa_system_sgpr_workgroup_id_x 1
		.amdhsa_system_sgpr_workgroup_id_y 0
		.amdhsa_system_sgpr_workgroup_id_z 0
		.amdhsa_system_sgpr_workgroup_info 0
		.amdhsa_system_vgpr_workitem_id 0
		.amdhsa_next_free_vgpr 30
		.amdhsa_next_free_sgpr 24
		.amdhsa_reserve_vcc 1
		.amdhsa_reserve_flat_scratch 0
		.amdhsa_float_round_mode_32 0
		.amdhsa_float_round_mode_16_64 0
		.amdhsa_float_denorm_mode_32 3
		.amdhsa_float_denorm_mode_16_64 3
		.amdhsa_dx10_clamp 1
		.amdhsa_ieee_mode 1
		.amdhsa_fp16_overflow 0
		.amdhsa_exception_fp_ieee_invalid_op 0
		.amdhsa_exception_fp_denorm_src 0
		.amdhsa_exception_fp_ieee_div_zero 0
		.amdhsa_exception_fp_ieee_overflow 0
		.amdhsa_exception_fp_ieee_underflow 0
		.amdhsa_exception_fp_ieee_inexact 0
		.amdhsa_exception_int_div_zero 0
	.end_amdhsa_kernel
	.section	.text._ZN9rocsparseL20bsrxmvn_17_32_kernelILj22E21rocsparse_complex_numIdEliS1_IfES2_S2_EEvT2_20rocsparse_direction_NS_24const_host_device_scalarIT0_EES4_PKS4_PKT1_SD_SA_PKT3_PKT4_S8_PT5_21rocsparse_index_base_b,"axG",@progbits,_ZN9rocsparseL20bsrxmvn_17_32_kernelILj22E21rocsparse_complex_numIdEliS1_IfES2_S2_EEvT2_20rocsparse_direction_NS_24const_host_device_scalarIT0_EES4_PKS4_PKT1_SD_SA_PKT3_PKT4_S8_PT5_21rocsparse_index_base_b,comdat
.Lfunc_end549:
	.size	_ZN9rocsparseL20bsrxmvn_17_32_kernelILj22E21rocsparse_complex_numIdEliS1_IfES2_S2_EEvT2_20rocsparse_direction_NS_24const_host_device_scalarIT0_EES4_PKS4_PKT1_SD_SA_PKT3_PKT4_S8_PT5_21rocsparse_index_base_b, .Lfunc_end549-_ZN9rocsparseL20bsrxmvn_17_32_kernelILj22E21rocsparse_complex_numIdEliS1_IfES2_S2_EEvT2_20rocsparse_direction_NS_24const_host_device_scalarIT0_EES4_PKS4_PKT1_SD_SA_PKT3_PKT4_S8_PT5_21rocsparse_index_base_b
                                        ; -- End function
	.set _ZN9rocsparseL20bsrxmvn_17_32_kernelILj22E21rocsparse_complex_numIdEliS1_IfES2_S2_EEvT2_20rocsparse_direction_NS_24const_host_device_scalarIT0_EES4_PKS4_PKT1_SD_SA_PKT3_PKT4_S8_PT5_21rocsparse_index_base_b.num_vgpr, 30
	.set _ZN9rocsparseL20bsrxmvn_17_32_kernelILj22E21rocsparse_complex_numIdEliS1_IfES2_S2_EEvT2_20rocsparse_direction_NS_24const_host_device_scalarIT0_EES4_PKS4_PKT1_SD_SA_PKT3_PKT4_S8_PT5_21rocsparse_index_base_b.num_agpr, 0
	.set _ZN9rocsparseL20bsrxmvn_17_32_kernelILj22E21rocsparse_complex_numIdEliS1_IfES2_S2_EEvT2_20rocsparse_direction_NS_24const_host_device_scalarIT0_EES4_PKS4_PKT1_SD_SA_PKT3_PKT4_S8_PT5_21rocsparse_index_base_b.numbered_sgpr, 24
	.set _ZN9rocsparseL20bsrxmvn_17_32_kernelILj22E21rocsparse_complex_numIdEliS1_IfES2_S2_EEvT2_20rocsparse_direction_NS_24const_host_device_scalarIT0_EES4_PKS4_PKT1_SD_SA_PKT3_PKT4_S8_PT5_21rocsparse_index_base_b.num_named_barrier, 0
	.set _ZN9rocsparseL20bsrxmvn_17_32_kernelILj22E21rocsparse_complex_numIdEliS1_IfES2_S2_EEvT2_20rocsparse_direction_NS_24const_host_device_scalarIT0_EES4_PKS4_PKT1_SD_SA_PKT3_PKT4_S8_PT5_21rocsparse_index_base_b.private_seg_size, 0
	.set _ZN9rocsparseL20bsrxmvn_17_32_kernelILj22E21rocsparse_complex_numIdEliS1_IfES2_S2_EEvT2_20rocsparse_direction_NS_24const_host_device_scalarIT0_EES4_PKS4_PKT1_SD_SA_PKT3_PKT4_S8_PT5_21rocsparse_index_base_b.uses_vcc, 1
	.set _ZN9rocsparseL20bsrxmvn_17_32_kernelILj22E21rocsparse_complex_numIdEliS1_IfES2_S2_EEvT2_20rocsparse_direction_NS_24const_host_device_scalarIT0_EES4_PKS4_PKT1_SD_SA_PKT3_PKT4_S8_PT5_21rocsparse_index_base_b.uses_flat_scratch, 0
	.set _ZN9rocsparseL20bsrxmvn_17_32_kernelILj22E21rocsparse_complex_numIdEliS1_IfES2_S2_EEvT2_20rocsparse_direction_NS_24const_host_device_scalarIT0_EES4_PKS4_PKT1_SD_SA_PKT3_PKT4_S8_PT5_21rocsparse_index_base_b.has_dyn_sized_stack, 0
	.set _ZN9rocsparseL20bsrxmvn_17_32_kernelILj22E21rocsparse_complex_numIdEliS1_IfES2_S2_EEvT2_20rocsparse_direction_NS_24const_host_device_scalarIT0_EES4_PKS4_PKT1_SD_SA_PKT3_PKT4_S8_PT5_21rocsparse_index_base_b.has_recursion, 0
	.set _ZN9rocsparseL20bsrxmvn_17_32_kernelILj22E21rocsparse_complex_numIdEliS1_IfES2_S2_EEvT2_20rocsparse_direction_NS_24const_host_device_scalarIT0_EES4_PKS4_PKT1_SD_SA_PKT3_PKT4_S8_PT5_21rocsparse_index_base_b.has_indirect_call, 0
	.section	.AMDGPU.csdata,"",@progbits
; Kernel info:
; codeLenInByte = 1736
; TotalNumSgprs: 28
; NumVgprs: 30
; ScratchSize: 0
; MemoryBound: 0
; FloatMode: 240
; IeeeMode: 1
; LDSByteSize: 7744 bytes/workgroup (compile time only)
; SGPRBlocks: 3
; VGPRBlocks: 7
; NumSGPRsForWavesPerEU: 28
; NumVGPRsForWavesPerEU: 30
; Occupancy: 8
; WaveLimiterHint : 1
; COMPUTE_PGM_RSRC2:SCRATCH_EN: 0
; COMPUTE_PGM_RSRC2:USER_SGPR: 6
; COMPUTE_PGM_RSRC2:TRAP_HANDLER: 0
; COMPUTE_PGM_RSRC2:TGID_X_EN: 1
; COMPUTE_PGM_RSRC2:TGID_Y_EN: 0
; COMPUTE_PGM_RSRC2:TGID_Z_EN: 0
; COMPUTE_PGM_RSRC2:TIDIG_COMP_CNT: 0
	.section	.text._ZN9rocsparseL20bsrxmvn_17_32_kernelILj23E21rocsparse_complex_numIdEliS1_IfES2_S2_EEvT2_20rocsparse_direction_NS_24const_host_device_scalarIT0_EES4_PKS4_PKT1_SD_SA_PKT3_PKT4_S8_PT5_21rocsparse_index_base_b,"axG",@progbits,_ZN9rocsparseL20bsrxmvn_17_32_kernelILj23E21rocsparse_complex_numIdEliS1_IfES2_S2_EEvT2_20rocsparse_direction_NS_24const_host_device_scalarIT0_EES4_PKS4_PKT1_SD_SA_PKT3_PKT4_S8_PT5_21rocsparse_index_base_b,comdat
	.globl	_ZN9rocsparseL20bsrxmvn_17_32_kernelILj23E21rocsparse_complex_numIdEliS1_IfES2_S2_EEvT2_20rocsparse_direction_NS_24const_host_device_scalarIT0_EES4_PKS4_PKT1_SD_SA_PKT3_PKT4_S8_PT5_21rocsparse_index_base_b ; -- Begin function _ZN9rocsparseL20bsrxmvn_17_32_kernelILj23E21rocsparse_complex_numIdEliS1_IfES2_S2_EEvT2_20rocsparse_direction_NS_24const_host_device_scalarIT0_EES4_PKS4_PKT1_SD_SA_PKT3_PKT4_S8_PT5_21rocsparse_index_base_b
	.p2align	8
	.type	_ZN9rocsparseL20bsrxmvn_17_32_kernelILj23E21rocsparse_complex_numIdEliS1_IfES2_S2_EEvT2_20rocsparse_direction_NS_24const_host_device_scalarIT0_EES4_PKS4_PKT1_SD_SA_PKT3_PKT4_S8_PT5_21rocsparse_index_base_b,@function
_ZN9rocsparseL20bsrxmvn_17_32_kernelILj23E21rocsparse_complex_numIdEliS1_IfES2_S2_EEvT2_20rocsparse_direction_NS_24const_host_device_scalarIT0_EES4_PKS4_PKT1_SD_SA_PKT3_PKT4_S8_PT5_21rocsparse_index_base_b: ; @_ZN9rocsparseL20bsrxmvn_17_32_kernelILj23E21rocsparse_complex_numIdEliS1_IfES2_S2_EEvT2_20rocsparse_direction_NS_24const_host_device_scalarIT0_EES4_PKS4_PKT1_SD_SA_PKT3_PKT4_S8_PT5_21rocsparse_index_base_b
; %bb.0:
	s_load_dwordx2 s[0:1], s[4:5], 0x8
	s_load_dwordx2 s[14:15], s[4:5], 0x68
	s_add_u32 s7, s4, 8
	s_addc_u32 s8, s5, 0
	s_add_u32 s9, s4, 0x50
	s_addc_u32 s10, s5, 0
	s_waitcnt lgkmcnt(0)
	s_bitcmp1_b32 s15, 0
	s_cselect_b32 s1, s8, s1
	s_cselect_b32 s0, s7, s0
	v_mov_b32_e32 v1, s0
	v_mov_b32_e32 v2, s1
	flat_load_dwordx4 v[5:8], v[1:2]
	s_load_dwordx2 s[2:3], s[4:5], 0x50
	s_waitcnt lgkmcnt(0)
	s_cselect_b32 s0, s10, s3
	s_cselect_b32 s1, s9, s2
	v_mov_b32_e32 v1, s1
	v_mov_b32_e32 v2, s0
	flat_load_dwordx4 v[1:4], v[1:2]
	s_waitcnt vmcnt(0)
	v_cmp_eq_f64_e32 vcc, 0, v[5:6]
	v_cmp_eq_f64_e64 s[0:1], 0, v[7:8]
	s_and_b64 s[8:9], vcc, s[0:1]
	s_mov_b64 s[0:1], -1
	s_and_saveexec_b64 s[2:3], s[8:9]
	s_cbranch_execz .LBB550_2
; %bb.1:
	s_waitcnt lgkmcnt(0)
	v_cmp_neq_f64_e32 vcc, 1.0, v[1:2]
	v_cmp_neq_f64_e64 s[0:1], 0, v[3:4]
	s_or_b64 s[0:1], vcc, s[0:1]
	s_orn2_b64 s[0:1], s[0:1], exec
.LBB550_2:
	s_or_b64 exec, exec, s[2:3]
	s_and_saveexec_b64 s[2:3], s[0:1]
	s_cbranch_execz .LBB550_39
; %bb.3:
	s_load_dwordx4 s[0:3], s[4:5], 0x20
	s_load_dwordx2 s[8:9], s[4:5], 0x30
	s_waitcnt lgkmcnt(0)
	s_cmp_eq_u64 s[0:1], 0
	s_cbranch_scc1 .LBB550_5
; %bb.4:
	s_ashr_i32 s7, s6, 31
	s_lshl_b64 s[6:7], s[6:7], 2
	s_add_u32 s0, s0, s6
	s_addc_u32 s1, s1, s7
	s_load_dword s0, s[0:1], 0x0
	s_waitcnt lgkmcnt(0)
	s_sub_i32 s6, s0, s14
.LBB550_5:
	s_load_dword s7, s[4:5], 0x4
	s_load_dwordx2 s[12:13], s[4:5], 0x60
	v_mul_u32_u24_e32 v13, 0xb22, v0
	v_mov_b32_e32 v9, 23
	v_mul_lo_u16_sdwa v9, v13, v9 dst_sel:DWORD dst_unused:UNUSED_PAD src0_sel:WORD_1 src1_sel:DWORD
	s_waitcnt lgkmcnt(0)
	s_cmp_eq_u32 s7, 1
	s_cselect_b64 s[0:1], -1, 0
	s_cmp_lg_u32 s7, 1
	s_cselect_b64 s[16:17], -1, 0
	s_ashr_i32 s7, s6, 31
	s_lshl_b64 s[10:11], s[6:7], 3
	s_add_u32 s2, s2, s10
	s_addc_u32 s3, s3, s11
	s_add_u32 s7, s2, 8
	s_addc_u32 s15, s3, 0
	;; [unrolled: 2-line block ×3, first 2 shown]
	s_cmp_eq_u64 s[8:9], 0
	s_cselect_b32 s9, s15, s11
	s_cselect_b32 s8, s7, s10
	s_load_dwordx2 s[18:19], s[8:9], 0x0
	s_load_dwordx2 s[20:21], s[2:3], 0x0
	v_sub_u16_e32 v20, v0, v9
	v_mov_b32_e32 v11, 0
	v_mov_b32_e32 v12, 0
	s_waitcnt lgkmcnt(0)
	v_mov_b32_e32 v9, s18
	v_mov_b32_e32 v10, s19
	v_cmp_ge_i64_e32 vcc, s[20:21], v[9:10]
	v_mov_b32_e32 v9, 0
	v_mov_b32_e32 v10, 0
	s_cbranch_vccnz .LBB550_10
; %bb.6:
	s_load_dwordx2 s[2:3], s[4:5], 0x48
	s_load_dwordx4 s[8:11], s[4:5], 0x38
	s_sub_u32 s4, s18, s14
	s_mov_b32 s7, 0xffff
	s_subb_u32 s5, s19, 0
	s_movk_i32 s15, 0x211
	v_and_b32_sdwa v9, s7, v13 dst_sel:DWORD dst_unused:UNUSED_PAD src0_sel:DWORD src1_sel:WORD_1
	v_subrev_u32_e32 v10, 23, v9
	v_cmp_gt_u32_e32 vcc, s15, v0
	s_sub_u32 s18, s20, s14
	v_cndmask_b32_e32 v9, v10, v9, vcc
	s_subb_u32 s19, s21, 0
	v_cndmask_b32_e64 v13, v20, v9, s[0:1]
	s_mul_i32 s0, s19, 0x1088
	s_mul_hi_u32 s1, s18, 0x1088
	s_add_i32 s1, s1, s0
	s_mul_i32 s0, s18, 0x1088
	s_waitcnt lgkmcnt(0)
	s_add_u32 s0, s10, s0
	s_addc_u32 s1, s11, s1
	v_lshlrev_b32_e32 v9, 3, v0
	v_mov_b32_e32 v10, s1
	v_add_co_u32_e32 v14, vcc, s0, v9
	v_addc_co_u32_e32 v15, vcc, 0, v10, vcc
	s_movk_i32 s0, 0x210
	v_cmp_lt_u32_e32 vcc, s0, v0
	v_cndmask_b32_e64 v21, 0, 1, vcc
	v_mov_b32_e32 v9, s21
	v_add_co_u32_e32 v10, vcc, s20, v21
	v_addc_co_u32_e32 v11, vcc, 0, v9, vcc
	v_subrev_co_u32_e32 v9, vcc, s14, v10
	v_subbrev_co_u32_e32 v10, vcc, 0, v11, vcc
	v_lshlrev_b64 v[9:10], 2, v[9:10]
	v_mov_b32_e32 v11, s9
	v_add_co_u32_e32 v16, vcc, s8, v9
	v_addc_co_u32_e32 v17, vcc, v11, v10, vcc
	v_mov_b32_e32 v11, 0
	v_mov_b32_e32 v12, 0
	;; [unrolled: 1-line block ×6, first 2 shown]
	s_branch .LBB550_8
.LBB550_7:                              ;   in Loop: Header=BB550_8 Depth=1
	s_or_b64 exec, exec, s[0:1]
	s_add_u32 s18, s18, 1
	s_addc_u32 s19, s19, 0
	v_cmp_lt_i64_e32 vcc, s[18:19], v[18:19]
	v_add_co_u32_e64 v16, s[0:1], 4, v16
	v_addc_co_u32_e64 v17, s[0:1], 0, v17, s[0:1]
	s_cbranch_vccz .LBB550_10
.LBB550_8:                              ; =>This Inner Loop Header: Depth=1
	v_mov_b32_e32 v23, s19
	v_add_co_u32_e32 v22, vcc, s18, v21
	v_addc_co_u32_e32 v23, vcc, 0, v23, vcc
	v_cmp_gt_i64_e32 vcc, s[4:5], v[22:23]
	s_and_saveexec_b64 s[0:1], vcc
	s_cbranch_execz .LBB550_7
; %bb.9:                                ;   in Loop: Header=BB550_8 Depth=1
	global_load_dword v22, v[16:17], off
	global_load_dwordx2 v[26:27], v[14:15], off
	v_mov_b32_e32 v24, s3
	s_waitcnt vmcnt(1)
	v_subrev_u32_e32 v22, s14, v22
	v_mad_u64_u32 v[22:23], s[8:9], v22, 23, v[13:14]
	s_waitcnt vmcnt(0)
	v_cvt_f64_f32_e32 v[28:29], v26
	v_cvt_f64_f32_e32 v[26:27], v27
	v_ashrrev_i32_e32 v23, 31, v22
	v_lshlrev_b64 v[22:23], 4, v[22:23]
	v_add_co_u32_e32 v22, vcc, s2, v22
	v_addc_co_u32_e32 v23, vcc, v24, v23, vcc
	global_load_dwordx4 v[22:25], v[22:23], off
	v_add_co_u32_e32 v14, vcc, 0x1088, v14
	v_addc_co_u32_e32 v15, vcc, 0, v15, vcc
	s_waitcnt vmcnt(0)
	v_fma_f64 v[9:10], v[28:29], v[22:23], v[9:10]
	v_fma_f64 v[11:12], v[26:27], v[22:23], v[11:12]
	v_fma_f64 v[9:10], -v[26:27], v[24:25], v[9:10]
	v_fma_f64 v[11:12], v[28:29], v[24:25], v[11:12]
	s_branch .LBB550_7
.LBB550_10:
	v_lshlrev_b32_e32 v17, 4, v0
	s_and_b64 vcc, exec, s[16:17]
	ds_write_b128 v17, v[9:12]
	s_waitcnt lgkmcnt(0)
	s_barrier
	s_cbranch_vccz .LBB550_22
; %bb.11:
	v_cmp_gt_u16_e32 vcc, 7, v20
	s_and_saveexec_b64 s[0:1], vcc
	s_cbranch_execz .LBB550_13
; %bb.12:
	ds_read_b128 v[13:16], v17 offset:256
	ds_read_b128 v[21:24], v17
	s_waitcnt lgkmcnt(0)
	v_add_f64 v[13:14], v[13:14], v[21:22]
	v_add_f64 v[15:16], v[15:16], v[23:24]
	ds_write_b128 v17, v[13:16]
.LBB550_13:
	s_or_b64 exec, exec, s[0:1]
	v_cmp_gt_u16_e32 vcc, 8, v20
	s_waitcnt lgkmcnt(0)
	s_barrier
	s_and_saveexec_b64 s[0:1], vcc
	s_cbranch_execz .LBB550_15
; %bb.14:
	ds_read_b128 v[13:16], v17 offset:128
	ds_read_b128 v[21:24], v17
	s_waitcnt lgkmcnt(0)
	v_add_f64 v[13:14], v[13:14], v[21:22]
	v_add_f64 v[15:16], v[15:16], v[23:24]
	ds_write_b128 v17, v[13:16]
.LBB550_15:
	s_or_b64 exec, exec, s[0:1]
	v_cmp_gt_u16_e32 vcc, 4, v20
	s_waitcnt lgkmcnt(0)
	s_barrier
	;; [unrolled: 14-line block ×3, first 2 shown]
	s_and_saveexec_b64 s[0:1], vcc
	s_cbranch_execz .LBB550_19
; %bb.18:
	ds_read_b128 v[13:16], v17
	ds_read_b128 v[18:21], v17 offset:32
	s_waitcnt lgkmcnt(0)
	v_add_f64 v[13:14], v[18:19], v[13:14]
	v_add_f64 v[15:16], v[20:21], v[15:16]
	ds_write_b128 v17, v[13:16]
.LBB550_19:
	s_or_b64 exec, exec, s[0:1]
	v_mov_b32_e32 v16, v12
	v_mov_b32_e32 v14, v10
	v_cmp_gt_u32_e32 vcc, 23, v0
	v_mov_b32_e32 v15, v11
	v_mov_b32_e32 v13, v9
	s_waitcnt lgkmcnt(0)
	s_barrier
	s_and_saveexec_b64 s[0:1], vcc
	s_cbranch_execz .LBB550_21
; %bb.20:
	s_movk_i32 s2, 0x160
	v_mad_u32_u24 v18, v0, s2, v17
	ds_read_b128 v[13:16], v18
	ds_read_b128 v[18:21], v18 offset:16
	s_waitcnt lgkmcnt(0)
	v_add_f64 v[13:14], v[18:19], v[13:14]
	v_add_f64 v[15:16], v[20:21], v[15:16]
.LBB550_21:
	s_or_b64 exec, exec, s[0:1]
	s_branch .LBB550_34
.LBB550_22:
                                        ; implicit-def: $vgpr15_vgpr16
                                        ; implicit-def: $vgpr13_vgpr14
	s_cbranch_execz .LBB550_34
; %bb.23:
	s_movk_i32 s0, 0xa1
	v_cmp_gt_u32_e32 vcc, s0, v0
	s_and_saveexec_b64 s[0:1], vcc
	s_cbranch_execz .LBB550_25
; %bb.24:
	ds_read_b128 v[13:16], v17 offset:5888
	ds_read_b128 v[18:21], v17
	s_waitcnt lgkmcnt(0)
	v_add_f64 v[13:14], v[13:14], v[18:19]
	v_add_f64 v[15:16], v[15:16], v[20:21]
	ds_write_b128 v17, v[13:16]
.LBB550_25:
	s_or_b64 exec, exec, s[0:1]
	s_movk_i32 s0, 0xb8
	v_cmp_gt_u32_e32 vcc, s0, v0
	s_waitcnt lgkmcnt(0)
	s_barrier
	s_and_saveexec_b64 s[0:1], vcc
	s_cbranch_execz .LBB550_27
; %bb.26:
	ds_read_b128 v[13:16], v17 offset:2944
	ds_read_b128 v[18:21], v17
	s_waitcnt lgkmcnt(0)
	v_add_f64 v[13:14], v[13:14], v[18:19]
	v_add_f64 v[15:16], v[15:16], v[20:21]
	ds_write_b128 v17, v[13:16]
.LBB550_27:
	s_or_b64 exec, exec, s[0:1]
	s_movk_i32 s0, 0x5c
	v_cmp_gt_u32_e32 vcc, s0, v0
	s_waitcnt lgkmcnt(0)
	s_barrier
	s_and_saveexec_b64 s[0:1], vcc
	s_cbranch_execz .LBB550_29
; %bb.28:
	ds_read_b128 v[13:16], v17 offset:1472
	ds_read_b128 v[18:21], v17
	s_waitcnt lgkmcnt(0)
	v_add_f64 v[13:14], v[13:14], v[18:19]
	v_add_f64 v[15:16], v[15:16], v[20:21]
	ds_write_b128 v17, v[13:16]
.LBB550_29:
	s_or_b64 exec, exec, s[0:1]
	v_cmp_gt_u32_e32 vcc, 46, v0
	s_waitcnt lgkmcnt(0)
	s_barrier
	s_and_saveexec_b64 s[0:1], vcc
	s_cbranch_execz .LBB550_31
; %bb.30:
	ds_read_b128 v[13:16], v17 offset:736
	ds_read_b128 v[18:21], v17
	s_waitcnt lgkmcnt(0)
	v_add_f64 v[13:14], v[13:14], v[18:19]
	v_add_f64 v[15:16], v[15:16], v[20:21]
	ds_write_b128 v17, v[13:16]
.LBB550_31:
	s_or_b64 exec, exec, s[0:1]
	v_cmp_gt_u32_e32 vcc, 23, v0
	s_waitcnt lgkmcnt(0)
	s_and_saveexec_b64 s[0:1], vcc
	s_cbranch_execz .LBB550_33
; %bb.32:
	ds_read_b128 v[9:12], v17 offset:368
	ds_read_b128 v[13:16], v17
	s_waitcnt lgkmcnt(0)
	v_add_f64 v[9:10], v[9:10], v[13:14]
	v_add_f64 v[11:12], v[11:12], v[15:16]
.LBB550_33:
	s_or_b64 exec, exec, s[0:1]
	v_mov_b32_e32 v16, v12
	v_mov_b32_e32 v14, v10
	;; [unrolled: 1-line block ×4, first 2 shown]
.LBB550_34:
	v_cmp_gt_u32_e32 vcc, 23, v0
	s_and_b64 exec, exec, vcc
	s_cbranch_execz .LBB550_39
; %bb.35:
	v_mul_f64 v[9:10], v[15:16], -v[7:8]
	v_mul_f64 v[11:12], v[5:6], v[15:16]
	v_cmp_eq_f64_e32 vcc, 0, v[1:2]
	v_cmp_eq_f64_e64 s[0:1], 0, v[3:4]
	v_fma_f64 v[5:6], v[5:6], v[13:14], v[9:10]
	v_fma_f64 v[7:8], v[7:8], v[13:14], v[11:12]
	s_and_b64 s[0:1], vcc, s[0:1]
	s_and_saveexec_b64 s[2:3], s[0:1]
	s_xor_b64 s[0:1], exec, s[2:3]
	s_cbranch_execz .LBB550_37
; %bb.36:
	v_mad_u64_u32 v[0:1], s[2:3], s6, 23, v[0:1]
	v_mov_b32_e32 v1, 0
	v_mov_b32_e32 v2, s13
	v_lshlrev_b64 v[0:1], 4, v[0:1]
	v_add_co_u32_e32 v0, vcc, s12, v0
	v_addc_co_u32_e32 v1, vcc, v2, v1, vcc
	global_store_dwordx4 v[0:1], v[5:8], off
                                        ; implicit-def: $vgpr0
                                        ; implicit-def: $vgpr1_vgpr2
                                        ; implicit-def: $vgpr5_vgpr6
.LBB550_37:
	s_andn2_saveexec_b64 s[0:1], s[0:1]
	s_cbranch_execz .LBB550_39
; %bb.38:
	v_mad_u64_u32 v[9:10], s[0:1], s6, 23, v[0:1]
	v_mov_b32_e32 v10, 0
	v_mov_b32_e32 v0, s13
	v_lshlrev_b64 v[9:10], 4, v[9:10]
	v_add_co_u32_e32 v13, vcc, s12, v9
	v_addc_co_u32_e32 v14, vcc, v0, v10, vcc
	global_load_dwordx4 v[9:12], v[13:14], off
	s_waitcnt vmcnt(0)
	v_fma_f64 v[5:6], v[1:2], v[9:10], v[5:6]
	v_fma_f64 v[7:8], v[3:4], v[9:10], v[7:8]
	v_fma_f64 v[3:4], -v[3:4], v[11:12], v[5:6]
	v_fma_f64 v[5:6], v[1:2], v[11:12], v[7:8]
	global_store_dwordx4 v[13:14], v[3:6], off
.LBB550_39:
	s_endpgm
	.section	.rodata,"a",@progbits
	.p2align	6, 0x0
	.amdhsa_kernel _ZN9rocsparseL20bsrxmvn_17_32_kernelILj23E21rocsparse_complex_numIdEliS1_IfES2_S2_EEvT2_20rocsparse_direction_NS_24const_host_device_scalarIT0_EES4_PKS4_PKT1_SD_SA_PKT3_PKT4_S8_PT5_21rocsparse_index_base_b
		.amdhsa_group_segment_fixed_size 8464
		.amdhsa_private_segment_fixed_size 0
		.amdhsa_kernarg_size 112
		.amdhsa_user_sgpr_count 6
		.amdhsa_user_sgpr_private_segment_buffer 1
		.amdhsa_user_sgpr_dispatch_ptr 0
		.amdhsa_user_sgpr_queue_ptr 0
		.amdhsa_user_sgpr_kernarg_segment_ptr 1
		.amdhsa_user_sgpr_dispatch_id 0
		.amdhsa_user_sgpr_flat_scratch_init 0
		.amdhsa_user_sgpr_private_segment_size 0
		.amdhsa_uses_dynamic_stack 0
		.amdhsa_system_sgpr_private_segment_wavefront_offset 0
		.amdhsa_system_sgpr_workgroup_id_x 1
		.amdhsa_system_sgpr_workgroup_id_y 0
		.amdhsa_system_sgpr_workgroup_id_z 0
		.amdhsa_system_sgpr_workgroup_info 0
		.amdhsa_system_vgpr_workitem_id 0
		.amdhsa_next_free_vgpr 30
		.amdhsa_next_free_sgpr 61
		.amdhsa_reserve_vcc 1
		.amdhsa_reserve_flat_scratch 0
		.amdhsa_float_round_mode_32 0
		.amdhsa_float_round_mode_16_64 0
		.amdhsa_float_denorm_mode_32 3
		.amdhsa_float_denorm_mode_16_64 3
		.amdhsa_dx10_clamp 1
		.amdhsa_ieee_mode 1
		.amdhsa_fp16_overflow 0
		.amdhsa_exception_fp_ieee_invalid_op 0
		.amdhsa_exception_fp_denorm_src 0
		.amdhsa_exception_fp_ieee_div_zero 0
		.amdhsa_exception_fp_ieee_overflow 0
		.amdhsa_exception_fp_ieee_underflow 0
		.amdhsa_exception_fp_ieee_inexact 0
		.amdhsa_exception_int_div_zero 0
	.end_amdhsa_kernel
	.section	.text._ZN9rocsparseL20bsrxmvn_17_32_kernelILj23E21rocsparse_complex_numIdEliS1_IfES2_S2_EEvT2_20rocsparse_direction_NS_24const_host_device_scalarIT0_EES4_PKS4_PKT1_SD_SA_PKT3_PKT4_S8_PT5_21rocsparse_index_base_b,"axG",@progbits,_ZN9rocsparseL20bsrxmvn_17_32_kernelILj23E21rocsparse_complex_numIdEliS1_IfES2_S2_EEvT2_20rocsparse_direction_NS_24const_host_device_scalarIT0_EES4_PKS4_PKT1_SD_SA_PKT3_PKT4_S8_PT5_21rocsparse_index_base_b,comdat
.Lfunc_end550:
	.size	_ZN9rocsparseL20bsrxmvn_17_32_kernelILj23E21rocsparse_complex_numIdEliS1_IfES2_S2_EEvT2_20rocsparse_direction_NS_24const_host_device_scalarIT0_EES4_PKS4_PKT1_SD_SA_PKT3_PKT4_S8_PT5_21rocsparse_index_base_b, .Lfunc_end550-_ZN9rocsparseL20bsrxmvn_17_32_kernelILj23E21rocsparse_complex_numIdEliS1_IfES2_S2_EEvT2_20rocsparse_direction_NS_24const_host_device_scalarIT0_EES4_PKS4_PKT1_SD_SA_PKT3_PKT4_S8_PT5_21rocsparse_index_base_b
                                        ; -- End function
	.set _ZN9rocsparseL20bsrxmvn_17_32_kernelILj23E21rocsparse_complex_numIdEliS1_IfES2_S2_EEvT2_20rocsparse_direction_NS_24const_host_device_scalarIT0_EES4_PKS4_PKT1_SD_SA_PKT3_PKT4_S8_PT5_21rocsparse_index_base_b.num_vgpr, 30
	.set _ZN9rocsparseL20bsrxmvn_17_32_kernelILj23E21rocsparse_complex_numIdEliS1_IfES2_S2_EEvT2_20rocsparse_direction_NS_24const_host_device_scalarIT0_EES4_PKS4_PKT1_SD_SA_PKT3_PKT4_S8_PT5_21rocsparse_index_base_b.num_agpr, 0
	.set _ZN9rocsparseL20bsrxmvn_17_32_kernelILj23E21rocsparse_complex_numIdEliS1_IfES2_S2_EEvT2_20rocsparse_direction_NS_24const_host_device_scalarIT0_EES4_PKS4_PKT1_SD_SA_PKT3_PKT4_S8_PT5_21rocsparse_index_base_b.numbered_sgpr, 22
	.set _ZN9rocsparseL20bsrxmvn_17_32_kernelILj23E21rocsparse_complex_numIdEliS1_IfES2_S2_EEvT2_20rocsparse_direction_NS_24const_host_device_scalarIT0_EES4_PKS4_PKT1_SD_SA_PKT3_PKT4_S8_PT5_21rocsparse_index_base_b.num_named_barrier, 0
	.set _ZN9rocsparseL20bsrxmvn_17_32_kernelILj23E21rocsparse_complex_numIdEliS1_IfES2_S2_EEvT2_20rocsparse_direction_NS_24const_host_device_scalarIT0_EES4_PKS4_PKT1_SD_SA_PKT3_PKT4_S8_PT5_21rocsparse_index_base_b.private_seg_size, 0
	.set _ZN9rocsparseL20bsrxmvn_17_32_kernelILj23E21rocsparse_complex_numIdEliS1_IfES2_S2_EEvT2_20rocsparse_direction_NS_24const_host_device_scalarIT0_EES4_PKS4_PKT1_SD_SA_PKT3_PKT4_S8_PT5_21rocsparse_index_base_b.uses_vcc, 1
	.set _ZN9rocsparseL20bsrxmvn_17_32_kernelILj23E21rocsparse_complex_numIdEliS1_IfES2_S2_EEvT2_20rocsparse_direction_NS_24const_host_device_scalarIT0_EES4_PKS4_PKT1_SD_SA_PKT3_PKT4_S8_PT5_21rocsparse_index_base_b.uses_flat_scratch, 0
	.set _ZN9rocsparseL20bsrxmvn_17_32_kernelILj23E21rocsparse_complex_numIdEliS1_IfES2_S2_EEvT2_20rocsparse_direction_NS_24const_host_device_scalarIT0_EES4_PKS4_PKT1_SD_SA_PKT3_PKT4_S8_PT5_21rocsparse_index_base_b.has_dyn_sized_stack, 0
	.set _ZN9rocsparseL20bsrxmvn_17_32_kernelILj23E21rocsparse_complex_numIdEliS1_IfES2_S2_EEvT2_20rocsparse_direction_NS_24const_host_device_scalarIT0_EES4_PKS4_PKT1_SD_SA_PKT3_PKT4_S8_PT5_21rocsparse_index_base_b.has_recursion, 0
	.set _ZN9rocsparseL20bsrxmvn_17_32_kernelILj23E21rocsparse_complex_numIdEliS1_IfES2_S2_EEvT2_20rocsparse_direction_NS_24const_host_device_scalarIT0_EES4_PKS4_PKT1_SD_SA_PKT3_PKT4_S8_PT5_21rocsparse_index_base_b.has_indirect_call, 0
	.section	.AMDGPU.csdata,"",@progbits
; Kernel info:
; codeLenInByte = 1732
; TotalNumSgprs: 26
; NumVgprs: 30
; ScratchSize: 0
; MemoryBound: 0
; FloatMode: 240
; IeeeMode: 1
; LDSByteSize: 8464 bytes/workgroup (compile time only)
; SGPRBlocks: 8
; VGPRBlocks: 7
; NumSGPRsForWavesPerEU: 65
; NumVGPRsForWavesPerEU: 30
; Occupancy: 8
; WaveLimiterHint : 1
; COMPUTE_PGM_RSRC2:SCRATCH_EN: 0
; COMPUTE_PGM_RSRC2:USER_SGPR: 6
; COMPUTE_PGM_RSRC2:TRAP_HANDLER: 0
; COMPUTE_PGM_RSRC2:TGID_X_EN: 1
; COMPUTE_PGM_RSRC2:TGID_Y_EN: 0
; COMPUTE_PGM_RSRC2:TGID_Z_EN: 0
; COMPUTE_PGM_RSRC2:TIDIG_COMP_CNT: 0
	.section	.text._ZN9rocsparseL20bsrxmvn_17_32_kernelILj24E21rocsparse_complex_numIdEliS1_IfES2_S2_EEvT2_20rocsparse_direction_NS_24const_host_device_scalarIT0_EES4_PKS4_PKT1_SD_SA_PKT3_PKT4_S8_PT5_21rocsparse_index_base_b,"axG",@progbits,_ZN9rocsparseL20bsrxmvn_17_32_kernelILj24E21rocsparse_complex_numIdEliS1_IfES2_S2_EEvT2_20rocsparse_direction_NS_24const_host_device_scalarIT0_EES4_PKS4_PKT1_SD_SA_PKT3_PKT4_S8_PT5_21rocsparse_index_base_b,comdat
	.globl	_ZN9rocsparseL20bsrxmvn_17_32_kernelILj24E21rocsparse_complex_numIdEliS1_IfES2_S2_EEvT2_20rocsparse_direction_NS_24const_host_device_scalarIT0_EES4_PKS4_PKT1_SD_SA_PKT3_PKT4_S8_PT5_21rocsparse_index_base_b ; -- Begin function _ZN9rocsparseL20bsrxmvn_17_32_kernelILj24E21rocsparse_complex_numIdEliS1_IfES2_S2_EEvT2_20rocsparse_direction_NS_24const_host_device_scalarIT0_EES4_PKS4_PKT1_SD_SA_PKT3_PKT4_S8_PT5_21rocsparse_index_base_b
	.p2align	8
	.type	_ZN9rocsparseL20bsrxmvn_17_32_kernelILj24E21rocsparse_complex_numIdEliS1_IfES2_S2_EEvT2_20rocsparse_direction_NS_24const_host_device_scalarIT0_EES4_PKS4_PKT1_SD_SA_PKT3_PKT4_S8_PT5_21rocsparse_index_base_b,@function
_ZN9rocsparseL20bsrxmvn_17_32_kernelILj24E21rocsparse_complex_numIdEliS1_IfES2_S2_EEvT2_20rocsparse_direction_NS_24const_host_device_scalarIT0_EES4_PKS4_PKT1_SD_SA_PKT3_PKT4_S8_PT5_21rocsparse_index_base_b: ; @_ZN9rocsparseL20bsrxmvn_17_32_kernelILj24E21rocsparse_complex_numIdEliS1_IfES2_S2_EEvT2_20rocsparse_direction_NS_24const_host_device_scalarIT0_EES4_PKS4_PKT1_SD_SA_PKT3_PKT4_S8_PT5_21rocsparse_index_base_b
; %bb.0:
	s_load_dwordx2 s[0:1], s[4:5], 0x8
	s_load_dwordx2 s[14:15], s[4:5], 0x68
	s_add_u32 s7, s4, 8
	s_addc_u32 s8, s5, 0
	s_add_u32 s9, s4, 0x50
	s_addc_u32 s10, s5, 0
	s_waitcnt lgkmcnt(0)
	s_bitcmp1_b32 s15, 0
	s_cselect_b32 s1, s8, s1
	s_cselect_b32 s0, s7, s0
	v_mov_b32_e32 v1, s0
	v_mov_b32_e32 v2, s1
	flat_load_dwordx4 v[5:8], v[1:2]
	s_load_dwordx2 s[2:3], s[4:5], 0x50
	s_waitcnt lgkmcnt(0)
	s_cselect_b32 s0, s10, s3
	s_cselect_b32 s1, s9, s2
	v_mov_b32_e32 v1, s1
	v_mov_b32_e32 v2, s0
	flat_load_dwordx4 v[1:4], v[1:2]
	s_waitcnt vmcnt(0)
	v_cmp_eq_f64_e32 vcc, 0, v[5:6]
	v_cmp_eq_f64_e64 s[0:1], 0, v[7:8]
	s_and_b64 s[8:9], vcc, s[0:1]
	s_mov_b64 s[0:1], -1
	s_and_saveexec_b64 s[2:3], s[8:9]
	s_cbranch_execz .LBB551_2
; %bb.1:
	s_waitcnt lgkmcnt(0)
	v_cmp_neq_f64_e32 vcc, 1.0, v[1:2]
	v_cmp_neq_f64_e64 s[0:1], 0, v[3:4]
	s_or_b64 s[0:1], vcc, s[0:1]
	s_orn2_b64 s[0:1], s[0:1], exec
.LBB551_2:
	s_or_b64 exec, exec, s[2:3]
	s_and_saveexec_b64 s[2:3], s[0:1]
	s_cbranch_execz .LBB551_39
; %bb.3:
	s_load_dwordx4 s[0:3], s[4:5], 0x20
	s_load_dwordx2 s[8:9], s[4:5], 0x30
	s_waitcnt lgkmcnt(0)
	s_cmp_eq_u64 s[0:1], 0
	s_cbranch_scc1 .LBB551_5
; %bb.4:
	s_ashr_i32 s7, s6, 31
	s_lshl_b64 s[6:7], s[6:7], 2
	s_add_u32 s0, s0, s6
	s_addc_u32 s1, s1, s7
	s_load_dword s0, s[0:1], 0x0
	s_waitcnt lgkmcnt(0)
	s_sub_i32 s6, s0, s14
.LBB551_5:
	s_load_dword s7, s[4:5], 0x4
	s_load_dwordx2 s[12:13], s[4:5], 0x60
	v_mul_u32_u24_e32 v13, 0xaab, v0
	v_mov_b32_e32 v9, 24
	v_mul_lo_u16_sdwa v9, v13, v9 dst_sel:DWORD dst_unused:UNUSED_PAD src0_sel:WORD_1 src1_sel:DWORD
	s_waitcnt lgkmcnt(0)
	s_cmp_eq_u32 s7, 1
	s_cselect_b64 s[0:1], -1, 0
	s_cmp_lg_u32 s7, 1
	s_cselect_b64 s[16:17], -1, 0
	s_ashr_i32 s7, s6, 31
	s_lshl_b64 s[10:11], s[6:7], 3
	s_add_u32 s2, s2, s10
	s_addc_u32 s3, s3, s11
	s_add_u32 s7, s2, 8
	s_addc_u32 s15, s3, 0
	;; [unrolled: 2-line block ×3, first 2 shown]
	s_cmp_eq_u64 s[8:9], 0
	s_cselect_b32 s9, s15, s11
	s_cselect_b32 s8, s7, s10
	s_load_dwordx2 s[18:19], s[8:9], 0x0
	s_load_dwordx2 s[20:21], s[2:3], 0x0
	v_sub_u16_e32 v20, v0, v9
	v_mov_b32_e32 v11, 0
	v_mov_b32_e32 v12, 0
	s_waitcnt lgkmcnt(0)
	v_mov_b32_e32 v9, s18
	v_mov_b32_e32 v10, s19
	v_cmp_ge_i64_e32 vcc, s[20:21], v[9:10]
	v_mov_b32_e32 v9, 0
	v_mov_b32_e32 v10, 0
	s_cbranch_vccnz .LBB551_10
; %bb.6:
	s_load_dwordx2 s[2:3], s[4:5], 0x48
	s_load_dwordx4 s[8:11], s[4:5], 0x38
	s_sub_u32 s4, s18, s14
	s_mov_b32 s7, 0xffff
	s_subb_u32 s5, s19, 0
	s_movk_i32 s15, 0x240
	v_and_b32_sdwa v9, s7, v13 dst_sel:DWORD dst_unused:UNUSED_PAD src0_sel:DWORD src1_sel:WORD_1
	v_subrev_u32_e32 v10, 24, v9
	v_cmp_gt_u32_e32 vcc, s15, v0
	s_sub_u32 s18, s20, s14
	v_cndmask_b32_e32 v9, v10, v9, vcc
	s_subb_u32 s19, s21, 0
	v_cndmask_b32_e64 v13, v20, v9, s[0:1]
	s_mul_i32 s0, s19, 0x1200
	s_mul_hi_u32 s1, s18, 0x1200
	s_add_i32 s1, s1, s0
	s_mul_i32 s0, s18, 0x1200
	s_waitcnt lgkmcnt(0)
	s_add_u32 s0, s10, s0
	s_addc_u32 s1, s11, s1
	v_lshlrev_b32_e32 v9, 3, v0
	v_mov_b32_e32 v10, s1
	v_add_co_u32_e32 v14, vcc, s0, v9
	v_addc_co_u32_e32 v15, vcc, 0, v10, vcc
	s_movk_i32 s0, 0x23f
	v_cmp_lt_u32_e32 vcc, s0, v0
	v_cndmask_b32_e64 v21, 0, 1, vcc
	v_mov_b32_e32 v9, s21
	v_add_co_u32_e32 v10, vcc, s20, v21
	v_addc_co_u32_e32 v11, vcc, 0, v9, vcc
	v_subrev_co_u32_e32 v9, vcc, s14, v10
	v_subbrev_co_u32_e32 v10, vcc, 0, v11, vcc
	v_lshlrev_b64 v[9:10], 2, v[9:10]
	v_mov_b32_e32 v11, s9
	v_add_co_u32_e32 v16, vcc, s8, v9
	v_addc_co_u32_e32 v17, vcc, v11, v10, vcc
	v_mov_b32_e32 v11, 0
	v_mov_b32_e32 v12, 0
	;; [unrolled: 1-line block ×6, first 2 shown]
	s_branch .LBB551_8
.LBB551_7:                              ;   in Loop: Header=BB551_8 Depth=1
	s_or_b64 exec, exec, s[0:1]
	s_add_u32 s18, s18, 1
	s_addc_u32 s19, s19, 0
	v_cmp_lt_i64_e32 vcc, s[18:19], v[18:19]
	v_add_co_u32_e64 v16, s[0:1], 4, v16
	v_addc_co_u32_e64 v17, s[0:1], 0, v17, s[0:1]
	s_cbranch_vccz .LBB551_10
.LBB551_8:                              ; =>This Inner Loop Header: Depth=1
	v_mov_b32_e32 v23, s19
	v_add_co_u32_e32 v22, vcc, s18, v21
	v_addc_co_u32_e32 v23, vcc, 0, v23, vcc
	v_cmp_gt_i64_e32 vcc, s[4:5], v[22:23]
	s_and_saveexec_b64 s[0:1], vcc
	s_cbranch_execz .LBB551_7
; %bb.9:                                ;   in Loop: Header=BB551_8 Depth=1
	global_load_dword v22, v[16:17], off
	global_load_dwordx2 v[26:27], v[14:15], off
	v_mov_b32_e32 v24, s3
	s_waitcnt vmcnt(1)
	v_subrev_u32_e32 v22, s14, v22
	v_mad_u64_u32 v[22:23], s[8:9], v22, 24, v[13:14]
	s_waitcnt vmcnt(0)
	v_cvt_f64_f32_e32 v[28:29], v26
	v_cvt_f64_f32_e32 v[26:27], v27
	v_ashrrev_i32_e32 v23, 31, v22
	v_lshlrev_b64 v[22:23], 4, v[22:23]
	v_add_co_u32_e32 v22, vcc, s2, v22
	v_addc_co_u32_e32 v23, vcc, v24, v23, vcc
	global_load_dwordx4 v[22:25], v[22:23], off
	v_add_co_u32_e32 v14, vcc, 0x1200, v14
	v_addc_co_u32_e32 v15, vcc, 0, v15, vcc
	s_waitcnt vmcnt(0)
	v_fma_f64 v[9:10], v[28:29], v[22:23], v[9:10]
	v_fma_f64 v[11:12], v[26:27], v[22:23], v[11:12]
	v_fma_f64 v[9:10], -v[26:27], v[24:25], v[9:10]
	v_fma_f64 v[11:12], v[28:29], v[24:25], v[11:12]
	s_branch .LBB551_7
.LBB551_10:
	v_lshlrev_b32_e32 v17, 4, v0
	s_and_b64 vcc, exec, s[16:17]
	ds_write_b128 v17, v[9:12]
	s_waitcnt lgkmcnt(0)
	s_barrier
	s_cbranch_vccz .LBB551_22
; %bb.11:
	v_cmp_gt_u16_e32 vcc, 8, v20
	s_and_saveexec_b64 s[0:1], vcc
	s_cbranch_execz .LBB551_13
; %bb.12:
	ds_read_b128 v[13:16], v17 offset:256
	ds_read_b128 v[21:24], v17
	s_waitcnt lgkmcnt(0)
	v_add_f64 v[13:14], v[13:14], v[21:22]
	v_add_f64 v[15:16], v[15:16], v[23:24]
	ds_write_b128 v17, v[13:16]
.LBB551_13:
	s_or_b64 exec, exec, s[0:1]
	s_waitcnt lgkmcnt(0)
	s_barrier
	s_and_saveexec_b64 s[0:1], vcc
	s_cbranch_execz .LBB551_15
; %bb.14:
	ds_read_b128 v[13:16], v17 offset:128
	ds_read_b128 v[21:24], v17
	s_waitcnt lgkmcnt(0)
	v_add_f64 v[13:14], v[13:14], v[21:22]
	v_add_f64 v[15:16], v[15:16], v[23:24]
	ds_write_b128 v17, v[13:16]
.LBB551_15:
	s_or_b64 exec, exec, s[0:1]
	v_cmp_gt_u16_e32 vcc, 4, v20
	s_waitcnt lgkmcnt(0)
	s_barrier
	s_and_saveexec_b64 s[0:1], vcc
	s_cbranch_execz .LBB551_17
; %bb.16:
	ds_read_b128 v[13:16], v17 offset:64
	ds_read_b128 v[21:24], v17
	s_waitcnt lgkmcnt(0)
	v_add_f64 v[13:14], v[13:14], v[21:22]
	v_add_f64 v[15:16], v[15:16], v[23:24]
	ds_write_b128 v17, v[13:16]
.LBB551_17:
	s_or_b64 exec, exec, s[0:1]
	v_cmp_gt_u16_e32 vcc, 2, v20
	s_waitcnt lgkmcnt(0)
	s_barrier
	s_and_saveexec_b64 s[0:1], vcc
	s_cbranch_execz .LBB551_19
; %bb.18:
	ds_read_b128 v[13:16], v17
	ds_read_b128 v[18:21], v17 offset:32
	s_waitcnt lgkmcnt(0)
	v_add_f64 v[13:14], v[18:19], v[13:14]
	v_add_f64 v[15:16], v[20:21], v[15:16]
	ds_write_b128 v17, v[13:16]
.LBB551_19:
	s_or_b64 exec, exec, s[0:1]
	v_mov_b32_e32 v16, v12
	v_mov_b32_e32 v14, v10
	v_cmp_gt_u32_e32 vcc, 24, v0
	v_mov_b32_e32 v15, v11
	v_mov_b32_e32 v13, v9
	s_waitcnt lgkmcnt(0)
	s_barrier
	s_and_saveexec_b64 s[0:1], vcc
	s_cbranch_execz .LBB551_21
; %bb.20:
	s_movk_i32 s2, 0x170
	v_mad_u32_u24 v18, v0, s2, v17
	ds_read_b128 v[13:16], v18
	ds_read_b128 v[18:21], v18 offset:16
	s_waitcnt lgkmcnt(0)
	v_add_f64 v[13:14], v[18:19], v[13:14]
	v_add_f64 v[15:16], v[20:21], v[15:16]
.LBB551_21:
	s_or_b64 exec, exec, s[0:1]
	s_branch .LBB551_34
.LBB551_22:
                                        ; implicit-def: $vgpr15_vgpr16
                                        ; implicit-def: $vgpr13_vgpr14
	s_cbranch_execz .LBB551_34
; %bb.23:
	s_movk_i32 s0, 0xc0
	v_cmp_gt_u32_e32 vcc, s0, v0
	s_and_saveexec_b64 s[0:1], vcc
	s_cbranch_execz .LBB551_25
; %bb.24:
	ds_read_b128 v[13:16], v17 offset:6144
	ds_read_b128 v[18:21], v17
	s_waitcnt lgkmcnt(0)
	v_add_f64 v[13:14], v[13:14], v[18:19]
	v_add_f64 v[15:16], v[15:16], v[20:21]
	ds_write_b128 v17, v[13:16]
.LBB551_25:
	s_or_b64 exec, exec, s[0:1]
	s_waitcnt lgkmcnt(0)
	s_barrier
	s_and_saveexec_b64 s[0:1], vcc
	s_cbranch_execz .LBB551_27
; %bb.26:
	ds_read_b128 v[13:16], v17 offset:3072
	ds_read_b128 v[18:21], v17
	s_waitcnt lgkmcnt(0)
	v_add_f64 v[13:14], v[13:14], v[18:19]
	v_add_f64 v[15:16], v[15:16], v[20:21]
	ds_write_b128 v17, v[13:16]
.LBB551_27:
	s_or_b64 exec, exec, s[0:1]
	s_movk_i32 s0, 0x60
	v_cmp_gt_u32_e32 vcc, s0, v0
	s_waitcnt lgkmcnt(0)
	s_barrier
	s_and_saveexec_b64 s[0:1], vcc
	s_cbranch_execz .LBB551_29
; %bb.28:
	ds_read_b128 v[13:16], v17 offset:1536
	ds_read_b128 v[18:21], v17
	s_waitcnt lgkmcnt(0)
	v_add_f64 v[13:14], v[13:14], v[18:19]
	v_add_f64 v[15:16], v[15:16], v[20:21]
	ds_write_b128 v17, v[13:16]
.LBB551_29:
	s_or_b64 exec, exec, s[0:1]
	v_cmp_gt_u32_e32 vcc, 48, v0
	s_waitcnt lgkmcnt(0)
	s_barrier
	s_and_saveexec_b64 s[0:1], vcc
	s_cbranch_execz .LBB551_31
; %bb.30:
	ds_read_b128 v[13:16], v17 offset:768
	ds_read_b128 v[18:21], v17
	s_waitcnt lgkmcnt(0)
	v_add_f64 v[13:14], v[13:14], v[18:19]
	v_add_f64 v[15:16], v[15:16], v[20:21]
	ds_write_b128 v17, v[13:16]
.LBB551_31:
	s_or_b64 exec, exec, s[0:1]
	v_cmp_gt_u32_e32 vcc, 24, v0
	s_waitcnt lgkmcnt(0)
	s_and_saveexec_b64 s[0:1], vcc
	s_cbranch_execz .LBB551_33
; %bb.32:
	ds_read_b128 v[9:12], v17 offset:384
	ds_read_b128 v[13:16], v17
	s_waitcnt lgkmcnt(0)
	v_add_f64 v[9:10], v[9:10], v[13:14]
	v_add_f64 v[11:12], v[11:12], v[15:16]
.LBB551_33:
	s_or_b64 exec, exec, s[0:1]
	v_mov_b32_e32 v16, v12
	v_mov_b32_e32 v14, v10
	;; [unrolled: 1-line block ×4, first 2 shown]
.LBB551_34:
	v_cmp_gt_u32_e32 vcc, 24, v0
	s_and_b64 exec, exec, vcc
	s_cbranch_execz .LBB551_39
; %bb.35:
	v_mul_f64 v[9:10], v[15:16], -v[7:8]
	v_mul_f64 v[11:12], v[5:6], v[15:16]
	v_cmp_eq_f64_e32 vcc, 0, v[1:2]
	v_cmp_eq_f64_e64 s[0:1], 0, v[3:4]
	v_fma_f64 v[5:6], v[5:6], v[13:14], v[9:10]
	v_fma_f64 v[7:8], v[7:8], v[13:14], v[11:12]
	s_and_b64 s[0:1], vcc, s[0:1]
	s_and_saveexec_b64 s[2:3], s[0:1]
	s_xor_b64 s[0:1], exec, s[2:3]
	s_cbranch_execz .LBB551_37
; %bb.36:
	v_mad_u64_u32 v[0:1], s[2:3], s6, 24, v[0:1]
	v_mov_b32_e32 v1, 0
	v_mov_b32_e32 v2, s13
	v_lshlrev_b64 v[0:1], 4, v[0:1]
	v_add_co_u32_e32 v0, vcc, s12, v0
	v_addc_co_u32_e32 v1, vcc, v2, v1, vcc
	global_store_dwordx4 v[0:1], v[5:8], off
                                        ; implicit-def: $vgpr0
                                        ; implicit-def: $vgpr1_vgpr2
                                        ; implicit-def: $vgpr5_vgpr6
.LBB551_37:
	s_andn2_saveexec_b64 s[0:1], s[0:1]
	s_cbranch_execz .LBB551_39
; %bb.38:
	v_mad_u64_u32 v[9:10], s[0:1], s6, 24, v[0:1]
	v_mov_b32_e32 v10, 0
	v_mov_b32_e32 v0, s13
	v_lshlrev_b64 v[9:10], 4, v[9:10]
	v_add_co_u32_e32 v13, vcc, s12, v9
	v_addc_co_u32_e32 v14, vcc, v0, v10, vcc
	global_load_dwordx4 v[9:12], v[13:14], off
	s_waitcnt vmcnt(0)
	v_fma_f64 v[5:6], v[1:2], v[9:10], v[5:6]
	v_fma_f64 v[7:8], v[3:4], v[9:10], v[7:8]
	v_fma_f64 v[3:4], -v[3:4], v[11:12], v[5:6]
	v_fma_f64 v[5:6], v[1:2], v[11:12], v[7:8]
	global_store_dwordx4 v[13:14], v[3:6], off
.LBB551_39:
	s_endpgm
	.section	.rodata,"a",@progbits
	.p2align	6, 0x0
	.amdhsa_kernel _ZN9rocsparseL20bsrxmvn_17_32_kernelILj24E21rocsparse_complex_numIdEliS1_IfES2_S2_EEvT2_20rocsparse_direction_NS_24const_host_device_scalarIT0_EES4_PKS4_PKT1_SD_SA_PKT3_PKT4_S8_PT5_21rocsparse_index_base_b
		.amdhsa_group_segment_fixed_size 9216
		.amdhsa_private_segment_fixed_size 0
		.amdhsa_kernarg_size 112
		.amdhsa_user_sgpr_count 6
		.amdhsa_user_sgpr_private_segment_buffer 1
		.amdhsa_user_sgpr_dispatch_ptr 0
		.amdhsa_user_sgpr_queue_ptr 0
		.amdhsa_user_sgpr_kernarg_segment_ptr 1
		.amdhsa_user_sgpr_dispatch_id 0
		.amdhsa_user_sgpr_flat_scratch_init 0
		.amdhsa_user_sgpr_private_segment_size 0
		.amdhsa_uses_dynamic_stack 0
		.amdhsa_system_sgpr_private_segment_wavefront_offset 0
		.amdhsa_system_sgpr_workgroup_id_x 1
		.amdhsa_system_sgpr_workgroup_id_y 0
		.amdhsa_system_sgpr_workgroup_id_z 0
		.amdhsa_system_sgpr_workgroup_info 0
		.amdhsa_system_vgpr_workitem_id 0
		.amdhsa_next_free_vgpr 30
		.amdhsa_next_free_sgpr 61
		.amdhsa_reserve_vcc 1
		.amdhsa_reserve_flat_scratch 0
		.amdhsa_float_round_mode_32 0
		.amdhsa_float_round_mode_16_64 0
		.amdhsa_float_denorm_mode_32 3
		.amdhsa_float_denorm_mode_16_64 3
		.amdhsa_dx10_clamp 1
		.amdhsa_ieee_mode 1
		.amdhsa_fp16_overflow 0
		.amdhsa_exception_fp_ieee_invalid_op 0
		.amdhsa_exception_fp_denorm_src 0
		.amdhsa_exception_fp_ieee_div_zero 0
		.amdhsa_exception_fp_ieee_overflow 0
		.amdhsa_exception_fp_ieee_underflow 0
		.amdhsa_exception_fp_ieee_inexact 0
		.amdhsa_exception_int_div_zero 0
	.end_amdhsa_kernel
	.section	.text._ZN9rocsparseL20bsrxmvn_17_32_kernelILj24E21rocsparse_complex_numIdEliS1_IfES2_S2_EEvT2_20rocsparse_direction_NS_24const_host_device_scalarIT0_EES4_PKS4_PKT1_SD_SA_PKT3_PKT4_S8_PT5_21rocsparse_index_base_b,"axG",@progbits,_ZN9rocsparseL20bsrxmvn_17_32_kernelILj24E21rocsparse_complex_numIdEliS1_IfES2_S2_EEvT2_20rocsparse_direction_NS_24const_host_device_scalarIT0_EES4_PKS4_PKT1_SD_SA_PKT3_PKT4_S8_PT5_21rocsparse_index_base_b,comdat
.Lfunc_end551:
	.size	_ZN9rocsparseL20bsrxmvn_17_32_kernelILj24E21rocsparse_complex_numIdEliS1_IfES2_S2_EEvT2_20rocsparse_direction_NS_24const_host_device_scalarIT0_EES4_PKS4_PKT1_SD_SA_PKT3_PKT4_S8_PT5_21rocsparse_index_base_b, .Lfunc_end551-_ZN9rocsparseL20bsrxmvn_17_32_kernelILj24E21rocsparse_complex_numIdEliS1_IfES2_S2_EEvT2_20rocsparse_direction_NS_24const_host_device_scalarIT0_EES4_PKS4_PKT1_SD_SA_PKT3_PKT4_S8_PT5_21rocsparse_index_base_b
                                        ; -- End function
	.set _ZN9rocsparseL20bsrxmvn_17_32_kernelILj24E21rocsparse_complex_numIdEliS1_IfES2_S2_EEvT2_20rocsparse_direction_NS_24const_host_device_scalarIT0_EES4_PKS4_PKT1_SD_SA_PKT3_PKT4_S8_PT5_21rocsparse_index_base_b.num_vgpr, 30
	.set _ZN9rocsparseL20bsrxmvn_17_32_kernelILj24E21rocsparse_complex_numIdEliS1_IfES2_S2_EEvT2_20rocsparse_direction_NS_24const_host_device_scalarIT0_EES4_PKS4_PKT1_SD_SA_PKT3_PKT4_S8_PT5_21rocsparse_index_base_b.num_agpr, 0
	.set _ZN9rocsparseL20bsrxmvn_17_32_kernelILj24E21rocsparse_complex_numIdEliS1_IfES2_S2_EEvT2_20rocsparse_direction_NS_24const_host_device_scalarIT0_EES4_PKS4_PKT1_SD_SA_PKT3_PKT4_S8_PT5_21rocsparse_index_base_b.numbered_sgpr, 22
	.set _ZN9rocsparseL20bsrxmvn_17_32_kernelILj24E21rocsparse_complex_numIdEliS1_IfES2_S2_EEvT2_20rocsparse_direction_NS_24const_host_device_scalarIT0_EES4_PKS4_PKT1_SD_SA_PKT3_PKT4_S8_PT5_21rocsparse_index_base_b.num_named_barrier, 0
	.set _ZN9rocsparseL20bsrxmvn_17_32_kernelILj24E21rocsparse_complex_numIdEliS1_IfES2_S2_EEvT2_20rocsparse_direction_NS_24const_host_device_scalarIT0_EES4_PKS4_PKT1_SD_SA_PKT3_PKT4_S8_PT5_21rocsparse_index_base_b.private_seg_size, 0
	.set _ZN9rocsparseL20bsrxmvn_17_32_kernelILj24E21rocsparse_complex_numIdEliS1_IfES2_S2_EEvT2_20rocsparse_direction_NS_24const_host_device_scalarIT0_EES4_PKS4_PKT1_SD_SA_PKT3_PKT4_S8_PT5_21rocsparse_index_base_b.uses_vcc, 1
	.set _ZN9rocsparseL20bsrxmvn_17_32_kernelILj24E21rocsparse_complex_numIdEliS1_IfES2_S2_EEvT2_20rocsparse_direction_NS_24const_host_device_scalarIT0_EES4_PKS4_PKT1_SD_SA_PKT3_PKT4_S8_PT5_21rocsparse_index_base_b.uses_flat_scratch, 0
	.set _ZN9rocsparseL20bsrxmvn_17_32_kernelILj24E21rocsparse_complex_numIdEliS1_IfES2_S2_EEvT2_20rocsparse_direction_NS_24const_host_device_scalarIT0_EES4_PKS4_PKT1_SD_SA_PKT3_PKT4_S8_PT5_21rocsparse_index_base_b.has_dyn_sized_stack, 0
	.set _ZN9rocsparseL20bsrxmvn_17_32_kernelILj24E21rocsparse_complex_numIdEliS1_IfES2_S2_EEvT2_20rocsparse_direction_NS_24const_host_device_scalarIT0_EES4_PKS4_PKT1_SD_SA_PKT3_PKT4_S8_PT5_21rocsparse_index_base_b.has_recursion, 0
	.set _ZN9rocsparseL20bsrxmvn_17_32_kernelILj24E21rocsparse_complex_numIdEliS1_IfES2_S2_EEvT2_20rocsparse_direction_NS_24const_host_device_scalarIT0_EES4_PKS4_PKT1_SD_SA_PKT3_PKT4_S8_PT5_21rocsparse_index_base_b.has_indirect_call, 0
	.section	.AMDGPU.csdata,"",@progbits
; Kernel info:
; codeLenInByte = 1720
; TotalNumSgprs: 26
; NumVgprs: 30
; ScratchSize: 0
; MemoryBound: 0
; FloatMode: 240
; IeeeMode: 1
; LDSByteSize: 9216 bytes/workgroup (compile time only)
; SGPRBlocks: 8
; VGPRBlocks: 7
; NumSGPRsForWavesPerEU: 65
; NumVGPRsForWavesPerEU: 30
; Occupancy: 8
; WaveLimiterHint : 1
; COMPUTE_PGM_RSRC2:SCRATCH_EN: 0
; COMPUTE_PGM_RSRC2:USER_SGPR: 6
; COMPUTE_PGM_RSRC2:TRAP_HANDLER: 0
; COMPUTE_PGM_RSRC2:TGID_X_EN: 1
; COMPUTE_PGM_RSRC2:TGID_Y_EN: 0
; COMPUTE_PGM_RSRC2:TGID_Z_EN: 0
; COMPUTE_PGM_RSRC2:TIDIG_COMP_CNT: 0
	.section	.text._ZN9rocsparseL20bsrxmvn_17_32_kernelILj25E21rocsparse_complex_numIdEliS1_IfES2_S2_EEvT2_20rocsparse_direction_NS_24const_host_device_scalarIT0_EES4_PKS4_PKT1_SD_SA_PKT3_PKT4_S8_PT5_21rocsparse_index_base_b,"axG",@progbits,_ZN9rocsparseL20bsrxmvn_17_32_kernelILj25E21rocsparse_complex_numIdEliS1_IfES2_S2_EEvT2_20rocsparse_direction_NS_24const_host_device_scalarIT0_EES4_PKS4_PKT1_SD_SA_PKT3_PKT4_S8_PT5_21rocsparse_index_base_b,comdat
	.globl	_ZN9rocsparseL20bsrxmvn_17_32_kernelILj25E21rocsparse_complex_numIdEliS1_IfES2_S2_EEvT2_20rocsparse_direction_NS_24const_host_device_scalarIT0_EES4_PKS4_PKT1_SD_SA_PKT3_PKT4_S8_PT5_21rocsparse_index_base_b ; -- Begin function _ZN9rocsparseL20bsrxmvn_17_32_kernelILj25E21rocsparse_complex_numIdEliS1_IfES2_S2_EEvT2_20rocsparse_direction_NS_24const_host_device_scalarIT0_EES4_PKS4_PKT1_SD_SA_PKT3_PKT4_S8_PT5_21rocsparse_index_base_b
	.p2align	8
	.type	_ZN9rocsparseL20bsrxmvn_17_32_kernelILj25E21rocsparse_complex_numIdEliS1_IfES2_S2_EEvT2_20rocsparse_direction_NS_24const_host_device_scalarIT0_EES4_PKS4_PKT1_SD_SA_PKT3_PKT4_S8_PT5_21rocsparse_index_base_b,@function
_ZN9rocsparseL20bsrxmvn_17_32_kernelILj25E21rocsparse_complex_numIdEliS1_IfES2_S2_EEvT2_20rocsparse_direction_NS_24const_host_device_scalarIT0_EES4_PKS4_PKT1_SD_SA_PKT3_PKT4_S8_PT5_21rocsparse_index_base_b: ; @_ZN9rocsparseL20bsrxmvn_17_32_kernelILj25E21rocsparse_complex_numIdEliS1_IfES2_S2_EEvT2_20rocsparse_direction_NS_24const_host_device_scalarIT0_EES4_PKS4_PKT1_SD_SA_PKT3_PKT4_S8_PT5_21rocsparse_index_base_b
; %bb.0:
	s_load_dwordx2 s[0:1], s[4:5], 0x8
	s_load_dwordx2 s[14:15], s[4:5], 0x68
	s_add_u32 s7, s4, 8
	s_addc_u32 s8, s5, 0
	s_add_u32 s9, s4, 0x50
	s_addc_u32 s10, s5, 0
	s_waitcnt lgkmcnt(0)
	s_bitcmp1_b32 s15, 0
	s_cselect_b32 s1, s8, s1
	s_cselect_b32 s0, s7, s0
	v_mov_b32_e32 v1, s0
	v_mov_b32_e32 v2, s1
	flat_load_dwordx4 v[5:8], v[1:2]
	s_load_dwordx2 s[2:3], s[4:5], 0x50
	s_waitcnt lgkmcnt(0)
	s_cselect_b32 s0, s10, s3
	s_cselect_b32 s1, s9, s2
	v_mov_b32_e32 v1, s1
	v_mov_b32_e32 v2, s0
	flat_load_dwordx4 v[1:4], v[1:2]
	s_waitcnt vmcnt(0)
	v_cmp_eq_f64_e32 vcc, 0, v[5:6]
	v_cmp_eq_f64_e64 s[0:1], 0, v[7:8]
	s_and_b64 s[8:9], vcc, s[0:1]
	s_mov_b64 s[0:1], -1
	s_and_saveexec_b64 s[2:3], s[8:9]
	s_cbranch_execz .LBB552_2
; %bb.1:
	s_waitcnt lgkmcnt(0)
	v_cmp_neq_f64_e32 vcc, 1.0, v[1:2]
	v_cmp_neq_f64_e64 s[0:1], 0, v[3:4]
	s_or_b64 s[0:1], vcc, s[0:1]
	s_orn2_b64 s[0:1], s[0:1], exec
.LBB552_2:
	s_or_b64 exec, exec, s[2:3]
	s_and_saveexec_b64 s[2:3], s[0:1]
	s_cbranch_execz .LBB552_39
; %bb.3:
	s_load_dwordx4 s[0:3], s[4:5], 0x20
	s_load_dwordx2 s[8:9], s[4:5], 0x30
	s_waitcnt lgkmcnt(0)
	s_cmp_eq_u64 s[0:1], 0
	s_cbranch_scc1 .LBB552_5
; %bb.4:
	s_ashr_i32 s7, s6, 31
	s_lshl_b64 s[6:7], s[6:7], 2
	s_add_u32 s0, s0, s6
	s_addc_u32 s1, s1, s7
	s_load_dword s0, s[0:1], 0x0
	s_waitcnt lgkmcnt(0)
	s_sub_i32 s6, s0, s14
.LBB552_5:
	s_load_dword s7, s[4:5], 0x4
	s_load_dwordx2 s[12:13], s[4:5], 0x60
	v_mul_u32_u24_e32 v13, 0xa3e, v0
	v_mov_b32_e32 v9, 25
	v_mul_lo_u16_sdwa v9, v13, v9 dst_sel:DWORD dst_unused:UNUSED_PAD src0_sel:WORD_1 src1_sel:DWORD
	s_waitcnt lgkmcnt(0)
	s_cmp_eq_u32 s7, 1
	s_cselect_b64 s[0:1], -1, 0
	s_cmp_lg_u32 s7, 1
	s_cselect_b64 s[16:17], -1, 0
	s_ashr_i32 s7, s6, 31
	s_lshl_b64 s[10:11], s[6:7], 3
	s_add_u32 s2, s2, s10
	s_addc_u32 s3, s3, s11
	s_add_u32 s7, s2, 8
	s_addc_u32 s15, s3, 0
	;; [unrolled: 2-line block ×3, first 2 shown]
	s_cmp_eq_u64 s[8:9], 0
	s_cselect_b32 s9, s15, s11
	s_cselect_b32 s8, s7, s10
	s_load_dwordx2 s[18:19], s[8:9], 0x0
	s_load_dwordx2 s[20:21], s[2:3], 0x0
	v_sub_u16_e32 v20, v0, v9
	v_mov_b32_e32 v11, 0
	v_mov_b32_e32 v12, 0
	s_waitcnt lgkmcnt(0)
	v_mov_b32_e32 v9, s18
	v_mov_b32_e32 v10, s19
	v_cmp_ge_i64_e32 vcc, s[20:21], v[9:10]
	v_mov_b32_e32 v9, 0
	v_mov_b32_e32 v10, 0
	s_cbranch_vccnz .LBB552_10
; %bb.6:
	s_load_dwordx2 s[2:3], s[4:5], 0x48
	s_load_dwordx4 s[8:11], s[4:5], 0x38
	s_sub_u32 s4, s18, s14
	s_mov_b32 s7, 0xffff
	s_subb_u32 s5, s19, 0
	s_movk_i32 s15, 0x271
	v_and_b32_sdwa v9, s7, v13 dst_sel:DWORD dst_unused:UNUSED_PAD src0_sel:DWORD src1_sel:WORD_1
	v_subrev_u32_e32 v10, 25, v9
	v_cmp_gt_u32_e32 vcc, s15, v0
	s_sub_u32 s18, s20, s14
	v_cndmask_b32_e32 v9, v10, v9, vcc
	s_subb_u32 s19, s21, 0
	v_cndmask_b32_e64 v13, v20, v9, s[0:1]
	s_mul_i32 s0, s19, 0x1388
	s_mul_hi_u32 s1, s18, 0x1388
	s_add_i32 s1, s1, s0
	s_mul_i32 s0, s18, 0x1388
	s_waitcnt lgkmcnt(0)
	s_add_u32 s0, s10, s0
	s_addc_u32 s1, s11, s1
	v_lshlrev_b32_e32 v9, 3, v0
	v_mov_b32_e32 v10, s1
	v_add_co_u32_e32 v14, vcc, s0, v9
	v_addc_co_u32_e32 v15, vcc, 0, v10, vcc
	s_movk_i32 s0, 0x270
	v_cmp_lt_u32_e32 vcc, s0, v0
	v_cndmask_b32_e64 v21, 0, 1, vcc
	v_mov_b32_e32 v9, s21
	v_add_co_u32_e32 v10, vcc, s20, v21
	v_addc_co_u32_e32 v11, vcc, 0, v9, vcc
	v_subrev_co_u32_e32 v9, vcc, s14, v10
	v_subbrev_co_u32_e32 v10, vcc, 0, v11, vcc
	v_lshlrev_b64 v[9:10], 2, v[9:10]
	v_mov_b32_e32 v11, s9
	v_add_co_u32_e32 v16, vcc, s8, v9
	v_addc_co_u32_e32 v17, vcc, v11, v10, vcc
	v_mov_b32_e32 v11, 0
	v_mov_b32_e32 v12, 0
	v_mov_b32_e32 v19, s5
	v_mov_b32_e32 v9, v11
	v_mov_b32_e32 v18, s4
	v_mov_b32_e32 v10, v12
	s_branch .LBB552_8
.LBB552_7:                              ;   in Loop: Header=BB552_8 Depth=1
	s_or_b64 exec, exec, s[0:1]
	s_add_u32 s18, s18, 1
	s_addc_u32 s19, s19, 0
	v_cmp_lt_i64_e32 vcc, s[18:19], v[18:19]
	v_add_co_u32_e64 v16, s[0:1], 4, v16
	v_addc_co_u32_e64 v17, s[0:1], 0, v17, s[0:1]
	s_cbranch_vccz .LBB552_10
.LBB552_8:                              ; =>This Inner Loop Header: Depth=1
	v_mov_b32_e32 v23, s19
	v_add_co_u32_e32 v22, vcc, s18, v21
	v_addc_co_u32_e32 v23, vcc, 0, v23, vcc
	v_cmp_gt_i64_e32 vcc, s[4:5], v[22:23]
	s_and_saveexec_b64 s[0:1], vcc
	s_cbranch_execz .LBB552_7
; %bb.9:                                ;   in Loop: Header=BB552_8 Depth=1
	global_load_dword v22, v[16:17], off
	global_load_dwordx2 v[26:27], v[14:15], off
	v_mov_b32_e32 v24, s3
	s_waitcnt vmcnt(1)
	v_subrev_u32_e32 v22, s14, v22
	v_mad_u64_u32 v[22:23], s[8:9], v22, 25, v[13:14]
	s_waitcnt vmcnt(0)
	v_cvt_f64_f32_e32 v[28:29], v26
	v_cvt_f64_f32_e32 v[26:27], v27
	v_ashrrev_i32_e32 v23, 31, v22
	v_lshlrev_b64 v[22:23], 4, v[22:23]
	v_add_co_u32_e32 v22, vcc, s2, v22
	v_addc_co_u32_e32 v23, vcc, v24, v23, vcc
	global_load_dwordx4 v[22:25], v[22:23], off
	v_add_co_u32_e32 v14, vcc, 0x1388, v14
	v_addc_co_u32_e32 v15, vcc, 0, v15, vcc
	s_waitcnt vmcnt(0)
	v_fma_f64 v[9:10], v[28:29], v[22:23], v[9:10]
	v_fma_f64 v[11:12], v[26:27], v[22:23], v[11:12]
	v_fma_f64 v[9:10], -v[26:27], v[24:25], v[9:10]
	v_fma_f64 v[11:12], v[28:29], v[24:25], v[11:12]
	s_branch .LBB552_7
.LBB552_10:
	v_lshlrev_b32_e32 v17, 4, v0
	s_and_b64 vcc, exec, s[16:17]
	ds_write_b128 v17, v[9:12]
	s_waitcnt lgkmcnt(0)
	s_barrier
	s_cbranch_vccz .LBB552_22
; %bb.11:
	v_cmp_gt_u16_e32 vcc, 9, v20
	s_and_saveexec_b64 s[0:1], vcc
	s_cbranch_execz .LBB552_13
; %bb.12:
	ds_read_b128 v[13:16], v17 offset:256
	ds_read_b128 v[21:24], v17
	s_waitcnt lgkmcnt(0)
	v_add_f64 v[13:14], v[13:14], v[21:22]
	v_add_f64 v[15:16], v[15:16], v[23:24]
	ds_write_b128 v17, v[13:16]
.LBB552_13:
	s_or_b64 exec, exec, s[0:1]
	v_cmp_gt_u16_e32 vcc, 8, v20
	s_waitcnt lgkmcnt(0)
	s_barrier
	s_and_saveexec_b64 s[0:1], vcc
	s_cbranch_execz .LBB552_15
; %bb.14:
	ds_read_b128 v[13:16], v17 offset:128
	ds_read_b128 v[21:24], v17
	s_waitcnt lgkmcnt(0)
	v_add_f64 v[13:14], v[13:14], v[21:22]
	v_add_f64 v[15:16], v[15:16], v[23:24]
	ds_write_b128 v17, v[13:16]
.LBB552_15:
	s_or_b64 exec, exec, s[0:1]
	v_cmp_gt_u16_e32 vcc, 4, v20
	s_waitcnt lgkmcnt(0)
	s_barrier
	;; [unrolled: 14-line block ×3, first 2 shown]
	s_and_saveexec_b64 s[0:1], vcc
	s_cbranch_execz .LBB552_19
; %bb.18:
	ds_read_b128 v[13:16], v17
	ds_read_b128 v[18:21], v17 offset:32
	s_waitcnt lgkmcnt(0)
	v_add_f64 v[13:14], v[18:19], v[13:14]
	v_add_f64 v[15:16], v[20:21], v[15:16]
	ds_write_b128 v17, v[13:16]
.LBB552_19:
	s_or_b64 exec, exec, s[0:1]
	v_mov_b32_e32 v16, v12
	v_mov_b32_e32 v14, v10
	v_cmp_gt_u32_e32 vcc, 25, v0
	v_mov_b32_e32 v15, v11
	v_mov_b32_e32 v13, v9
	s_waitcnt lgkmcnt(0)
	s_barrier
	s_and_saveexec_b64 s[0:1], vcc
	s_cbranch_execz .LBB552_21
; %bb.20:
	s_movk_i32 s2, 0x180
	v_mad_u32_u24 v18, v0, s2, v17
	ds_read_b128 v[13:16], v18
	ds_read_b128 v[18:21], v18 offset:16
	s_waitcnt lgkmcnt(0)
	v_add_f64 v[13:14], v[18:19], v[13:14]
	v_add_f64 v[15:16], v[20:21], v[15:16]
.LBB552_21:
	s_or_b64 exec, exec, s[0:1]
	s_branch .LBB552_34
.LBB552_22:
                                        ; implicit-def: $vgpr15_vgpr16
                                        ; implicit-def: $vgpr13_vgpr14
	s_cbranch_execz .LBB552_34
; %bb.23:
	s_movk_i32 s0, 0xe1
	v_cmp_gt_u32_e32 vcc, s0, v0
	s_and_saveexec_b64 s[0:1], vcc
	s_cbranch_execz .LBB552_25
; %bb.24:
	ds_read_b128 v[13:16], v17 offset:6400
	ds_read_b128 v[18:21], v17
	s_waitcnt lgkmcnt(0)
	v_add_f64 v[13:14], v[13:14], v[18:19]
	v_add_f64 v[15:16], v[15:16], v[20:21]
	ds_write_b128 v17, v[13:16]
.LBB552_25:
	s_or_b64 exec, exec, s[0:1]
	s_movk_i32 s0, 0xc8
	v_cmp_gt_u32_e32 vcc, s0, v0
	s_waitcnt lgkmcnt(0)
	s_barrier
	s_and_saveexec_b64 s[0:1], vcc
	s_cbranch_execz .LBB552_27
; %bb.26:
	ds_read_b128 v[13:16], v17 offset:3200
	ds_read_b128 v[18:21], v17
	s_waitcnt lgkmcnt(0)
	v_add_f64 v[13:14], v[13:14], v[18:19]
	v_add_f64 v[15:16], v[15:16], v[20:21]
	ds_write_b128 v17, v[13:16]
.LBB552_27:
	s_or_b64 exec, exec, s[0:1]
	s_movk_i32 s0, 0x64
	v_cmp_gt_u32_e32 vcc, s0, v0
	s_waitcnt lgkmcnt(0)
	s_barrier
	s_and_saveexec_b64 s[0:1], vcc
	s_cbranch_execz .LBB552_29
; %bb.28:
	ds_read_b128 v[13:16], v17 offset:1600
	ds_read_b128 v[18:21], v17
	s_waitcnt lgkmcnt(0)
	v_add_f64 v[13:14], v[13:14], v[18:19]
	v_add_f64 v[15:16], v[15:16], v[20:21]
	ds_write_b128 v17, v[13:16]
.LBB552_29:
	s_or_b64 exec, exec, s[0:1]
	v_cmp_gt_u32_e32 vcc, 50, v0
	s_waitcnt lgkmcnt(0)
	s_barrier
	s_and_saveexec_b64 s[0:1], vcc
	s_cbranch_execz .LBB552_31
; %bb.30:
	ds_read_b128 v[13:16], v17 offset:800
	ds_read_b128 v[18:21], v17
	s_waitcnt lgkmcnt(0)
	v_add_f64 v[13:14], v[13:14], v[18:19]
	v_add_f64 v[15:16], v[15:16], v[20:21]
	ds_write_b128 v17, v[13:16]
.LBB552_31:
	s_or_b64 exec, exec, s[0:1]
	v_cmp_gt_u32_e32 vcc, 25, v0
	s_waitcnt lgkmcnt(0)
	s_and_saveexec_b64 s[0:1], vcc
	s_cbranch_execz .LBB552_33
; %bb.32:
	ds_read_b128 v[9:12], v17 offset:400
	ds_read_b128 v[13:16], v17
	s_waitcnt lgkmcnt(0)
	v_add_f64 v[9:10], v[9:10], v[13:14]
	v_add_f64 v[11:12], v[11:12], v[15:16]
.LBB552_33:
	s_or_b64 exec, exec, s[0:1]
	v_mov_b32_e32 v16, v12
	v_mov_b32_e32 v14, v10
	;; [unrolled: 1-line block ×4, first 2 shown]
.LBB552_34:
	v_cmp_gt_u32_e32 vcc, 25, v0
	s_and_b64 exec, exec, vcc
	s_cbranch_execz .LBB552_39
; %bb.35:
	v_mul_f64 v[9:10], v[15:16], -v[7:8]
	v_mul_f64 v[11:12], v[5:6], v[15:16]
	v_cmp_eq_f64_e32 vcc, 0, v[1:2]
	v_cmp_eq_f64_e64 s[0:1], 0, v[3:4]
	v_fma_f64 v[5:6], v[5:6], v[13:14], v[9:10]
	v_fma_f64 v[7:8], v[7:8], v[13:14], v[11:12]
	s_and_b64 s[0:1], vcc, s[0:1]
	s_and_saveexec_b64 s[2:3], s[0:1]
	s_xor_b64 s[0:1], exec, s[2:3]
	s_cbranch_execz .LBB552_37
; %bb.36:
	v_mad_u64_u32 v[0:1], s[2:3], s6, 25, v[0:1]
	v_mov_b32_e32 v1, 0
	v_mov_b32_e32 v2, s13
	v_lshlrev_b64 v[0:1], 4, v[0:1]
	v_add_co_u32_e32 v0, vcc, s12, v0
	v_addc_co_u32_e32 v1, vcc, v2, v1, vcc
	global_store_dwordx4 v[0:1], v[5:8], off
                                        ; implicit-def: $vgpr0
                                        ; implicit-def: $vgpr1_vgpr2
                                        ; implicit-def: $vgpr5_vgpr6
.LBB552_37:
	s_andn2_saveexec_b64 s[0:1], s[0:1]
	s_cbranch_execz .LBB552_39
; %bb.38:
	v_mad_u64_u32 v[9:10], s[0:1], s6, 25, v[0:1]
	v_mov_b32_e32 v10, 0
	v_mov_b32_e32 v0, s13
	v_lshlrev_b64 v[9:10], 4, v[9:10]
	v_add_co_u32_e32 v13, vcc, s12, v9
	v_addc_co_u32_e32 v14, vcc, v0, v10, vcc
	global_load_dwordx4 v[9:12], v[13:14], off
	s_waitcnt vmcnt(0)
	v_fma_f64 v[5:6], v[1:2], v[9:10], v[5:6]
	v_fma_f64 v[7:8], v[3:4], v[9:10], v[7:8]
	v_fma_f64 v[3:4], -v[3:4], v[11:12], v[5:6]
	v_fma_f64 v[5:6], v[1:2], v[11:12], v[7:8]
	global_store_dwordx4 v[13:14], v[3:6], off
.LBB552_39:
	s_endpgm
	.section	.rodata,"a",@progbits
	.p2align	6, 0x0
	.amdhsa_kernel _ZN9rocsparseL20bsrxmvn_17_32_kernelILj25E21rocsparse_complex_numIdEliS1_IfES2_S2_EEvT2_20rocsparse_direction_NS_24const_host_device_scalarIT0_EES4_PKS4_PKT1_SD_SA_PKT3_PKT4_S8_PT5_21rocsparse_index_base_b
		.amdhsa_group_segment_fixed_size 10000
		.amdhsa_private_segment_fixed_size 0
		.amdhsa_kernarg_size 112
		.amdhsa_user_sgpr_count 6
		.amdhsa_user_sgpr_private_segment_buffer 1
		.amdhsa_user_sgpr_dispatch_ptr 0
		.amdhsa_user_sgpr_queue_ptr 0
		.amdhsa_user_sgpr_kernarg_segment_ptr 1
		.amdhsa_user_sgpr_dispatch_id 0
		.amdhsa_user_sgpr_flat_scratch_init 0
		.amdhsa_user_sgpr_private_segment_size 0
		.amdhsa_uses_dynamic_stack 0
		.amdhsa_system_sgpr_private_segment_wavefront_offset 0
		.amdhsa_system_sgpr_workgroup_id_x 1
		.amdhsa_system_sgpr_workgroup_id_y 0
		.amdhsa_system_sgpr_workgroup_id_z 0
		.amdhsa_system_sgpr_workgroup_info 0
		.amdhsa_system_vgpr_workitem_id 0
		.amdhsa_next_free_vgpr 30
		.amdhsa_next_free_sgpr 22
		.amdhsa_reserve_vcc 1
		.amdhsa_reserve_flat_scratch 0
		.amdhsa_float_round_mode_32 0
		.amdhsa_float_round_mode_16_64 0
		.amdhsa_float_denorm_mode_32 3
		.amdhsa_float_denorm_mode_16_64 3
		.amdhsa_dx10_clamp 1
		.amdhsa_ieee_mode 1
		.amdhsa_fp16_overflow 0
		.amdhsa_exception_fp_ieee_invalid_op 0
		.amdhsa_exception_fp_denorm_src 0
		.amdhsa_exception_fp_ieee_div_zero 0
		.amdhsa_exception_fp_ieee_overflow 0
		.amdhsa_exception_fp_ieee_underflow 0
		.amdhsa_exception_fp_ieee_inexact 0
		.amdhsa_exception_int_div_zero 0
	.end_amdhsa_kernel
	.section	.text._ZN9rocsparseL20bsrxmvn_17_32_kernelILj25E21rocsparse_complex_numIdEliS1_IfES2_S2_EEvT2_20rocsparse_direction_NS_24const_host_device_scalarIT0_EES4_PKS4_PKT1_SD_SA_PKT3_PKT4_S8_PT5_21rocsparse_index_base_b,"axG",@progbits,_ZN9rocsparseL20bsrxmvn_17_32_kernelILj25E21rocsparse_complex_numIdEliS1_IfES2_S2_EEvT2_20rocsparse_direction_NS_24const_host_device_scalarIT0_EES4_PKS4_PKT1_SD_SA_PKT3_PKT4_S8_PT5_21rocsparse_index_base_b,comdat
.Lfunc_end552:
	.size	_ZN9rocsparseL20bsrxmvn_17_32_kernelILj25E21rocsparse_complex_numIdEliS1_IfES2_S2_EEvT2_20rocsparse_direction_NS_24const_host_device_scalarIT0_EES4_PKS4_PKT1_SD_SA_PKT3_PKT4_S8_PT5_21rocsparse_index_base_b, .Lfunc_end552-_ZN9rocsparseL20bsrxmvn_17_32_kernelILj25E21rocsparse_complex_numIdEliS1_IfES2_S2_EEvT2_20rocsparse_direction_NS_24const_host_device_scalarIT0_EES4_PKS4_PKT1_SD_SA_PKT3_PKT4_S8_PT5_21rocsparse_index_base_b
                                        ; -- End function
	.set _ZN9rocsparseL20bsrxmvn_17_32_kernelILj25E21rocsparse_complex_numIdEliS1_IfES2_S2_EEvT2_20rocsparse_direction_NS_24const_host_device_scalarIT0_EES4_PKS4_PKT1_SD_SA_PKT3_PKT4_S8_PT5_21rocsparse_index_base_b.num_vgpr, 30
	.set _ZN9rocsparseL20bsrxmvn_17_32_kernelILj25E21rocsparse_complex_numIdEliS1_IfES2_S2_EEvT2_20rocsparse_direction_NS_24const_host_device_scalarIT0_EES4_PKS4_PKT1_SD_SA_PKT3_PKT4_S8_PT5_21rocsparse_index_base_b.num_agpr, 0
	.set _ZN9rocsparseL20bsrxmvn_17_32_kernelILj25E21rocsparse_complex_numIdEliS1_IfES2_S2_EEvT2_20rocsparse_direction_NS_24const_host_device_scalarIT0_EES4_PKS4_PKT1_SD_SA_PKT3_PKT4_S8_PT5_21rocsparse_index_base_b.numbered_sgpr, 22
	.set _ZN9rocsparseL20bsrxmvn_17_32_kernelILj25E21rocsparse_complex_numIdEliS1_IfES2_S2_EEvT2_20rocsparse_direction_NS_24const_host_device_scalarIT0_EES4_PKS4_PKT1_SD_SA_PKT3_PKT4_S8_PT5_21rocsparse_index_base_b.num_named_barrier, 0
	.set _ZN9rocsparseL20bsrxmvn_17_32_kernelILj25E21rocsparse_complex_numIdEliS1_IfES2_S2_EEvT2_20rocsparse_direction_NS_24const_host_device_scalarIT0_EES4_PKS4_PKT1_SD_SA_PKT3_PKT4_S8_PT5_21rocsparse_index_base_b.private_seg_size, 0
	.set _ZN9rocsparseL20bsrxmvn_17_32_kernelILj25E21rocsparse_complex_numIdEliS1_IfES2_S2_EEvT2_20rocsparse_direction_NS_24const_host_device_scalarIT0_EES4_PKS4_PKT1_SD_SA_PKT3_PKT4_S8_PT5_21rocsparse_index_base_b.uses_vcc, 1
	.set _ZN9rocsparseL20bsrxmvn_17_32_kernelILj25E21rocsparse_complex_numIdEliS1_IfES2_S2_EEvT2_20rocsparse_direction_NS_24const_host_device_scalarIT0_EES4_PKS4_PKT1_SD_SA_PKT3_PKT4_S8_PT5_21rocsparse_index_base_b.uses_flat_scratch, 0
	.set _ZN9rocsparseL20bsrxmvn_17_32_kernelILj25E21rocsparse_complex_numIdEliS1_IfES2_S2_EEvT2_20rocsparse_direction_NS_24const_host_device_scalarIT0_EES4_PKS4_PKT1_SD_SA_PKT3_PKT4_S8_PT5_21rocsparse_index_base_b.has_dyn_sized_stack, 0
	.set _ZN9rocsparseL20bsrxmvn_17_32_kernelILj25E21rocsparse_complex_numIdEliS1_IfES2_S2_EEvT2_20rocsparse_direction_NS_24const_host_device_scalarIT0_EES4_PKS4_PKT1_SD_SA_PKT3_PKT4_S8_PT5_21rocsparse_index_base_b.has_recursion, 0
	.set _ZN9rocsparseL20bsrxmvn_17_32_kernelILj25E21rocsparse_complex_numIdEliS1_IfES2_S2_EEvT2_20rocsparse_direction_NS_24const_host_device_scalarIT0_EES4_PKS4_PKT1_SD_SA_PKT3_PKT4_S8_PT5_21rocsparse_index_base_b.has_indirect_call, 0
	.section	.AMDGPU.csdata,"",@progbits
; Kernel info:
; codeLenInByte = 1732
; TotalNumSgprs: 26
; NumVgprs: 30
; ScratchSize: 0
; MemoryBound: 0
; FloatMode: 240
; IeeeMode: 1
; LDSByteSize: 10000 bytes/workgroup (compile time only)
; SGPRBlocks: 3
; VGPRBlocks: 7
; NumSGPRsForWavesPerEU: 26
; NumVGPRsForWavesPerEU: 30
; Occupancy: 8
; WaveLimiterHint : 1
; COMPUTE_PGM_RSRC2:SCRATCH_EN: 0
; COMPUTE_PGM_RSRC2:USER_SGPR: 6
; COMPUTE_PGM_RSRC2:TRAP_HANDLER: 0
; COMPUTE_PGM_RSRC2:TGID_X_EN: 1
; COMPUTE_PGM_RSRC2:TGID_Y_EN: 0
; COMPUTE_PGM_RSRC2:TGID_Z_EN: 0
; COMPUTE_PGM_RSRC2:TIDIG_COMP_CNT: 0
	.section	.text._ZN9rocsparseL20bsrxmvn_17_32_kernelILj26E21rocsparse_complex_numIdEliS1_IfES2_S2_EEvT2_20rocsparse_direction_NS_24const_host_device_scalarIT0_EES4_PKS4_PKT1_SD_SA_PKT3_PKT4_S8_PT5_21rocsparse_index_base_b,"axG",@progbits,_ZN9rocsparseL20bsrxmvn_17_32_kernelILj26E21rocsparse_complex_numIdEliS1_IfES2_S2_EEvT2_20rocsparse_direction_NS_24const_host_device_scalarIT0_EES4_PKS4_PKT1_SD_SA_PKT3_PKT4_S8_PT5_21rocsparse_index_base_b,comdat
	.globl	_ZN9rocsparseL20bsrxmvn_17_32_kernelILj26E21rocsparse_complex_numIdEliS1_IfES2_S2_EEvT2_20rocsparse_direction_NS_24const_host_device_scalarIT0_EES4_PKS4_PKT1_SD_SA_PKT3_PKT4_S8_PT5_21rocsparse_index_base_b ; -- Begin function _ZN9rocsparseL20bsrxmvn_17_32_kernelILj26E21rocsparse_complex_numIdEliS1_IfES2_S2_EEvT2_20rocsparse_direction_NS_24const_host_device_scalarIT0_EES4_PKS4_PKT1_SD_SA_PKT3_PKT4_S8_PT5_21rocsparse_index_base_b
	.p2align	8
	.type	_ZN9rocsparseL20bsrxmvn_17_32_kernelILj26E21rocsparse_complex_numIdEliS1_IfES2_S2_EEvT2_20rocsparse_direction_NS_24const_host_device_scalarIT0_EES4_PKS4_PKT1_SD_SA_PKT3_PKT4_S8_PT5_21rocsparse_index_base_b,@function
_ZN9rocsparseL20bsrxmvn_17_32_kernelILj26E21rocsparse_complex_numIdEliS1_IfES2_S2_EEvT2_20rocsparse_direction_NS_24const_host_device_scalarIT0_EES4_PKS4_PKT1_SD_SA_PKT3_PKT4_S8_PT5_21rocsparse_index_base_b: ; @_ZN9rocsparseL20bsrxmvn_17_32_kernelILj26E21rocsparse_complex_numIdEliS1_IfES2_S2_EEvT2_20rocsparse_direction_NS_24const_host_device_scalarIT0_EES4_PKS4_PKT1_SD_SA_PKT3_PKT4_S8_PT5_21rocsparse_index_base_b
; %bb.0:
	s_load_dwordx2 s[0:1], s[4:5], 0x8
	s_load_dwordx2 s[14:15], s[4:5], 0x68
	s_add_u32 s7, s4, 8
	s_addc_u32 s8, s5, 0
	s_add_u32 s9, s4, 0x50
	s_addc_u32 s10, s5, 0
	s_waitcnt lgkmcnt(0)
	s_bitcmp1_b32 s15, 0
	s_cselect_b32 s1, s8, s1
	s_cselect_b32 s0, s7, s0
	v_mov_b32_e32 v1, s0
	v_mov_b32_e32 v2, s1
	flat_load_dwordx4 v[5:8], v[1:2]
	s_load_dwordx2 s[2:3], s[4:5], 0x50
	s_waitcnt lgkmcnt(0)
	s_cselect_b32 s0, s10, s3
	s_cselect_b32 s1, s9, s2
	v_mov_b32_e32 v1, s1
	v_mov_b32_e32 v2, s0
	flat_load_dwordx4 v[1:4], v[1:2]
	s_waitcnt vmcnt(0)
	v_cmp_eq_f64_e32 vcc, 0, v[5:6]
	v_cmp_eq_f64_e64 s[0:1], 0, v[7:8]
	s_and_b64 s[8:9], vcc, s[0:1]
	s_mov_b64 s[0:1], -1
	s_and_saveexec_b64 s[2:3], s[8:9]
	s_cbranch_execz .LBB553_2
; %bb.1:
	s_waitcnt lgkmcnt(0)
	v_cmp_neq_f64_e32 vcc, 1.0, v[1:2]
	v_cmp_neq_f64_e64 s[0:1], 0, v[3:4]
	s_or_b64 s[0:1], vcc, s[0:1]
	s_orn2_b64 s[0:1], s[0:1], exec
.LBB553_2:
	s_or_b64 exec, exec, s[2:3]
	s_and_saveexec_b64 s[2:3], s[0:1]
	s_cbranch_execz .LBB553_39
; %bb.3:
	s_load_dwordx4 s[0:3], s[4:5], 0x20
	s_load_dwordx2 s[8:9], s[4:5], 0x30
	s_waitcnt lgkmcnt(0)
	s_cmp_eq_u64 s[0:1], 0
	s_cbranch_scc1 .LBB553_5
; %bb.4:
	s_ashr_i32 s7, s6, 31
	s_lshl_b64 s[6:7], s[6:7], 2
	s_add_u32 s0, s0, s6
	s_addc_u32 s1, s1, s7
	s_load_dword s0, s[0:1], 0x0
	s_waitcnt lgkmcnt(0)
	s_sub_i32 s6, s0, s14
.LBB553_5:
	s_load_dword s7, s[4:5], 0x4
	s_load_dwordx2 s[12:13], s[4:5], 0x60
	v_mul_u32_u24_e32 v13, 0x9d9, v0
	v_mov_b32_e32 v9, 26
	v_mul_lo_u16_sdwa v9, v13, v9 dst_sel:DWORD dst_unused:UNUSED_PAD src0_sel:WORD_1 src1_sel:DWORD
	s_waitcnt lgkmcnt(0)
	s_cmp_eq_u32 s7, 1
	s_cselect_b64 s[0:1], -1, 0
	s_cmp_lg_u32 s7, 1
	s_cselect_b64 s[16:17], -1, 0
	s_ashr_i32 s7, s6, 31
	s_lshl_b64 s[10:11], s[6:7], 3
	s_add_u32 s2, s2, s10
	s_addc_u32 s3, s3, s11
	s_add_u32 s7, s2, 8
	s_addc_u32 s15, s3, 0
	;; [unrolled: 2-line block ×3, first 2 shown]
	s_cmp_eq_u64 s[8:9], 0
	s_cselect_b32 s9, s15, s11
	s_cselect_b32 s8, s7, s10
	s_load_dwordx2 s[18:19], s[8:9], 0x0
	s_load_dwordx2 s[20:21], s[2:3], 0x0
	v_sub_u16_e32 v20, v0, v9
	v_mov_b32_e32 v11, 0
	v_mov_b32_e32 v12, 0
	s_waitcnt lgkmcnt(0)
	v_mov_b32_e32 v9, s18
	v_mov_b32_e32 v10, s19
	v_cmp_ge_i64_e32 vcc, s[20:21], v[9:10]
	v_mov_b32_e32 v9, 0
	v_mov_b32_e32 v10, 0
	s_cbranch_vccnz .LBB553_10
; %bb.6:
	s_load_dwordx2 s[2:3], s[4:5], 0x48
	s_load_dwordx4 s[8:11], s[4:5], 0x38
	s_sub_u32 s4, s18, s14
	s_mov_b32 s7, 0xffff
	s_subb_u32 s5, s19, 0
	s_movk_i32 s15, 0x2a4
	v_and_b32_sdwa v9, s7, v13 dst_sel:DWORD dst_unused:UNUSED_PAD src0_sel:DWORD src1_sel:WORD_1
	v_subrev_u32_e32 v10, 26, v9
	v_cmp_gt_u32_e32 vcc, s15, v0
	s_sub_u32 s18, s20, s14
	v_cndmask_b32_e32 v9, v10, v9, vcc
	s_subb_u32 s19, s21, 0
	v_cndmask_b32_e64 v13, v20, v9, s[0:1]
	s_mul_i32 s0, s19, 0x1520
	s_mul_hi_u32 s1, s18, 0x1520
	s_add_i32 s1, s1, s0
	s_mul_i32 s0, s18, 0x1520
	s_waitcnt lgkmcnt(0)
	s_add_u32 s0, s10, s0
	s_addc_u32 s1, s11, s1
	v_lshlrev_b32_e32 v9, 3, v0
	v_mov_b32_e32 v10, s1
	v_add_co_u32_e32 v14, vcc, s0, v9
	v_addc_co_u32_e32 v15, vcc, 0, v10, vcc
	s_movk_i32 s0, 0x2a3
	v_cmp_lt_u32_e32 vcc, s0, v0
	v_cndmask_b32_e64 v21, 0, 1, vcc
	v_mov_b32_e32 v9, s21
	v_add_co_u32_e32 v10, vcc, s20, v21
	v_addc_co_u32_e32 v11, vcc, 0, v9, vcc
	v_subrev_co_u32_e32 v9, vcc, s14, v10
	v_subbrev_co_u32_e32 v10, vcc, 0, v11, vcc
	v_lshlrev_b64 v[9:10], 2, v[9:10]
	v_mov_b32_e32 v11, s9
	v_add_co_u32_e32 v16, vcc, s8, v9
	v_addc_co_u32_e32 v17, vcc, v11, v10, vcc
	v_mov_b32_e32 v11, 0
	v_mov_b32_e32 v12, 0
	;; [unrolled: 1-line block ×6, first 2 shown]
	s_branch .LBB553_8
.LBB553_7:                              ;   in Loop: Header=BB553_8 Depth=1
	s_or_b64 exec, exec, s[0:1]
	s_add_u32 s18, s18, 1
	s_addc_u32 s19, s19, 0
	v_cmp_lt_i64_e32 vcc, s[18:19], v[18:19]
	v_add_co_u32_e64 v16, s[0:1], 4, v16
	v_addc_co_u32_e64 v17, s[0:1], 0, v17, s[0:1]
	s_cbranch_vccz .LBB553_10
.LBB553_8:                              ; =>This Inner Loop Header: Depth=1
	v_mov_b32_e32 v23, s19
	v_add_co_u32_e32 v22, vcc, s18, v21
	v_addc_co_u32_e32 v23, vcc, 0, v23, vcc
	v_cmp_gt_i64_e32 vcc, s[4:5], v[22:23]
	s_and_saveexec_b64 s[0:1], vcc
	s_cbranch_execz .LBB553_7
; %bb.9:                                ;   in Loop: Header=BB553_8 Depth=1
	global_load_dword v22, v[16:17], off
	global_load_dwordx2 v[26:27], v[14:15], off
	v_mov_b32_e32 v24, s3
	s_waitcnt vmcnt(1)
	v_subrev_u32_e32 v22, s14, v22
	v_mad_u64_u32 v[22:23], s[8:9], v22, 26, v[13:14]
	s_waitcnt vmcnt(0)
	v_cvt_f64_f32_e32 v[28:29], v26
	v_cvt_f64_f32_e32 v[26:27], v27
	v_ashrrev_i32_e32 v23, 31, v22
	v_lshlrev_b64 v[22:23], 4, v[22:23]
	v_add_co_u32_e32 v22, vcc, s2, v22
	v_addc_co_u32_e32 v23, vcc, v24, v23, vcc
	global_load_dwordx4 v[22:25], v[22:23], off
	v_add_co_u32_e32 v14, vcc, 0x1520, v14
	v_addc_co_u32_e32 v15, vcc, 0, v15, vcc
	s_waitcnt vmcnt(0)
	v_fma_f64 v[9:10], v[28:29], v[22:23], v[9:10]
	v_fma_f64 v[11:12], v[26:27], v[22:23], v[11:12]
	v_fma_f64 v[9:10], -v[26:27], v[24:25], v[9:10]
	v_fma_f64 v[11:12], v[28:29], v[24:25], v[11:12]
	s_branch .LBB553_7
.LBB553_10:
	v_lshlrev_b32_e32 v17, 4, v0
	s_and_b64 vcc, exec, s[16:17]
	ds_write_b128 v17, v[9:12]
	s_waitcnt lgkmcnt(0)
	s_barrier
	s_cbranch_vccz .LBB553_22
; %bb.11:
	v_cmp_gt_u16_e32 vcc, 10, v20
	s_and_saveexec_b64 s[0:1], vcc
	s_cbranch_execz .LBB553_13
; %bb.12:
	ds_read_b128 v[13:16], v17 offset:256
	ds_read_b128 v[21:24], v17
	s_waitcnt lgkmcnt(0)
	v_add_f64 v[13:14], v[13:14], v[21:22]
	v_add_f64 v[15:16], v[15:16], v[23:24]
	ds_write_b128 v17, v[13:16]
.LBB553_13:
	s_or_b64 exec, exec, s[0:1]
	v_cmp_gt_u16_e32 vcc, 8, v20
	s_waitcnt lgkmcnt(0)
	s_barrier
	s_and_saveexec_b64 s[0:1], vcc
	s_cbranch_execz .LBB553_15
; %bb.14:
	ds_read_b128 v[13:16], v17 offset:128
	ds_read_b128 v[21:24], v17
	s_waitcnt lgkmcnt(0)
	v_add_f64 v[13:14], v[13:14], v[21:22]
	v_add_f64 v[15:16], v[15:16], v[23:24]
	ds_write_b128 v17, v[13:16]
.LBB553_15:
	s_or_b64 exec, exec, s[0:1]
	v_cmp_gt_u16_e32 vcc, 4, v20
	s_waitcnt lgkmcnt(0)
	s_barrier
	;; [unrolled: 14-line block ×3, first 2 shown]
	s_and_saveexec_b64 s[0:1], vcc
	s_cbranch_execz .LBB553_19
; %bb.18:
	ds_read_b128 v[13:16], v17
	ds_read_b128 v[18:21], v17 offset:32
	s_waitcnt lgkmcnt(0)
	v_add_f64 v[13:14], v[18:19], v[13:14]
	v_add_f64 v[15:16], v[20:21], v[15:16]
	ds_write_b128 v17, v[13:16]
.LBB553_19:
	s_or_b64 exec, exec, s[0:1]
	v_mov_b32_e32 v16, v12
	v_mov_b32_e32 v14, v10
	v_cmp_gt_u32_e32 vcc, 26, v0
	v_mov_b32_e32 v15, v11
	v_mov_b32_e32 v13, v9
	s_waitcnt lgkmcnt(0)
	s_barrier
	s_and_saveexec_b64 s[0:1], vcc
	s_cbranch_execz .LBB553_21
; %bb.20:
	s_movk_i32 s2, 0x190
	v_mad_u32_u24 v18, v0, s2, v17
	ds_read_b128 v[13:16], v18
	ds_read_b128 v[18:21], v18 offset:16
	s_waitcnt lgkmcnt(0)
	v_add_f64 v[13:14], v[18:19], v[13:14]
	v_add_f64 v[15:16], v[20:21], v[15:16]
.LBB553_21:
	s_or_b64 exec, exec, s[0:1]
	s_branch .LBB553_34
.LBB553_22:
                                        ; implicit-def: $vgpr15_vgpr16
                                        ; implicit-def: $vgpr13_vgpr14
	s_cbranch_execz .LBB553_34
; %bb.23:
	s_movk_i32 s0, 0x104
	v_cmp_gt_u32_e32 vcc, s0, v0
	s_and_saveexec_b64 s[0:1], vcc
	s_cbranch_execz .LBB553_25
; %bb.24:
	ds_read_b128 v[13:16], v17 offset:6656
	ds_read_b128 v[18:21], v17
	s_waitcnt lgkmcnt(0)
	v_add_f64 v[13:14], v[13:14], v[18:19]
	v_add_f64 v[15:16], v[15:16], v[20:21]
	ds_write_b128 v17, v[13:16]
.LBB553_25:
	s_or_b64 exec, exec, s[0:1]
	s_movk_i32 s0, 0xd0
	v_cmp_gt_u32_e32 vcc, s0, v0
	s_waitcnt lgkmcnt(0)
	s_barrier
	s_and_saveexec_b64 s[0:1], vcc
	s_cbranch_execz .LBB553_27
; %bb.26:
	ds_read_b128 v[13:16], v17 offset:3328
	ds_read_b128 v[18:21], v17
	s_waitcnt lgkmcnt(0)
	v_add_f64 v[13:14], v[13:14], v[18:19]
	v_add_f64 v[15:16], v[15:16], v[20:21]
	ds_write_b128 v17, v[13:16]
.LBB553_27:
	s_or_b64 exec, exec, s[0:1]
	s_movk_i32 s0, 0x68
	v_cmp_gt_u32_e32 vcc, s0, v0
	s_waitcnt lgkmcnt(0)
	s_barrier
	s_and_saveexec_b64 s[0:1], vcc
	s_cbranch_execz .LBB553_29
; %bb.28:
	ds_read_b128 v[13:16], v17 offset:1664
	ds_read_b128 v[18:21], v17
	s_waitcnt lgkmcnt(0)
	v_add_f64 v[13:14], v[13:14], v[18:19]
	v_add_f64 v[15:16], v[15:16], v[20:21]
	ds_write_b128 v17, v[13:16]
.LBB553_29:
	s_or_b64 exec, exec, s[0:1]
	v_cmp_gt_u32_e32 vcc, 52, v0
	s_waitcnt lgkmcnt(0)
	s_barrier
	s_and_saveexec_b64 s[0:1], vcc
	s_cbranch_execz .LBB553_31
; %bb.30:
	ds_read_b128 v[13:16], v17 offset:832
	ds_read_b128 v[18:21], v17
	s_waitcnt lgkmcnt(0)
	v_add_f64 v[13:14], v[13:14], v[18:19]
	v_add_f64 v[15:16], v[15:16], v[20:21]
	ds_write_b128 v17, v[13:16]
.LBB553_31:
	s_or_b64 exec, exec, s[0:1]
	v_cmp_gt_u32_e32 vcc, 26, v0
	s_waitcnt lgkmcnt(0)
	s_and_saveexec_b64 s[0:1], vcc
	s_cbranch_execz .LBB553_33
; %bb.32:
	ds_read_b128 v[9:12], v17 offset:416
	ds_read_b128 v[13:16], v17
	s_waitcnt lgkmcnt(0)
	v_add_f64 v[9:10], v[9:10], v[13:14]
	v_add_f64 v[11:12], v[11:12], v[15:16]
.LBB553_33:
	s_or_b64 exec, exec, s[0:1]
	v_mov_b32_e32 v16, v12
	v_mov_b32_e32 v14, v10
	;; [unrolled: 1-line block ×4, first 2 shown]
.LBB553_34:
	v_cmp_gt_u32_e32 vcc, 26, v0
	s_and_b64 exec, exec, vcc
	s_cbranch_execz .LBB553_39
; %bb.35:
	v_mul_f64 v[9:10], v[15:16], -v[7:8]
	v_mul_f64 v[11:12], v[5:6], v[15:16]
	v_cmp_eq_f64_e32 vcc, 0, v[1:2]
	v_cmp_eq_f64_e64 s[0:1], 0, v[3:4]
	v_fma_f64 v[5:6], v[5:6], v[13:14], v[9:10]
	v_fma_f64 v[7:8], v[7:8], v[13:14], v[11:12]
	s_and_b64 s[0:1], vcc, s[0:1]
	s_and_saveexec_b64 s[2:3], s[0:1]
	s_xor_b64 s[0:1], exec, s[2:3]
	s_cbranch_execz .LBB553_37
; %bb.36:
	v_mad_u64_u32 v[0:1], s[2:3], s6, 26, v[0:1]
	v_mov_b32_e32 v1, 0
	v_mov_b32_e32 v2, s13
	v_lshlrev_b64 v[0:1], 4, v[0:1]
	v_add_co_u32_e32 v0, vcc, s12, v0
	v_addc_co_u32_e32 v1, vcc, v2, v1, vcc
	global_store_dwordx4 v[0:1], v[5:8], off
                                        ; implicit-def: $vgpr0
                                        ; implicit-def: $vgpr1_vgpr2
                                        ; implicit-def: $vgpr5_vgpr6
.LBB553_37:
	s_andn2_saveexec_b64 s[0:1], s[0:1]
	s_cbranch_execz .LBB553_39
; %bb.38:
	v_mad_u64_u32 v[9:10], s[0:1], s6, 26, v[0:1]
	v_mov_b32_e32 v10, 0
	v_mov_b32_e32 v0, s13
	v_lshlrev_b64 v[9:10], 4, v[9:10]
	v_add_co_u32_e32 v13, vcc, s12, v9
	v_addc_co_u32_e32 v14, vcc, v0, v10, vcc
	global_load_dwordx4 v[9:12], v[13:14], off
	s_waitcnt vmcnt(0)
	v_fma_f64 v[5:6], v[1:2], v[9:10], v[5:6]
	v_fma_f64 v[7:8], v[3:4], v[9:10], v[7:8]
	v_fma_f64 v[3:4], -v[3:4], v[11:12], v[5:6]
	v_fma_f64 v[5:6], v[1:2], v[11:12], v[7:8]
	global_store_dwordx4 v[13:14], v[3:6], off
.LBB553_39:
	s_endpgm
	.section	.rodata,"a",@progbits
	.p2align	6, 0x0
	.amdhsa_kernel _ZN9rocsparseL20bsrxmvn_17_32_kernelILj26E21rocsparse_complex_numIdEliS1_IfES2_S2_EEvT2_20rocsparse_direction_NS_24const_host_device_scalarIT0_EES4_PKS4_PKT1_SD_SA_PKT3_PKT4_S8_PT5_21rocsparse_index_base_b
		.amdhsa_group_segment_fixed_size 10816
		.amdhsa_private_segment_fixed_size 0
		.amdhsa_kernarg_size 112
		.amdhsa_user_sgpr_count 6
		.amdhsa_user_sgpr_private_segment_buffer 1
		.amdhsa_user_sgpr_dispatch_ptr 0
		.amdhsa_user_sgpr_queue_ptr 0
		.amdhsa_user_sgpr_kernarg_segment_ptr 1
		.amdhsa_user_sgpr_dispatch_id 0
		.amdhsa_user_sgpr_flat_scratch_init 0
		.amdhsa_user_sgpr_private_segment_size 0
		.amdhsa_uses_dynamic_stack 0
		.amdhsa_system_sgpr_private_segment_wavefront_offset 0
		.amdhsa_system_sgpr_workgroup_id_x 1
		.amdhsa_system_sgpr_workgroup_id_y 0
		.amdhsa_system_sgpr_workgroup_id_z 0
		.amdhsa_system_sgpr_workgroup_info 0
		.amdhsa_system_vgpr_workitem_id 0
		.amdhsa_next_free_vgpr 30
		.amdhsa_next_free_sgpr 61
		.amdhsa_reserve_vcc 1
		.amdhsa_reserve_flat_scratch 0
		.amdhsa_float_round_mode_32 0
		.amdhsa_float_round_mode_16_64 0
		.amdhsa_float_denorm_mode_32 3
		.amdhsa_float_denorm_mode_16_64 3
		.amdhsa_dx10_clamp 1
		.amdhsa_ieee_mode 1
		.amdhsa_fp16_overflow 0
		.amdhsa_exception_fp_ieee_invalid_op 0
		.amdhsa_exception_fp_denorm_src 0
		.amdhsa_exception_fp_ieee_div_zero 0
		.amdhsa_exception_fp_ieee_overflow 0
		.amdhsa_exception_fp_ieee_underflow 0
		.amdhsa_exception_fp_ieee_inexact 0
		.amdhsa_exception_int_div_zero 0
	.end_amdhsa_kernel
	.section	.text._ZN9rocsparseL20bsrxmvn_17_32_kernelILj26E21rocsparse_complex_numIdEliS1_IfES2_S2_EEvT2_20rocsparse_direction_NS_24const_host_device_scalarIT0_EES4_PKS4_PKT1_SD_SA_PKT3_PKT4_S8_PT5_21rocsparse_index_base_b,"axG",@progbits,_ZN9rocsparseL20bsrxmvn_17_32_kernelILj26E21rocsparse_complex_numIdEliS1_IfES2_S2_EEvT2_20rocsparse_direction_NS_24const_host_device_scalarIT0_EES4_PKS4_PKT1_SD_SA_PKT3_PKT4_S8_PT5_21rocsparse_index_base_b,comdat
.Lfunc_end553:
	.size	_ZN9rocsparseL20bsrxmvn_17_32_kernelILj26E21rocsparse_complex_numIdEliS1_IfES2_S2_EEvT2_20rocsparse_direction_NS_24const_host_device_scalarIT0_EES4_PKS4_PKT1_SD_SA_PKT3_PKT4_S8_PT5_21rocsparse_index_base_b, .Lfunc_end553-_ZN9rocsparseL20bsrxmvn_17_32_kernelILj26E21rocsparse_complex_numIdEliS1_IfES2_S2_EEvT2_20rocsparse_direction_NS_24const_host_device_scalarIT0_EES4_PKS4_PKT1_SD_SA_PKT3_PKT4_S8_PT5_21rocsparse_index_base_b
                                        ; -- End function
	.set _ZN9rocsparseL20bsrxmvn_17_32_kernelILj26E21rocsparse_complex_numIdEliS1_IfES2_S2_EEvT2_20rocsparse_direction_NS_24const_host_device_scalarIT0_EES4_PKS4_PKT1_SD_SA_PKT3_PKT4_S8_PT5_21rocsparse_index_base_b.num_vgpr, 30
	.set _ZN9rocsparseL20bsrxmvn_17_32_kernelILj26E21rocsparse_complex_numIdEliS1_IfES2_S2_EEvT2_20rocsparse_direction_NS_24const_host_device_scalarIT0_EES4_PKS4_PKT1_SD_SA_PKT3_PKT4_S8_PT5_21rocsparse_index_base_b.num_agpr, 0
	.set _ZN9rocsparseL20bsrxmvn_17_32_kernelILj26E21rocsparse_complex_numIdEliS1_IfES2_S2_EEvT2_20rocsparse_direction_NS_24const_host_device_scalarIT0_EES4_PKS4_PKT1_SD_SA_PKT3_PKT4_S8_PT5_21rocsparse_index_base_b.numbered_sgpr, 22
	.set _ZN9rocsparseL20bsrxmvn_17_32_kernelILj26E21rocsparse_complex_numIdEliS1_IfES2_S2_EEvT2_20rocsparse_direction_NS_24const_host_device_scalarIT0_EES4_PKS4_PKT1_SD_SA_PKT3_PKT4_S8_PT5_21rocsparse_index_base_b.num_named_barrier, 0
	.set _ZN9rocsparseL20bsrxmvn_17_32_kernelILj26E21rocsparse_complex_numIdEliS1_IfES2_S2_EEvT2_20rocsparse_direction_NS_24const_host_device_scalarIT0_EES4_PKS4_PKT1_SD_SA_PKT3_PKT4_S8_PT5_21rocsparse_index_base_b.private_seg_size, 0
	.set _ZN9rocsparseL20bsrxmvn_17_32_kernelILj26E21rocsparse_complex_numIdEliS1_IfES2_S2_EEvT2_20rocsparse_direction_NS_24const_host_device_scalarIT0_EES4_PKS4_PKT1_SD_SA_PKT3_PKT4_S8_PT5_21rocsparse_index_base_b.uses_vcc, 1
	.set _ZN9rocsparseL20bsrxmvn_17_32_kernelILj26E21rocsparse_complex_numIdEliS1_IfES2_S2_EEvT2_20rocsparse_direction_NS_24const_host_device_scalarIT0_EES4_PKS4_PKT1_SD_SA_PKT3_PKT4_S8_PT5_21rocsparse_index_base_b.uses_flat_scratch, 0
	.set _ZN9rocsparseL20bsrxmvn_17_32_kernelILj26E21rocsparse_complex_numIdEliS1_IfES2_S2_EEvT2_20rocsparse_direction_NS_24const_host_device_scalarIT0_EES4_PKS4_PKT1_SD_SA_PKT3_PKT4_S8_PT5_21rocsparse_index_base_b.has_dyn_sized_stack, 0
	.set _ZN9rocsparseL20bsrxmvn_17_32_kernelILj26E21rocsparse_complex_numIdEliS1_IfES2_S2_EEvT2_20rocsparse_direction_NS_24const_host_device_scalarIT0_EES4_PKS4_PKT1_SD_SA_PKT3_PKT4_S8_PT5_21rocsparse_index_base_b.has_recursion, 0
	.set _ZN9rocsparseL20bsrxmvn_17_32_kernelILj26E21rocsparse_complex_numIdEliS1_IfES2_S2_EEvT2_20rocsparse_direction_NS_24const_host_device_scalarIT0_EES4_PKS4_PKT1_SD_SA_PKT3_PKT4_S8_PT5_21rocsparse_index_base_b.has_indirect_call, 0
	.section	.AMDGPU.csdata,"",@progbits
; Kernel info:
; codeLenInByte = 1732
; TotalNumSgprs: 26
; NumVgprs: 30
; ScratchSize: 0
; MemoryBound: 0
; FloatMode: 240
; IeeeMode: 1
; LDSByteSize: 10816 bytes/workgroup (compile time only)
; SGPRBlocks: 8
; VGPRBlocks: 7
; NumSGPRsForWavesPerEU: 65
; NumVGPRsForWavesPerEU: 30
; Occupancy: 8
; WaveLimiterHint : 1
; COMPUTE_PGM_RSRC2:SCRATCH_EN: 0
; COMPUTE_PGM_RSRC2:USER_SGPR: 6
; COMPUTE_PGM_RSRC2:TRAP_HANDLER: 0
; COMPUTE_PGM_RSRC2:TGID_X_EN: 1
; COMPUTE_PGM_RSRC2:TGID_Y_EN: 0
; COMPUTE_PGM_RSRC2:TGID_Z_EN: 0
; COMPUTE_PGM_RSRC2:TIDIG_COMP_CNT: 0
	.section	.text._ZN9rocsparseL20bsrxmvn_17_32_kernelILj27E21rocsparse_complex_numIdEliS1_IfES2_S2_EEvT2_20rocsparse_direction_NS_24const_host_device_scalarIT0_EES4_PKS4_PKT1_SD_SA_PKT3_PKT4_S8_PT5_21rocsparse_index_base_b,"axG",@progbits,_ZN9rocsparseL20bsrxmvn_17_32_kernelILj27E21rocsparse_complex_numIdEliS1_IfES2_S2_EEvT2_20rocsparse_direction_NS_24const_host_device_scalarIT0_EES4_PKS4_PKT1_SD_SA_PKT3_PKT4_S8_PT5_21rocsparse_index_base_b,comdat
	.globl	_ZN9rocsparseL20bsrxmvn_17_32_kernelILj27E21rocsparse_complex_numIdEliS1_IfES2_S2_EEvT2_20rocsparse_direction_NS_24const_host_device_scalarIT0_EES4_PKS4_PKT1_SD_SA_PKT3_PKT4_S8_PT5_21rocsparse_index_base_b ; -- Begin function _ZN9rocsparseL20bsrxmvn_17_32_kernelILj27E21rocsparse_complex_numIdEliS1_IfES2_S2_EEvT2_20rocsparse_direction_NS_24const_host_device_scalarIT0_EES4_PKS4_PKT1_SD_SA_PKT3_PKT4_S8_PT5_21rocsparse_index_base_b
	.p2align	8
	.type	_ZN9rocsparseL20bsrxmvn_17_32_kernelILj27E21rocsparse_complex_numIdEliS1_IfES2_S2_EEvT2_20rocsparse_direction_NS_24const_host_device_scalarIT0_EES4_PKS4_PKT1_SD_SA_PKT3_PKT4_S8_PT5_21rocsparse_index_base_b,@function
_ZN9rocsparseL20bsrxmvn_17_32_kernelILj27E21rocsparse_complex_numIdEliS1_IfES2_S2_EEvT2_20rocsparse_direction_NS_24const_host_device_scalarIT0_EES4_PKS4_PKT1_SD_SA_PKT3_PKT4_S8_PT5_21rocsparse_index_base_b: ; @_ZN9rocsparseL20bsrxmvn_17_32_kernelILj27E21rocsparse_complex_numIdEliS1_IfES2_S2_EEvT2_20rocsparse_direction_NS_24const_host_device_scalarIT0_EES4_PKS4_PKT1_SD_SA_PKT3_PKT4_S8_PT5_21rocsparse_index_base_b
; %bb.0:
	s_load_dwordx2 s[0:1], s[4:5], 0x8
	s_load_dwordx2 s[14:15], s[4:5], 0x68
	s_add_u32 s7, s4, 8
	s_addc_u32 s8, s5, 0
	s_add_u32 s9, s4, 0x50
	s_addc_u32 s10, s5, 0
	s_waitcnt lgkmcnt(0)
	s_bitcmp1_b32 s15, 0
	s_cselect_b32 s1, s8, s1
	s_cselect_b32 s0, s7, s0
	v_mov_b32_e32 v1, s0
	v_mov_b32_e32 v2, s1
	flat_load_dwordx4 v[5:8], v[1:2]
	s_load_dwordx2 s[2:3], s[4:5], 0x50
	s_waitcnt lgkmcnt(0)
	s_cselect_b32 s0, s10, s3
	s_cselect_b32 s1, s9, s2
	v_mov_b32_e32 v1, s1
	v_mov_b32_e32 v2, s0
	flat_load_dwordx4 v[1:4], v[1:2]
	s_waitcnt vmcnt(0)
	v_cmp_eq_f64_e32 vcc, 0, v[5:6]
	v_cmp_eq_f64_e64 s[0:1], 0, v[7:8]
	s_and_b64 s[8:9], vcc, s[0:1]
	s_mov_b64 s[0:1], -1
	s_and_saveexec_b64 s[2:3], s[8:9]
	s_cbranch_execz .LBB554_2
; %bb.1:
	s_waitcnt lgkmcnt(0)
	v_cmp_neq_f64_e32 vcc, 1.0, v[1:2]
	v_cmp_neq_f64_e64 s[0:1], 0, v[3:4]
	s_or_b64 s[0:1], vcc, s[0:1]
	s_orn2_b64 s[0:1], s[0:1], exec
.LBB554_2:
	s_or_b64 exec, exec, s[2:3]
	s_and_saveexec_b64 s[2:3], s[0:1]
	s_cbranch_execz .LBB554_39
; %bb.3:
	s_load_dwordx4 s[0:3], s[4:5], 0x20
	s_load_dwordx2 s[8:9], s[4:5], 0x30
	s_waitcnt lgkmcnt(0)
	s_cmp_eq_u64 s[0:1], 0
	s_cbranch_scc1 .LBB554_5
; %bb.4:
	s_ashr_i32 s7, s6, 31
	s_lshl_b64 s[6:7], s[6:7], 2
	s_add_u32 s0, s0, s6
	s_addc_u32 s1, s1, s7
	s_load_dword s0, s[0:1], 0x0
	s_waitcnt lgkmcnt(0)
	s_sub_i32 s6, s0, s14
.LBB554_5:
	s_load_dword s7, s[4:5], 0x4
	s_load_dwordx2 s[12:13], s[4:5], 0x60
	v_mul_u32_u24_e32 v13, 0x97c, v0
	v_mov_b32_e32 v9, 27
	v_mul_lo_u16_sdwa v9, v13, v9 dst_sel:DWORD dst_unused:UNUSED_PAD src0_sel:WORD_1 src1_sel:DWORD
	s_waitcnt lgkmcnt(0)
	s_cmp_eq_u32 s7, 1
	s_cselect_b64 s[0:1], -1, 0
	s_cmp_lg_u32 s7, 1
	s_cselect_b64 s[16:17], -1, 0
	s_ashr_i32 s7, s6, 31
	s_lshl_b64 s[10:11], s[6:7], 3
	s_add_u32 s2, s2, s10
	s_addc_u32 s3, s3, s11
	s_add_u32 s7, s2, 8
	s_addc_u32 s15, s3, 0
	s_add_u32 s10, s8, s10
	s_addc_u32 s11, s9, s11
	s_cmp_eq_u64 s[8:9], 0
	s_cselect_b32 s9, s15, s11
	s_cselect_b32 s8, s7, s10
	s_load_dwordx2 s[18:19], s[8:9], 0x0
	s_load_dwordx2 s[20:21], s[2:3], 0x0
	v_sub_u16_e32 v20, v0, v9
	v_mov_b32_e32 v11, 0
	v_mov_b32_e32 v12, 0
	s_waitcnt lgkmcnt(0)
	v_mov_b32_e32 v9, s18
	v_mov_b32_e32 v10, s19
	v_cmp_ge_i64_e32 vcc, s[20:21], v[9:10]
	v_mov_b32_e32 v9, 0
	v_mov_b32_e32 v10, 0
	s_cbranch_vccnz .LBB554_10
; %bb.6:
	s_load_dwordx2 s[2:3], s[4:5], 0x48
	s_load_dwordx4 s[8:11], s[4:5], 0x38
	s_sub_u32 s4, s18, s14
	s_mov_b32 s7, 0xffff
	s_subb_u32 s5, s19, 0
	s_movk_i32 s15, 0x2d9
	v_and_b32_sdwa v9, s7, v13 dst_sel:DWORD dst_unused:UNUSED_PAD src0_sel:DWORD src1_sel:WORD_1
	v_subrev_u32_e32 v10, 27, v9
	v_cmp_gt_u32_e32 vcc, s15, v0
	s_sub_u32 s18, s20, s14
	v_cndmask_b32_e32 v9, v10, v9, vcc
	s_subb_u32 s19, s21, 0
	v_cndmask_b32_e64 v13, v20, v9, s[0:1]
	s_mul_i32 s0, s19, 0x16c8
	s_mul_hi_u32 s1, s18, 0x16c8
	s_add_i32 s1, s1, s0
	s_mul_i32 s0, s18, 0x16c8
	s_waitcnt lgkmcnt(0)
	s_add_u32 s0, s10, s0
	s_addc_u32 s1, s11, s1
	v_lshlrev_b32_e32 v9, 3, v0
	v_mov_b32_e32 v10, s1
	v_add_co_u32_e32 v14, vcc, s0, v9
	v_addc_co_u32_e32 v15, vcc, 0, v10, vcc
	s_movk_i32 s0, 0x2d8
	v_cmp_lt_u32_e32 vcc, s0, v0
	v_cndmask_b32_e64 v21, 0, 1, vcc
	v_mov_b32_e32 v9, s21
	v_add_co_u32_e32 v10, vcc, s20, v21
	v_addc_co_u32_e32 v11, vcc, 0, v9, vcc
	v_subrev_co_u32_e32 v9, vcc, s14, v10
	v_subbrev_co_u32_e32 v10, vcc, 0, v11, vcc
	v_lshlrev_b64 v[9:10], 2, v[9:10]
	v_mov_b32_e32 v11, s9
	v_add_co_u32_e32 v16, vcc, s8, v9
	v_addc_co_u32_e32 v17, vcc, v11, v10, vcc
	v_mov_b32_e32 v11, 0
	v_mov_b32_e32 v12, 0
	;; [unrolled: 1-line block ×6, first 2 shown]
	s_branch .LBB554_8
.LBB554_7:                              ;   in Loop: Header=BB554_8 Depth=1
	s_or_b64 exec, exec, s[0:1]
	s_add_u32 s18, s18, 1
	s_addc_u32 s19, s19, 0
	v_cmp_lt_i64_e32 vcc, s[18:19], v[18:19]
	v_add_co_u32_e64 v16, s[0:1], 4, v16
	v_addc_co_u32_e64 v17, s[0:1], 0, v17, s[0:1]
	s_cbranch_vccz .LBB554_10
.LBB554_8:                              ; =>This Inner Loop Header: Depth=1
	v_mov_b32_e32 v23, s19
	v_add_co_u32_e32 v22, vcc, s18, v21
	v_addc_co_u32_e32 v23, vcc, 0, v23, vcc
	v_cmp_gt_i64_e32 vcc, s[4:5], v[22:23]
	s_and_saveexec_b64 s[0:1], vcc
	s_cbranch_execz .LBB554_7
; %bb.9:                                ;   in Loop: Header=BB554_8 Depth=1
	global_load_dword v22, v[16:17], off
	global_load_dwordx2 v[26:27], v[14:15], off
	v_mov_b32_e32 v24, s3
	s_waitcnt vmcnt(1)
	v_subrev_u32_e32 v22, s14, v22
	v_mad_u64_u32 v[22:23], s[8:9], v22, 27, v[13:14]
	s_waitcnt vmcnt(0)
	v_cvt_f64_f32_e32 v[28:29], v26
	v_cvt_f64_f32_e32 v[26:27], v27
	v_ashrrev_i32_e32 v23, 31, v22
	v_lshlrev_b64 v[22:23], 4, v[22:23]
	v_add_co_u32_e32 v22, vcc, s2, v22
	v_addc_co_u32_e32 v23, vcc, v24, v23, vcc
	global_load_dwordx4 v[22:25], v[22:23], off
	v_add_co_u32_e32 v14, vcc, 0x16c8, v14
	v_addc_co_u32_e32 v15, vcc, 0, v15, vcc
	s_waitcnt vmcnt(0)
	v_fma_f64 v[9:10], v[28:29], v[22:23], v[9:10]
	v_fma_f64 v[11:12], v[26:27], v[22:23], v[11:12]
	v_fma_f64 v[9:10], -v[26:27], v[24:25], v[9:10]
	v_fma_f64 v[11:12], v[28:29], v[24:25], v[11:12]
	s_branch .LBB554_7
.LBB554_10:
	v_lshlrev_b32_e32 v17, 4, v0
	s_and_b64 vcc, exec, s[16:17]
	ds_write_b128 v17, v[9:12]
	s_waitcnt lgkmcnt(0)
	s_barrier
	s_cbranch_vccz .LBB554_22
; %bb.11:
	v_cmp_gt_u16_e32 vcc, 11, v20
	s_and_saveexec_b64 s[0:1], vcc
	s_cbranch_execz .LBB554_13
; %bb.12:
	ds_read_b128 v[13:16], v17 offset:256
	ds_read_b128 v[21:24], v17
	s_waitcnt lgkmcnt(0)
	v_add_f64 v[13:14], v[13:14], v[21:22]
	v_add_f64 v[15:16], v[15:16], v[23:24]
	ds_write_b128 v17, v[13:16]
.LBB554_13:
	s_or_b64 exec, exec, s[0:1]
	v_cmp_gt_u16_e32 vcc, 8, v20
	s_waitcnt lgkmcnt(0)
	s_barrier
	s_and_saveexec_b64 s[0:1], vcc
	s_cbranch_execz .LBB554_15
; %bb.14:
	ds_read_b128 v[13:16], v17 offset:128
	ds_read_b128 v[21:24], v17
	s_waitcnt lgkmcnt(0)
	v_add_f64 v[13:14], v[13:14], v[21:22]
	v_add_f64 v[15:16], v[15:16], v[23:24]
	ds_write_b128 v17, v[13:16]
.LBB554_15:
	s_or_b64 exec, exec, s[0:1]
	v_cmp_gt_u16_e32 vcc, 4, v20
	s_waitcnt lgkmcnt(0)
	s_barrier
	;; [unrolled: 14-line block ×3, first 2 shown]
	s_and_saveexec_b64 s[0:1], vcc
	s_cbranch_execz .LBB554_19
; %bb.18:
	ds_read_b128 v[13:16], v17
	ds_read_b128 v[18:21], v17 offset:32
	s_waitcnt lgkmcnt(0)
	v_add_f64 v[13:14], v[18:19], v[13:14]
	v_add_f64 v[15:16], v[20:21], v[15:16]
	ds_write_b128 v17, v[13:16]
.LBB554_19:
	s_or_b64 exec, exec, s[0:1]
	v_mov_b32_e32 v16, v12
	v_mov_b32_e32 v14, v10
	v_cmp_gt_u32_e32 vcc, 27, v0
	v_mov_b32_e32 v15, v11
	v_mov_b32_e32 v13, v9
	s_waitcnt lgkmcnt(0)
	s_barrier
	s_and_saveexec_b64 s[0:1], vcc
	s_cbranch_execz .LBB554_21
; %bb.20:
	s_movk_i32 s2, 0x1a0
	v_mad_u32_u24 v18, v0, s2, v17
	ds_read_b128 v[13:16], v18
	ds_read_b128 v[18:21], v18 offset:16
	s_waitcnt lgkmcnt(0)
	v_add_f64 v[13:14], v[18:19], v[13:14]
	v_add_f64 v[15:16], v[20:21], v[15:16]
.LBB554_21:
	s_or_b64 exec, exec, s[0:1]
	s_branch .LBB554_34
.LBB554_22:
                                        ; implicit-def: $vgpr15_vgpr16
                                        ; implicit-def: $vgpr13_vgpr14
	s_cbranch_execz .LBB554_34
; %bb.23:
	s_movk_i32 s0, 0x129
	v_cmp_gt_u32_e32 vcc, s0, v0
	s_and_saveexec_b64 s[0:1], vcc
	s_cbranch_execz .LBB554_25
; %bb.24:
	ds_read_b128 v[13:16], v17 offset:6912
	ds_read_b128 v[18:21], v17
	s_waitcnt lgkmcnt(0)
	v_add_f64 v[13:14], v[13:14], v[18:19]
	v_add_f64 v[15:16], v[15:16], v[20:21]
	ds_write_b128 v17, v[13:16]
.LBB554_25:
	s_or_b64 exec, exec, s[0:1]
	s_movk_i32 s0, 0xd8
	v_cmp_gt_u32_e32 vcc, s0, v0
	s_waitcnt lgkmcnt(0)
	s_barrier
	s_and_saveexec_b64 s[0:1], vcc
	s_cbranch_execz .LBB554_27
; %bb.26:
	ds_read_b128 v[13:16], v17 offset:3456
	ds_read_b128 v[18:21], v17
	s_waitcnt lgkmcnt(0)
	v_add_f64 v[13:14], v[13:14], v[18:19]
	v_add_f64 v[15:16], v[15:16], v[20:21]
	ds_write_b128 v17, v[13:16]
.LBB554_27:
	s_or_b64 exec, exec, s[0:1]
	s_movk_i32 s0, 0x6c
	v_cmp_gt_u32_e32 vcc, s0, v0
	s_waitcnt lgkmcnt(0)
	s_barrier
	s_and_saveexec_b64 s[0:1], vcc
	s_cbranch_execz .LBB554_29
; %bb.28:
	ds_read_b128 v[13:16], v17 offset:1728
	ds_read_b128 v[18:21], v17
	s_waitcnt lgkmcnt(0)
	v_add_f64 v[13:14], v[13:14], v[18:19]
	v_add_f64 v[15:16], v[15:16], v[20:21]
	ds_write_b128 v17, v[13:16]
.LBB554_29:
	s_or_b64 exec, exec, s[0:1]
	v_cmp_gt_u32_e32 vcc, 54, v0
	s_waitcnt lgkmcnt(0)
	s_barrier
	s_and_saveexec_b64 s[0:1], vcc
	s_cbranch_execz .LBB554_31
; %bb.30:
	ds_read_b128 v[13:16], v17 offset:864
	ds_read_b128 v[18:21], v17
	s_waitcnt lgkmcnt(0)
	v_add_f64 v[13:14], v[13:14], v[18:19]
	v_add_f64 v[15:16], v[15:16], v[20:21]
	ds_write_b128 v17, v[13:16]
.LBB554_31:
	s_or_b64 exec, exec, s[0:1]
	v_cmp_gt_u32_e32 vcc, 27, v0
	s_waitcnt lgkmcnt(0)
	s_and_saveexec_b64 s[0:1], vcc
	s_cbranch_execz .LBB554_33
; %bb.32:
	ds_read_b128 v[9:12], v17 offset:432
	ds_read_b128 v[13:16], v17
	s_waitcnt lgkmcnt(0)
	v_add_f64 v[9:10], v[9:10], v[13:14]
	v_add_f64 v[11:12], v[11:12], v[15:16]
.LBB554_33:
	s_or_b64 exec, exec, s[0:1]
	v_mov_b32_e32 v16, v12
	v_mov_b32_e32 v14, v10
	;; [unrolled: 1-line block ×4, first 2 shown]
.LBB554_34:
	v_cmp_gt_u32_e32 vcc, 27, v0
	s_and_b64 exec, exec, vcc
	s_cbranch_execz .LBB554_39
; %bb.35:
	v_mul_f64 v[9:10], v[15:16], -v[7:8]
	v_mul_f64 v[11:12], v[5:6], v[15:16]
	v_cmp_eq_f64_e32 vcc, 0, v[1:2]
	v_cmp_eq_f64_e64 s[0:1], 0, v[3:4]
	v_fma_f64 v[5:6], v[5:6], v[13:14], v[9:10]
	v_fma_f64 v[7:8], v[7:8], v[13:14], v[11:12]
	s_and_b64 s[0:1], vcc, s[0:1]
	s_and_saveexec_b64 s[2:3], s[0:1]
	s_xor_b64 s[0:1], exec, s[2:3]
	s_cbranch_execz .LBB554_37
; %bb.36:
	v_mad_u64_u32 v[0:1], s[2:3], s6, 27, v[0:1]
	v_mov_b32_e32 v1, 0
	v_mov_b32_e32 v2, s13
	v_lshlrev_b64 v[0:1], 4, v[0:1]
	v_add_co_u32_e32 v0, vcc, s12, v0
	v_addc_co_u32_e32 v1, vcc, v2, v1, vcc
	global_store_dwordx4 v[0:1], v[5:8], off
                                        ; implicit-def: $vgpr0
                                        ; implicit-def: $vgpr1_vgpr2
                                        ; implicit-def: $vgpr5_vgpr6
.LBB554_37:
	s_andn2_saveexec_b64 s[0:1], s[0:1]
	s_cbranch_execz .LBB554_39
; %bb.38:
	v_mad_u64_u32 v[9:10], s[0:1], s6, 27, v[0:1]
	v_mov_b32_e32 v10, 0
	v_mov_b32_e32 v0, s13
	v_lshlrev_b64 v[9:10], 4, v[9:10]
	v_add_co_u32_e32 v13, vcc, s12, v9
	v_addc_co_u32_e32 v14, vcc, v0, v10, vcc
	global_load_dwordx4 v[9:12], v[13:14], off
	s_waitcnt vmcnt(0)
	v_fma_f64 v[5:6], v[1:2], v[9:10], v[5:6]
	v_fma_f64 v[7:8], v[3:4], v[9:10], v[7:8]
	v_fma_f64 v[3:4], -v[3:4], v[11:12], v[5:6]
	v_fma_f64 v[5:6], v[1:2], v[11:12], v[7:8]
	global_store_dwordx4 v[13:14], v[3:6], off
.LBB554_39:
	s_endpgm
	.section	.rodata,"a",@progbits
	.p2align	6, 0x0
	.amdhsa_kernel _ZN9rocsparseL20bsrxmvn_17_32_kernelILj27E21rocsparse_complex_numIdEliS1_IfES2_S2_EEvT2_20rocsparse_direction_NS_24const_host_device_scalarIT0_EES4_PKS4_PKT1_SD_SA_PKT3_PKT4_S8_PT5_21rocsparse_index_base_b
		.amdhsa_group_segment_fixed_size 11664
		.amdhsa_private_segment_fixed_size 0
		.amdhsa_kernarg_size 112
		.amdhsa_user_sgpr_count 6
		.amdhsa_user_sgpr_private_segment_buffer 1
		.amdhsa_user_sgpr_dispatch_ptr 0
		.amdhsa_user_sgpr_queue_ptr 0
		.amdhsa_user_sgpr_kernarg_segment_ptr 1
		.amdhsa_user_sgpr_dispatch_id 0
		.amdhsa_user_sgpr_flat_scratch_init 0
		.amdhsa_user_sgpr_private_segment_size 0
		.amdhsa_uses_dynamic_stack 0
		.amdhsa_system_sgpr_private_segment_wavefront_offset 0
		.amdhsa_system_sgpr_workgroup_id_x 1
		.amdhsa_system_sgpr_workgroup_id_y 0
		.amdhsa_system_sgpr_workgroup_id_z 0
		.amdhsa_system_sgpr_workgroup_info 0
		.amdhsa_system_vgpr_workitem_id 0
		.amdhsa_next_free_vgpr 30
		.amdhsa_next_free_sgpr 61
		.amdhsa_reserve_vcc 1
		.amdhsa_reserve_flat_scratch 0
		.amdhsa_float_round_mode_32 0
		.amdhsa_float_round_mode_16_64 0
		.amdhsa_float_denorm_mode_32 3
		.amdhsa_float_denorm_mode_16_64 3
		.amdhsa_dx10_clamp 1
		.amdhsa_ieee_mode 1
		.amdhsa_fp16_overflow 0
		.amdhsa_exception_fp_ieee_invalid_op 0
		.amdhsa_exception_fp_denorm_src 0
		.amdhsa_exception_fp_ieee_div_zero 0
		.amdhsa_exception_fp_ieee_overflow 0
		.amdhsa_exception_fp_ieee_underflow 0
		.amdhsa_exception_fp_ieee_inexact 0
		.amdhsa_exception_int_div_zero 0
	.end_amdhsa_kernel
	.section	.text._ZN9rocsparseL20bsrxmvn_17_32_kernelILj27E21rocsparse_complex_numIdEliS1_IfES2_S2_EEvT2_20rocsparse_direction_NS_24const_host_device_scalarIT0_EES4_PKS4_PKT1_SD_SA_PKT3_PKT4_S8_PT5_21rocsparse_index_base_b,"axG",@progbits,_ZN9rocsparseL20bsrxmvn_17_32_kernelILj27E21rocsparse_complex_numIdEliS1_IfES2_S2_EEvT2_20rocsparse_direction_NS_24const_host_device_scalarIT0_EES4_PKS4_PKT1_SD_SA_PKT3_PKT4_S8_PT5_21rocsparse_index_base_b,comdat
.Lfunc_end554:
	.size	_ZN9rocsparseL20bsrxmvn_17_32_kernelILj27E21rocsparse_complex_numIdEliS1_IfES2_S2_EEvT2_20rocsparse_direction_NS_24const_host_device_scalarIT0_EES4_PKS4_PKT1_SD_SA_PKT3_PKT4_S8_PT5_21rocsparse_index_base_b, .Lfunc_end554-_ZN9rocsparseL20bsrxmvn_17_32_kernelILj27E21rocsparse_complex_numIdEliS1_IfES2_S2_EEvT2_20rocsparse_direction_NS_24const_host_device_scalarIT0_EES4_PKS4_PKT1_SD_SA_PKT3_PKT4_S8_PT5_21rocsparse_index_base_b
                                        ; -- End function
	.set _ZN9rocsparseL20bsrxmvn_17_32_kernelILj27E21rocsparse_complex_numIdEliS1_IfES2_S2_EEvT2_20rocsparse_direction_NS_24const_host_device_scalarIT0_EES4_PKS4_PKT1_SD_SA_PKT3_PKT4_S8_PT5_21rocsparse_index_base_b.num_vgpr, 30
	.set _ZN9rocsparseL20bsrxmvn_17_32_kernelILj27E21rocsparse_complex_numIdEliS1_IfES2_S2_EEvT2_20rocsparse_direction_NS_24const_host_device_scalarIT0_EES4_PKS4_PKT1_SD_SA_PKT3_PKT4_S8_PT5_21rocsparse_index_base_b.num_agpr, 0
	.set _ZN9rocsparseL20bsrxmvn_17_32_kernelILj27E21rocsparse_complex_numIdEliS1_IfES2_S2_EEvT2_20rocsparse_direction_NS_24const_host_device_scalarIT0_EES4_PKS4_PKT1_SD_SA_PKT3_PKT4_S8_PT5_21rocsparse_index_base_b.numbered_sgpr, 22
	.set _ZN9rocsparseL20bsrxmvn_17_32_kernelILj27E21rocsparse_complex_numIdEliS1_IfES2_S2_EEvT2_20rocsparse_direction_NS_24const_host_device_scalarIT0_EES4_PKS4_PKT1_SD_SA_PKT3_PKT4_S8_PT5_21rocsparse_index_base_b.num_named_barrier, 0
	.set _ZN9rocsparseL20bsrxmvn_17_32_kernelILj27E21rocsparse_complex_numIdEliS1_IfES2_S2_EEvT2_20rocsparse_direction_NS_24const_host_device_scalarIT0_EES4_PKS4_PKT1_SD_SA_PKT3_PKT4_S8_PT5_21rocsparse_index_base_b.private_seg_size, 0
	.set _ZN9rocsparseL20bsrxmvn_17_32_kernelILj27E21rocsparse_complex_numIdEliS1_IfES2_S2_EEvT2_20rocsparse_direction_NS_24const_host_device_scalarIT0_EES4_PKS4_PKT1_SD_SA_PKT3_PKT4_S8_PT5_21rocsparse_index_base_b.uses_vcc, 1
	.set _ZN9rocsparseL20bsrxmvn_17_32_kernelILj27E21rocsparse_complex_numIdEliS1_IfES2_S2_EEvT2_20rocsparse_direction_NS_24const_host_device_scalarIT0_EES4_PKS4_PKT1_SD_SA_PKT3_PKT4_S8_PT5_21rocsparse_index_base_b.uses_flat_scratch, 0
	.set _ZN9rocsparseL20bsrxmvn_17_32_kernelILj27E21rocsparse_complex_numIdEliS1_IfES2_S2_EEvT2_20rocsparse_direction_NS_24const_host_device_scalarIT0_EES4_PKS4_PKT1_SD_SA_PKT3_PKT4_S8_PT5_21rocsparse_index_base_b.has_dyn_sized_stack, 0
	.set _ZN9rocsparseL20bsrxmvn_17_32_kernelILj27E21rocsparse_complex_numIdEliS1_IfES2_S2_EEvT2_20rocsparse_direction_NS_24const_host_device_scalarIT0_EES4_PKS4_PKT1_SD_SA_PKT3_PKT4_S8_PT5_21rocsparse_index_base_b.has_recursion, 0
	.set _ZN9rocsparseL20bsrxmvn_17_32_kernelILj27E21rocsparse_complex_numIdEliS1_IfES2_S2_EEvT2_20rocsparse_direction_NS_24const_host_device_scalarIT0_EES4_PKS4_PKT1_SD_SA_PKT3_PKT4_S8_PT5_21rocsparse_index_base_b.has_indirect_call, 0
	.section	.AMDGPU.csdata,"",@progbits
; Kernel info:
; codeLenInByte = 1732
; TotalNumSgprs: 26
; NumVgprs: 30
; ScratchSize: 0
; MemoryBound: 0
; FloatMode: 240
; IeeeMode: 1
; LDSByteSize: 11664 bytes/workgroup (compile time only)
; SGPRBlocks: 8
; VGPRBlocks: 7
; NumSGPRsForWavesPerEU: 65
; NumVGPRsForWavesPerEU: 30
; Occupancy: 8
; WaveLimiterHint : 1
; COMPUTE_PGM_RSRC2:SCRATCH_EN: 0
; COMPUTE_PGM_RSRC2:USER_SGPR: 6
; COMPUTE_PGM_RSRC2:TRAP_HANDLER: 0
; COMPUTE_PGM_RSRC2:TGID_X_EN: 1
; COMPUTE_PGM_RSRC2:TGID_Y_EN: 0
; COMPUTE_PGM_RSRC2:TGID_Z_EN: 0
; COMPUTE_PGM_RSRC2:TIDIG_COMP_CNT: 0
	.section	.text._ZN9rocsparseL20bsrxmvn_17_32_kernelILj28E21rocsparse_complex_numIdEliS1_IfES2_S2_EEvT2_20rocsparse_direction_NS_24const_host_device_scalarIT0_EES4_PKS4_PKT1_SD_SA_PKT3_PKT4_S8_PT5_21rocsparse_index_base_b,"axG",@progbits,_ZN9rocsparseL20bsrxmvn_17_32_kernelILj28E21rocsparse_complex_numIdEliS1_IfES2_S2_EEvT2_20rocsparse_direction_NS_24const_host_device_scalarIT0_EES4_PKS4_PKT1_SD_SA_PKT3_PKT4_S8_PT5_21rocsparse_index_base_b,comdat
	.globl	_ZN9rocsparseL20bsrxmvn_17_32_kernelILj28E21rocsparse_complex_numIdEliS1_IfES2_S2_EEvT2_20rocsparse_direction_NS_24const_host_device_scalarIT0_EES4_PKS4_PKT1_SD_SA_PKT3_PKT4_S8_PT5_21rocsparse_index_base_b ; -- Begin function _ZN9rocsparseL20bsrxmvn_17_32_kernelILj28E21rocsparse_complex_numIdEliS1_IfES2_S2_EEvT2_20rocsparse_direction_NS_24const_host_device_scalarIT0_EES4_PKS4_PKT1_SD_SA_PKT3_PKT4_S8_PT5_21rocsparse_index_base_b
	.p2align	8
	.type	_ZN9rocsparseL20bsrxmvn_17_32_kernelILj28E21rocsparse_complex_numIdEliS1_IfES2_S2_EEvT2_20rocsparse_direction_NS_24const_host_device_scalarIT0_EES4_PKS4_PKT1_SD_SA_PKT3_PKT4_S8_PT5_21rocsparse_index_base_b,@function
_ZN9rocsparseL20bsrxmvn_17_32_kernelILj28E21rocsparse_complex_numIdEliS1_IfES2_S2_EEvT2_20rocsparse_direction_NS_24const_host_device_scalarIT0_EES4_PKS4_PKT1_SD_SA_PKT3_PKT4_S8_PT5_21rocsparse_index_base_b: ; @_ZN9rocsparseL20bsrxmvn_17_32_kernelILj28E21rocsparse_complex_numIdEliS1_IfES2_S2_EEvT2_20rocsparse_direction_NS_24const_host_device_scalarIT0_EES4_PKS4_PKT1_SD_SA_PKT3_PKT4_S8_PT5_21rocsparse_index_base_b
; %bb.0:
	s_load_dwordx2 s[0:1], s[4:5], 0x8
	s_load_dwordx2 s[14:15], s[4:5], 0x68
	s_add_u32 s7, s4, 8
	s_addc_u32 s8, s5, 0
	s_add_u32 s9, s4, 0x50
	s_addc_u32 s10, s5, 0
	s_waitcnt lgkmcnt(0)
	s_bitcmp1_b32 s15, 0
	s_cselect_b32 s1, s8, s1
	s_cselect_b32 s0, s7, s0
	v_mov_b32_e32 v1, s0
	v_mov_b32_e32 v2, s1
	flat_load_dwordx4 v[5:8], v[1:2]
	s_load_dwordx2 s[2:3], s[4:5], 0x50
	s_waitcnt lgkmcnt(0)
	s_cselect_b32 s0, s10, s3
	s_cselect_b32 s1, s9, s2
	v_mov_b32_e32 v1, s1
	v_mov_b32_e32 v2, s0
	flat_load_dwordx4 v[1:4], v[1:2]
	s_waitcnt vmcnt(0)
	v_cmp_eq_f64_e32 vcc, 0, v[5:6]
	v_cmp_eq_f64_e64 s[0:1], 0, v[7:8]
	s_and_b64 s[8:9], vcc, s[0:1]
	s_mov_b64 s[0:1], -1
	s_and_saveexec_b64 s[2:3], s[8:9]
	s_cbranch_execz .LBB555_2
; %bb.1:
	s_waitcnt lgkmcnt(0)
	v_cmp_neq_f64_e32 vcc, 1.0, v[1:2]
	v_cmp_neq_f64_e64 s[0:1], 0, v[3:4]
	s_or_b64 s[0:1], vcc, s[0:1]
	s_orn2_b64 s[0:1], s[0:1], exec
.LBB555_2:
	s_or_b64 exec, exec, s[2:3]
	s_and_saveexec_b64 s[2:3], s[0:1]
	s_cbranch_execz .LBB555_39
; %bb.3:
	s_load_dwordx4 s[0:3], s[4:5], 0x20
	s_load_dwordx2 s[8:9], s[4:5], 0x30
	s_waitcnt lgkmcnt(0)
	s_cmp_eq_u64 s[0:1], 0
	s_cbranch_scc1 .LBB555_5
; %bb.4:
	s_ashr_i32 s7, s6, 31
	s_lshl_b64 s[6:7], s[6:7], 2
	s_add_u32 s0, s0, s6
	s_addc_u32 s1, s1, s7
	s_load_dword s0, s[0:1], 0x0
	s_waitcnt lgkmcnt(0)
	s_sub_i32 s6, s0, s14
.LBB555_5:
	s_load_dword s7, s[4:5], 0x4
	s_load_dwordx2 s[12:13], s[4:5], 0x60
	v_mul_u32_u24_e32 v13, 0x925, v0
	v_mov_b32_e32 v9, 28
	v_mul_lo_u16_sdwa v9, v13, v9 dst_sel:DWORD dst_unused:UNUSED_PAD src0_sel:WORD_1 src1_sel:DWORD
	s_waitcnt lgkmcnt(0)
	s_cmp_eq_u32 s7, 1
	s_cselect_b64 s[0:1], -1, 0
	s_cmp_lg_u32 s7, 1
	s_cselect_b64 s[16:17], -1, 0
	s_ashr_i32 s7, s6, 31
	s_lshl_b64 s[10:11], s[6:7], 3
	s_add_u32 s2, s2, s10
	s_addc_u32 s3, s3, s11
	s_add_u32 s7, s2, 8
	s_addc_u32 s15, s3, 0
	;; [unrolled: 2-line block ×3, first 2 shown]
	s_cmp_eq_u64 s[8:9], 0
	s_cselect_b32 s9, s15, s11
	s_cselect_b32 s8, s7, s10
	s_load_dwordx2 s[18:19], s[8:9], 0x0
	s_load_dwordx2 s[20:21], s[2:3], 0x0
	v_sub_u16_e32 v20, v0, v9
	v_mov_b32_e32 v11, 0
	v_mov_b32_e32 v12, 0
	s_waitcnt lgkmcnt(0)
	v_mov_b32_e32 v9, s18
	v_mov_b32_e32 v10, s19
	v_cmp_ge_i64_e32 vcc, s[20:21], v[9:10]
	v_mov_b32_e32 v9, 0
	v_mov_b32_e32 v10, 0
	s_cbranch_vccnz .LBB555_10
; %bb.6:
	s_load_dwordx2 s[2:3], s[4:5], 0x48
	s_load_dwordx4 s[8:11], s[4:5], 0x38
	s_sub_u32 s4, s18, s14
	s_mov_b32 s7, 0xffff
	s_subb_u32 s5, s19, 0
	s_movk_i32 s15, 0x310
	v_and_b32_sdwa v9, s7, v13 dst_sel:DWORD dst_unused:UNUSED_PAD src0_sel:DWORD src1_sel:WORD_1
	v_subrev_u32_e32 v10, 28, v9
	v_cmp_gt_u32_e32 vcc, s15, v0
	s_sub_u32 s18, s20, s14
	v_cndmask_b32_e32 v9, v10, v9, vcc
	s_subb_u32 s19, s21, 0
	v_cndmask_b32_e64 v13, v20, v9, s[0:1]
	s_mul_i32 s0, s19, 0x1880
	s_mul_hi_u32 s1, s18, 0x1880
	s_add_i32 s1, s1, s0
	s_mul_i32 s0, s18, 0x1880
	s_waitcnt lgkmcnt(0)
	s_add_u32 s0, s10, s0
	s_addc_u32 s1, s11, s1
	v_lshlrev_b32_e32 v9, 3, v0
	v_mov_b32_e32 v10, s1
	v_add_co_u32_e32 v14, vcc, s0, v9
	v_addc_co_u32_e32 v15, vcc, 0, v10, vcc
	s_movk_i32 s0, 0x30f
	v_cmp_lt_u32_e32 vcc, s0, v0
	v_cndmask_b32_e64 v21, 0, 1, vcc
	v_mov_b32_e32 v9, s21
	v_add_co_u32_e32 v10, vcc, s20, v21
	v_addc_co_u32_e32 v11, vcc, 0, v9, vcc
	v_subrev_co_u32_e32 v9, vcc, s14, v10
	v_subbrev_co_u32_e32 v10, vcc, 0, v11, vcc
	v_lshlrev_b64 v[9:10], 2, v[9:10]
	v_mov_b32_e32 v11, s9
	v_add_co_u32_e32 v16, vcc, s8, v9
	v_addc_co_u32_e32 v17, vcc, v11, v10, vcc
	v_mov_b32_e32 v11, 0
	v_mov_b32_e32 v12, 0
	;; [unrolled: 1-line block ×6, first 2 shown]
	s_branch .LBB555_8
.LBB555_7:                              ;   in Loop: Header=BB555_8 Depth=1
	s_or_b64 exec, exec, s[0:1]
	s_add_u32 s18, s18, 1
	s_addc_u32 s19, s19, 0
	v_cmp_lt_i64_e32 vcc, s[18:19], v[18:19]
	v_add_co_u32_e64 v16, s[0:1], 4, v16
	v_addc_co_u32_e64 v17, s[0:1], 0, v17, s[0:1]
	s_cbranch_vccz .LBB555_10
.LBB555_8:                              ; =>This Inner Loop Header: Depth=1
	v_mov_b32_e32 v23, s19
	v_add_co_u32_e32 v22, vcc, s18, v21
	v_addc_co_u32_e32 v23, vcc, 0, v23, vcc
	v_cmp_gt_i64_e32 vcc, s[4:5], v[22:23]
	s_and_saveexec_b64 s[0:1], vcc
	s_cbranch_execz .LBB555_7
; %bb.9:                                ;   in Loop: Header=BB555_8 Depth=1
	global_load_dword v22, v[16:17], off
	global_load_dwordx2 v[26:27], v[14:15], off
	v_mov_b32_e32 v24, s3
	s_waitcnt vmcnt(1)
	v_subrev_u32_e32 v22, s14, v22
	v_mad_u64_u32 v[22:23], s[8:9], v22, 28, v[13:14]
	s_waitcnt vmcnt(0)
	v_cvt_f64_f32_e32 v[28:29], v26
	v_cvt_f64_f32_e32 v[26:27], v27
	v_ashrrev_i32_e32 v23, 31, v22
	v_lshlrev_b64 v[22:23], 4, v[22:23]
	v_add_co_u32_e32 v22, vcc, s2, v22
	v_addc_co_u32_e32 v23, vcc, v24, v23, vcc
	global_load_dwordx4 v[22:25], v[22:23], off
	v_add_co_u32_e32 v14, vcc, 0x1880, v14
	v_addc_co_u32_e32 v15, vcc, 0, v15, vcc
	s_waitcnt vmcnt(0)
	v_fma_f64 v[9:10], v[28:29], v[22:23], v[9:10]
	v_fma_f64 v[11:12], v[26:27], v[22:23], v[11:12]
	v_fma_f64 v[9:10], -v[26:27], v[24:25], v[9:10]
	v_fma_f64 v[11:12], v[28:29], v[24:25], v[11:12]
	s_branch .LBB555_7
.LBB555_10:
	v_lshlrev_b32_e32 v17, 4, v0
	s_and_b64 vcc, exec, s[16:17]
	ds_write_b128 v17, v[9:12]
	s_waitcnt lgkmcnt(0)
	s_barrier
	s_cbranch_vccz .LBB555_22
; %bb.11:
	v_cmp_gt_u16_e32 vcc, 12, v20
	s_and_saveexec_b64 s[0:1], vcc
	s_cbranch_execz .LBB555_13
; %bb.12:
	ds_read_b128 v[13:16], v17 offset:256
	ds_read_b128 v[21:24], v17
	s_waitcnt lgkmcnt(0)
	v_add_f64 v[13:14], v[13:14], v[21:22]
	v_add_f64 v[15:16], v[15:16], v[23:24]
	ds_write_b128 v17, v[13:16]
.LBB555_13:
	s_or_b64 exec, exec, s[0:1]
	v_cmp_gt_u16_e32 vcc, 8, v20
	s_waitcnt lgkmcnt(0)
	s_barrier
	s_and_saveexec_b64 s[0:1], vcc
	s_cbranch_execz .LBB555_15
; %bb.14:
	ds_read_b128 v[13:16], v17 offset:128
	ds_read_b128 v[21:24], v17
	s_waitcnt lgkmcnt(0)
	v_add_f64 v[13:14], v[13:14], v[21:22]
	v_add_f64 v[15:16], v[15:16], v[23:24]
	ds_write_b128 v17, v[13:16]
.LBB555_15:
	s_or_b64 exec, exec, s[0:1]
	v_cmp_gt_u16_e32 vcc, 4, v20
	s_waitcnt lgkmcnt(0)
	s_barrier
	;; [unrolled: 14-line block ×3, first 2 shown]
	s_and_saveexec_b64 s[0:1], vcc
	s_cbranch_execz .LBB555_19
; %bb.18:
	ds_read_b128 v[13:16], v17
	ds_read_b128 v[18:21], v17 offset:32
	s_waitcnt lgkmcnt(0)
	v_add_f64 v[13:14], v[18:19], v[13:14]
	v_add_f64 v[15:16], v[20:21], v[15:16]
	ds_write_b128 v17, v[13:16]
.LBB555_19:
	s_or_b64 exec, exec, s[0:1]
	v_mov_b32_e32 v16, v12
	v_mov_b32_e32 v14, v10
	v_cmp_gt_u32_e32 vcc, 28, v0
	v_mov_b32_e32 v15, v11
	v_mov_b32_e32 v13, v9
	s_waitcnt lgkmcnt(0)
	s_barrier
	s_and_saveexec_b64 s[0:1], vcc
	s_cbranch_execz .LBB555_21
; %bb.20:
	s_movk_i32 s2, 0x1b0
	v_mad_u32_u24 v18, v0, s2, v17
	ds_read_b128 v[13:16], v18
	ds_read_b128 v[18:21], v18 offset:16
	s_waitcnt lgkmcnt(0)
	v_add_f64 v[13:14], v[18:19], v[13:14]
	v_add_f64 v[15:16], v[20:21], v[15:16]
.LBB555_21:
	s_or_b64 exec, exec, s[0:1]
	s_branch .LBB555_34
.LBB555_22:
                                        ; implicit-def: $vgpr15_vgpr16
                                        ; implicit-def: $vgpr13_vgpr14
	s_cbranch_execz .LBB555_34
; %bb.23:
	s_movk_i32 s0, 0x150
	v_cmp_gt_u32_e32 vcc, s0, v0
	s_and_saveexec_b64 s[0:1], vcc
	s_cbranch_execz .LBB555_25
; %bb.24:
	ds_read_b128 v[13:16], v17 offset:7168
	ds_read_b128 v[18:21], v17
	s_waitcnt lgkmcnt(0)
	v_add_f64 v[13:14], v[13:14], v[18:19]
	v_add_f64 v[15:16], v[15:16], v[20:21]
	ds_write_b128 v17, v[13:16]
.LBB555_25:
	s_or_b64 exec, exec, s[0:1]
	s_movk_i32 s0, 0xe0
	v_cmp_gt_u32_e32 vcc, s0, v0
	s_waitcnt lgkmcnt(0)
	s_barrier
	s_and_saveexec_b64 s[0:1], vcc
	s_cbranch_execz .LBB555_27
; %bb.26:
	ds_read_b128 v[13:16], v17 offset:3584
	ds_read_b128 v[18:21], v17
	s_waitcnt lgkmcnt(0)
	v_add_f64 v[13:14], v[13:14], v[18:19]
	v_add_f64 v[15:16], v[15:16], v[20:21]
	ds_write_b128 v17, v[13:16]
.LBB555_27:
	s_or_b64 exec, exec, s[0:1]
	s_movk_i32 s0, 0x70
	v_cmp_gt_u32_e32 vcc, s0, v0
	s_waitcnt lgkmcnt(0)
	s_barrier
	s_and_saveexec_b64 s[0:1], vcc
	s_cbranch_execz .LBB555_29
; %bb.28:
	ds_read_b128 v[13:16], v17 offset:1792
	ds_read_b128 v[18:21], v17
	s_waitcnt lgkmcnt(0)
	v_add_f64 v[13:14], v[13:14], v[18:19]
	v_add_f64 v[15:16], v[15:16], v[20:21]
	ds_write_b128 v17, v[13:16]
.LBB555_29:
	s_or_b64 exec, exec, s[0:1]
	v_cmp_gt_u32_e32 vcc, 56, v0
	s_waitcnt lgkmcnt(0)
	s_barrier
	s_and_saveexec_b64 s[0:1], vcc
	s_cbranch_execz .LBB555_31
; %bb.30:
	ds_read_b128 v[13:16], v17 offset:896
	ds_read_b128 v[18:21], v17
	s_waitcnt lgkmcnt(0)
	v_add_f64 v[13:14], v[13:14], v[18:19]
	v_add_f64 v[15:16], v[15:16], v[20:21]
	ds_write_b128 v17, v[13:16]
.LBB555_31:
	s_or_b64 exec, exec, s[0:1]
	v_cmp_gt_u32_e32 vcc, 28, v0
	s_waitcnt lgkmcnt(0)
	s_and_saveexec_b64 s[0:1], vcc
	s_cbranch_execz .LBB555_33
; %bb.32:
	ds_read_b128 v[9:12], v17 offset:448
	ds_read_b128 v[13:16], v17
	s_waitcnt lgkmcnt(0)
	v_add_f64 v[9:10], v[9:10], v[13:14]
	v_add_f64 v[11:12], v[11:12], v[15:16]
.LBB555_33:
	s_or_b64 exec, exec, s[0:1]
	v_mov_b32_e32 v16, v12
	v_mov_b32_e32 v14, v10
	;; [unrolled: 1-line block ×4, first 2 shown]
.LBB555_34:
	v_cmp_gt_u32_e32 vcc, 28, v0
	s_and_b64 exec, exec, vcc
	s_cbranch_execz .LBB555_39
; %bb.35:
	v_mul_f64 v[9:10], v[15:16], -v[7:8]
	v_mul_f64 v[11:12], v[5:6], v[15:16]
	v_cmp_eq_f64_e32 vcc, 0, v[1:2]
	v_cmp_eq_f64_e64 s[0:1], 0, v[3:4]
	v_fma_f64 v[5:6], v[5:6], v[13:14], v[9:10]
	v_fma_f64 v[7:8], v[7:8], v[13:14], v[11:12]
	s_and_b64 s[0:1], vcc, s[0:1]
	s_and_saveexec_b64 s[2:3], s[0:1]
	s_xor_b64 s[0:1], exec, s[2:3]
	s_cbranch_execz .LBB555_37
; %bb.36:
	v_mad_u64_u32 v[0:1], s[2:3], s6, 28, v[0:1]
	v_mov_b32_e32 v1, 0
	v_mov_b32_e32 v2, s13
	v_lshlrev_b64 v[0:1], 4, v[0:1]
	v_add_co_u32_e32 v0, vcc, s12, v0
	v_addc_co_u32_e32 v1, vcc, v2, v1, vcc
	global_store_dwordx4 v[0:1], v[5:8], off
                                        ; implicit-def: $vgpr0
                                        ; implicit-def: $vgpr1_vgpr2
                                        ; implicit-def: $vgpr5_vgpr6
.LBB555_37:
	s_andn2_saveexec_b64 s[0:1], s[0:1]
	s_cbranch_execz .LBB555_39
; %bb.38:
	v_mad_u64_u32 v[9:10], s[0:1], s6, 28, v[0:1]
	v_mov_b32_e32 v10, 0
	v_mov_b32_e32 v0, s13
	v_lshlrev_b64 v[9:10], 4, v[9:10]
	v_add_co_u32_e32 v13, vcc, s12, v9
	v_addc_co_u32_e32 v14, vcc, v0, v10, vcc
	global_load_dwordx4 v[9:12], v[13:14], off
	s_waitcnt vmcnt(0)
	v_fma_f64 v[5:6], v[1:2], v[9:10], v[5:6]
	v_fma_f64 v[7:8], v[3:4], v[9:10], v[7:8]
	v_fma_f64 v[3:4], -v[3:4], v[11:12], v[5:6]
	v_fma_f64 v[5:6], v[1:2], v[11:12], v[7:8]
	global_store_dwordx4 v[13:14], v[3:6], off
.LBB555_39:
	s_endpgm
	.section	.rodata,"a",@progbits
	.p2align	6, 0x0
	.amdhsa_kernel _ZN9rocsparseL20bsrxmvn_17_32_kernelILj28E21rocsparse_complex_numIdEliS1_IfES2_S2_EEvT2_20rocsparse_direction_NS_24const_host_device_scalarIT0_EES4_PKS4_PKT1_SD_SA_PKT3_PKT4_S8_PT5_21rocsparse_index_base_b
		.amdhsa_group_segment_fixed_size 12544
		.amdhsa_private_segment_fixed_size 0
		.amdhsa_kernarg_size 112
		.amdhsa_user_sgpr_count 6
		.amdhsa_user_sgpr_private_segment_buffer 1
		.amdhsa_user_sgpr_dispatch_ptr 0
		.amdhsa_user_sgpr_queue_ptr 0
		.amdhsa_user_sgpr_kernarg_segment_ptr 1
		.amdhsa_user_sgpr_dispatch_id 0
		.amdhsa_user_sgpr_flat_scratch_init 0
		.amdhsa_user_sgpr_private_segment_size 0
		.amdhsa_uses_dynamic_stack 0
		.amdhsa_system_sgpr_private_segment_wavefront_offset 0
		.amdhsa_system_sgpr_workgroup_id_x 1
		.amdhsa_system_sgpr_workgroup_id_y 0
		.amdhsa_system_sgpr_workgroup_id_z 0
		.amdhsa_system_sgpr_workgroup_info 0
		.amdhsa_system_vgpr_workitem_id 0
		.amdhsa_next_free_vgpr 30
		.amdhsa_next_free_sgpr 22
		.amdhsa_reserve_vcc 1
		.amdhsa_reserve_flat_scratch 0
		.amdhsa_float_round_mode_32 0
		.amdhsa_float_round_mode_16_64 0
		.amdhsa_float_denorm_mode_32 3
		.amdhsa_float_denorm_mode_16_64 3
		.amdhsa_dx10_clamp 1
		.amdhsa_ieee_mode 1
		.amdhsa_fp16_overflow 0
		.amdhsa_exception_fp_ieee_invalid_op 0
		.amdhsa_exception_fp_denorm_src 0
		.amdhsa_exception_fp_ieee_div_zero 0
		.amdhsa_exception_fp_ieee_overflow 0
		.amdhsa_exception_fp_ieee_underflow 0
		.amdhsa_exception_fp_ieee_inexact 0
		.amdhsa_exception_int_div_zero 0
	.end_amdhsa_kernel
	.section	.text._ZN9rocsparseL20bsrxmvn_17_32_kernelILj28E21rocsparse_complex_numIdEliS1_IfES2_S2_EEvT2_20rocsparse_direction_NS_24const_host_device_scalarIT0_EES4_PKS4_PKT1_SD_SA_PKT3_PKT4_S8_PT5_21rocsparse_index_base_b,"axG",@progbits,_ZN9rocsparseL20bsrxmvn_17_32_kernelILj28E21rocsparse_complex_numIdEliS1_IfES2_S2_EEvT2_20rocsparse_direction_NS_24const_host_device_scalarIT0_EES4_PKS4_PKT1_SD_SA_PKT3_PKT4_S8_PT5_21rocsparse_index_base_b,comdat
.Lfunc_end555:
	.size	_ZN9rocsparseL20bsrxmvn_17_32_kernelILj28E21rocsparse_complex_numIdEliS1_IfES2_S2_EEvT2_20rocsparse_direction_NS_24const_host_device_scalarIT0_EES4_PKS4_PKT1_SD_SA_PKT3_PKT4_S8_PT5_21rocsparse_index_base_b, .Lfunc_end555-_ZN9rocsparseL20bsrxmvn_17_32_kernelILj28E21rocsparse_complex_numIdEliS1_IfES2_S2_EEvT2_20rocsparse_direction_NS_24const_host_device_scalarIT0_EES4_PKS4_PKT1_SD_SA_PKT3_PKT4_S8_PT5_21rocsparse_index_base_b
                                        ; -- End function
	.set _ZN9rocsparseL20bsrxmvn_17_32_kernelILj28E21rocsparse_complex_numIdEliS1_IfES2_S2_EEvT2_20rocsparse_direction_NS_24const_host_device_scalarIT0_EES4_PKS4_PKT1_SD_SA_PKT3_PKT4_S8_PT5_21rocsparse_index_base_b.num_vgpr, 30
	.set _ZN9rocsparseL20bsrxmvn_17_32_kernelILj28E21rocsparse_complex_numIdEliS1_IfES2_S2_EEvT2_20rocsparse_direction_NS_24const_host_device_scalarIT0_EES4_PKS4_PKT1_SD_SA_PKT3_PKT4_S8_PT5_21rocsparse_index_base_b.num_agpr, 0
	.set _ZN9rocsparseL20bsrxmvn_17_32_kernelILj28E21rocsparse_complex_numIdEliS1_IfES2_S2_EEvT2_20rocsparse_direction_NS_24const_host_device_scalarIT0_EES4_PKS4_PKT1_SD_SA_PKT3_PKT4_S8_PT5_21rocsparse_index_base_b.numbered_sgpr, 22
	.set _ZN9rocsparseL20bsrxmvn_17_32_kernelILj28E21rocsparse_complex_numIdEliS1_IfES2_S2_EEvT2_20rocsparse_direction_NS_24const_host_device_scalarIT0_EES4_PKS4_PKT1_SD_SA_PKT3_PKT4_S8_PT5_21rocsparse_index_base_b.num_named_barrier, 0
	.set _ZN9rocsparseL20bsrxmvn_17_32_kernelILj28E21rocsparse_complex_numIdEliS1_IfES2_S2_EEvT2_20rocsparse_direction_NS_24const_host_device_scalarIT0_EES4_PKS4_PKT1_SD_SA_PKT3_PKT4_S8_PT5_21rocsparse_index_base_b.private_seg_size, 0
	.set _ZN9rocsparseL20bsrxmvn_17_32_kernelILj28E21rocsparse_complex_numIdEliS1_IfES2_S2_EEvT2_20rocsparse_direction_NS_24const_host_device_scalarIT0_EES4_PKS4_PKT1_SD_SA_PKT3_PKT4_S8_PT5_21rocsparse_index_base_b.uses_vcc, 1
	.set _ZN9rocsparseL20bsrxmvn_17_32_kernelILj28E21rocsparse_complex_numIdEliS1_IfES2_S2_EEvT2_20rocsparse_direction_NS_24const_host_device_scalarIT0_EES4_PKS4_PKT1_SD_SA_PKT3_PKT4_S8_PT5_21rocsparse_index_base_b.uses_flat_scratch, 0
	.set _ZN9rocsparseL20bsrxmvn_17_32_kernelILj28E21rocsparse_complex_numIdEliS1_IfES2_S2_EEvT2_20rocsparse_direction_NS_24const_host_device_scalarIT0_EES4_PKS4_PKT1_SD_SA_PKT3_PKT4_S8_PT5_21rocsparse_index_base_b.has_dyn_sized_stack, 0
	.set _ZN9rocsparseL20bsrxmvn_17_32_kernelILj28E21rocsparse_complex_numIdEliS1_IfES2_S2_EEvT2_20rocsparse_direction_NS_24const_host_device_scalarIT0_EES4_PKS4_PKT1_SD_SA_PKT3_PKT4_S8_PT5_21rocsparse_index_base_b.has_recursion, 0
	.set _ZN9rocsparseL20bsrxmvn_17_32_kernelILj28E21rocsparse_complex_numIdEliS1_IfES2_S2_EEvT2_20rocsparse_direction_NS_24const_host_device_scalarIT0_EES4_PKS4_PKT1_SD_SA_PKT3_PKT4_S8_PT5_21rocsparse_index_base_b.has_indirect_call, 0
	.section	.AMDGPU.csdata,"",@progbits
; Kernel info:
; codeLenInByte = 1732
; TotalNumSgprs: 26
; NumVgprs: 30
; ScratchSize: 0
; MemoryBound: 0
; FloatMode: 240
; IeeeMode: 1
; LDSByteSize: 12544 bytes/workgroup (compile time only)
; SGPRBlocks: 3
; VGPRBlocks: 7
; NumSGPRsForWavesPerEU: 26
; NumVGPRsForWavesPerEU: 30
; Occupancy: 8
; WaveLimiterHint : 1
; COMPUTE_PGM_RSRC2:SCRATCH_EN: 0
; COMPUTE_PGM_RSRC2:USER_SGPR: 6
; COMPUTE_PGM_RSRC2:TRAP_HANDLER: 0
; COMPUTE_PGM_RSRC2:TGID_X_EN: 1
; COMPUTE_PGM_RSRC2:TGID_Y_EN: 0
; COMPUTE_PGM_RSRC2:TGID_Z_EN: 0
; COMPUTE_PGM_RSRC2:TIDIG_COMP_CNT: 0
	.section	.text._ZN9rocsparseL20bsrxmvn_17_32_kernelILj29E21rocsparse_complex_numIdEliS1_IfES2_S2_EEvT2_20rocsparse_direction_NS_24const_host_device_scalarIT0_EES4_PKS4_PKT1_SD_SA_PKT3_PKT4_S8_PT5_21rocsparse_index_base_b,"axG",@progbits,_ZN9rocsparseL20bsrxmvn_17_32_kernelILj29E21rocsparse_complex_numIdEliS1_IfES2_S2_EEvT2_20rocsparse_direction_NS_24const_host_device_scalarIT0_EES4_PKS4_PKT1_SD_SA_PKT3_PKT4_S8_PT5_21rocsparse_index_base_b,comdat
	.globl	_ZN9rocsparseL20bsrxmvn_17_32_kernelILj29E21rocsparse_complex_numIdEliS1_IfES2_S2_EEvT2_20rocsparse_direction_NS_24const_host_device_scalarIT0_EES4_PKS4_PKT1_SD_SA_PKT3_PKT4_S8_PT5_21rocsparse_index_base_b ; -- Begin function _ZN9rocsparseL20bsrxmvn_17_32_kernelILj29E21rocsparse_complex_numIdEliS1_IfES2_S2_EEvT2_20rocsparse_direction_NS_24const_host_device_scalarIT0_EES4_PKS4_PKT1_SD_SA_PKT3_PKT4_S8_PT5_21rocsparse_index_base_b
	.p2align	8
	.type	_ZN9rocsparseL20bsrxmvn_17_32_kernelILj29E21rocsparse_complex_numIdEliS1_IfES2_S2_EEvT2_20rocsparse_direction_NS_24const_host_device_scalarIT0_EES4_PKS4_PKT1_SD_SA_PKT3_PKT4_S8_PT5_21rocsparse_index_base_b,@function
_ZN9rocsparseL20bsrxmvn_17_32_kernelILj29E21rocsparse_complex_numIdEliS1_IfES2_S2_EEvT2_20rocsparse_direction_NS_24const_host_device_scalarIT0_EES4_PKS4_PKT1_SD_SA_PKT3_PKT4_S8_PT5_21rocsparse_index_base_b: ; @_ZN9rocsparseL20bsrxmvn_17_32_kernelILj29E21rocsparse_complex_numIdEliS1_IfES2_S2_EEvT2_20rocsparse_direction_NS_24const_host_device_scalarIT0_EES4_PKS4_PKT1_SD_SA_PKT3_PKT4_S8_PT5_21rocsparse_index_base_b
; %bb.0:
	s_load_dwordx2 s[0:1], s[4:5], 0x8
	s_load_dwordx2 s[14:15], s[4:5], 0x68
	s_add_u32 s7, s4, 8
	s_addc_u32 s8, s5, 0
	s_add_u32 s9, s4, 0x50
	s_addc_u32 s10, s5, 0
	s_waitcnt lgkmcnt(0)
	s_bitcmp1_b32 s15, 0
	s_cselect_b32 s1, s8, s1
	s_cselect_b32 s0, s7, s0
	v_mov_b32_e32 v1, s0
	v_mov_b32_e32 v2, s1
	flat_load_dwordx4 v[5:8], v[1:2]
	s_load_dwordx2 s[2:3], s[4:5], 0x50
	s_waitcnt lgkmcnt(0)
	s_cselect_b32 s0, s10, s3
	s_cselect_b32 s1, s9, s2
	v_mov_b32_e32 v1, s1
	v_mov_b32_e32 v2, s0
	flat_load_dwordx4 v[1:4], v[1:2]
	s_waitcnt vmcnt(0)
	v_cmp_eq_f64_e32 vcc, 0, v[5:6]
	v_cmp_eq_f64_e64 s[0:1], 0, v[7:8]
	s_and_b64 s[8:9], vcc, s[0:1]
	s_mov_b64 s[0:1], -1
	s_and_saveexec_b64 s[2:3], s[8:9]
	s_cbranch_execz .LBB556_2
; %bb.1:
	s_waitcnt lgkmcnt(0)
	v_cmp_neq_f64_e32 vcc, 1.0, v[1:2]
	v_cmp_neq_f64_e64 s[0:1], 0, v[3:4]
	s_or_b64 s[0:1], vcc, s[0:1]
	s_orn2_b64 s[0:1], s[0:1], exec
.LBB556_2:
	s_or_b64 exec, exec, s[2:3]
	s_and_saveexec_b64 s[2:3], s[0:1]
	s_cbranch_execz .LBB556_39
; %bb.3:
	s_load_dwordx4 s[0:3], s[4:5], 0x20
	s_load_dwordx2 s[8:9], s[4:5], 0x30
	s_waitcnt lgkmcnt(0)
	s_cmp_eq_u64 s[0:1], 0
	s_cbranch_scc1 .LBB556_5
; %bb.4:
	s_ashr_i32 s7, s6, 31
	s_lshl_b64 s[6:7], s[6:7], 2
	s_add_u32 s0, s0, s6
	s_addc_u32 s1, s1, s7
	s_load_dword s0, s[0:1], 0x0
	s_waitcnt lgkmcnt(0)
	s_sub_i32 s6, s0, s14
.LBB556_5:
	s_load_dword s7, s[4:5], 0x4
	s_load_dwordx2 s[12:13], s[4:5], 0x60
	v_mul_u32_u24_e32 v13, 0x8d4, v0
	v_mov_b32_e32 v9, 29
	v_mul_lo_u16_sdwa v9, v13, v9 dst_sel:DWORD dst_unused:UNUSED_PAD src0_sel:WORD_1 src1_sel:DWORD
	s_waitcnt lgkmcnt(0)
	s_cmp_eq_u32 s7, 1
	s_cselect_b64 s[0:1], -1, 0
	s_cmp_lg_u32 s7, 1
	s_cselect_b64 s[16:17], -1, 0
	s_ashr_i32 s7, s6, 31
	s_lshl_b64 s[10:11], s[6:7], 3
	s_add_u32 s2, s2, s10
	s_addc_u32 s3, s3, s11
	s_add_u32 s7, s2, 8
	s_addc_u32 s15, s3, 0
	;; [unrolled: 2-line block ×3, first 2 shown]
	s_cmp_eq_u64 s[8:9], 0
	s_cselect_b32 s9, s15, s11
	s_cselect_b32 s8, s7, s10
	s_load_dwordx2 s[18:19], s[8:9], 0x0
	s_load_dwordx2 s[20:21], s[2:3], 0x0
	v_sub_u16_e32 v20, v0, v9
	v_mov_b32_e32 v11, 0
	v_mov_b32_e32 v12, 0
	s_waitcnt lgkmcnt(0)
	v_mov_b32_e32 v9, s18
	v_mov_b32_e32 v10, s19
	v_cmp_ge_i64_e32 vcc, s[20:21], v[9:10]
	v_mov_b32_e32 v9, 0
	v_mov_b32_e32 v10, 0
	s_cbranch_vccnz .LBB556_10
; %bb.6:
	s_load_dwordx2 s[2:3], s[4:5], 0x48
	s_load_dwordx4 s[8:11], s[4:5], 0x38
	s_sub_u32 s4, s18, s14
	s_mov_b32 s7, 0xffff
	s_subb_u32 s5, s19, 0
	s_movk_i32 s15, 0x349
	v_and_b32_sdwa v9, s7, v13 dst_sel:DWORD dst_unused:UNUSED_PAD src0_sel:DWORD src1_sel:WORD_1
	v_subrev_u32_e32 v10, 29, v9
	v_cmp_gt_u32_e32 vcc, s15, v0
	s_sub_u32 s18, s20, s14
	v_cndmask_b32_e32 v9, v10, v9, vcc
	s_subb_u32 s19, s21, 0
	v_cndmask_b32_e64 v13, v20, v9, s[0:1]
	s_mul_i32 s0, s19, 0x1a48
	s_mul_hi_u32 s1, s18, 0x1a48
	s_add_i32 s1, s1, s0
	s_mul_i32 s0, s18, 0x1a48
	s_waitcnt lgkmcnt(0)
	s_add_u32 s0, s10, s0
	s_addc_u32 s1, s11, s1
	v_lshlrev_b32_e32 v9, 3, v0
	v_mov_b32_e32 v10, s1
	v_add_co_u32_e32 v14, vcc, s0, v9
	v_addc_co_u32_e32 v15, vcc, 0, v10, vcc
	s_movk_i32 s0, 0x348
	v_cmp_lt_u32_e32 vcc, s0, v0
	v_cndmask_b32_e64 v21, 0, 1, vcc
	v_mov_b32_e32 v9, s21
	v_add_co_u32_e32 v10, vcc, s20, v21
	v_addc_co_u32_e32 v11, vcc, 0, v9, vcc
	v_subrev_co_u32_e32 v9, vcc, s14, v10
	v_subbrev_co_u32_e32 v10, vcc, 0, v11, vcc
	v_lshlrev_b64 v[9:10], 2, v[9:10]
	v_mov_b32_e32 v11, s9
	v_add_co_u32_e32 v16, vcc, s8, v9
	v_addc_co_u32_e32 v17, vcc, v11, v10, vcc
	v_mov_b32_e32 v11, 0
	v_mov_b32_e32 v12, 0
	v_mov_b32_e32 v19, s5
	v_mov_b32_e32 v9, v11
	v_mov_b32_e32 v18, s4
	v_mov_b32_e32 v10, v12
	s_branch .LBB556_8
.LBB556_7:                              ;   in Loop: Header=BB556_8 Depth=1
	s_or_b64 exec, exec, s[0:1]
	s_add_u32 s18, s18, 1
	s_addc_u32 s19, s19, 0
	v_cmp_lt_i64_e32 vcc, s[18:19], v[18:19]
	v_add_co_u32_e64 v16, s[0:1], 4, v16
	v_addc_co_u32_e64 v17, s[0:1], 0, v17, s[0:1]
	s_cbranch_vccz .LBB556_10
.LBB556_8:                              ; =>This Inner Loop Header: Depth=1
	v_mov_b32_e32 v23, s19
	v_add_co_u32_e32 v22, vcc, s18, v21
	v_addc_co_u32_e32 v23, vcc, 0, v23, vcc
	v_cmp_gt_i64_e32 vcc, s[4:5], v[22:23]
	s_and_saveexec_b64 s[0:1], vcc
	s_cbranch_execz .LBB556_7
; %bb.9:                                ;   in Loop: Header=BB556_8 Depth=1
	global_load_dword v22, v[16:17], off
	global_load_dwordx2 v[26:27], v[14:15], off
	v_mov_b32_e32 v24, s3
	s_waitcnt vmcnt(1)
	v_subrev_u32_e32 v22, s14, v22
	v_mad_u64_u32 v[22:23], s[8:9], v22, 29, v[13:14]
	s_waitcnt vmcnt(0)
	v_cvt_f64_f32_e32 v[28:29], v26
	v_cvt_f64_f32_e32 v[26:27], v27
	v_ashrrev_i32_e32 v23, 31, v22
	v_lshlrev_b64 v[22:23], 4, v[22:23]
	v_add_co_u32_e32 v22, vcc, s2, v22
	v_addc_co_u32_e32 v23, vcc, v24, v23, vcc
	global_load_dwordx4 v[22:25], v[22:23], off
	v_add_co_u32_e32 v14, vcc, 0x1a48, v14
	v_addc_co_u32_e32 v15, vcc, 0, v15, vcc
	s_waitcnt vmcnt(0)
	v_fma_f64 v[9:10], v[28:29], v[22:23], v[9:10]
	v_fma_f64 v[11:12], v[26:27], v[22:23], v[11:12]
	v_fma_f64 v[9:10], -v[26:27], v[24:25], v[9:10]
	v_fma_f64 v[11:12], v[28:29], v[24:25], v[11:12]
	s_branch .LBB556_7
.LBB556_10:
	v_lshlrev_b32_e32 v17, 4, v0
	s_and_b64 vcc, exec, s[16:17]
	ds_write_b128 v17, v[9:12]
	s_waitcnt lgkmcnt(0)
	s_barrier
	s_cbranch_vccz .LBB556_22
; %bb.11:
	v_cmp_gt_u16_e32 vcc, 13, v20
	s_and_saveexec_b64 s[0:1], vcc
	s_cbranch_execz .LBB556_13
; %bb.12:
	ds_read_b128 v[13:16], v17 offset:256
	ds_read_b128 v[21:24], v17
	s_waitcnt lgkmcnt(0)
	v_add_f64 v[13:14], v[13:14], v[21:22]
	v_add_f64 v[15:16], v[15:16], v[23:24]
	ds_write_b128 v17, v[13:16]
.LBB556_13:
	s_or_b64 exec, exec, s[0:1]
	v_cmp_gt_u16_e32 vcc, 8, v20
	s_waitcnt lgkmcnt(0)
	s_barrier
	s_and_saveexec_b64 s[0:1], vcc
	s_cbranch_execz .LBB556_15
; %bb.14:
	ds_read_b128 v[13:16], v17 offset:128
	ds_read_b128 v[21:24], v17
	s_waitcnt lgkmcnt(0)
	v_add_f64 v[13:14], v[13:14], v[21:22]
	v_add_f64 v[15:16], v[15:16], v[23:24]
	ds_write_b128 v17, v[13:16]
.LBB556_15:
	s_or_b64 exec, exec, s[0:1]
	v_cmp_gt_u16_e32 vcc, 4, v20
	s_waitcnt lgkmcnt(0)
	s_barrier
	;; [unrolled: 14-line block ×3, first 2 shown]
	s_and_saveexec_b64 s[0:1], vcc
	s_cbranch_execz .LBB556_19
; %bb.18:
	ds_read_b128 v[13:16], v17
	ds_read_b128 v[18:21], v17 offset:32
	s_waitcnt lgkmcnt(0)
	v_add_f64 v[13:14], v[18:19], v[13:14]
	v_add_f64 v[15:16], v[20:21], v[15:16]
	ds_write_b128 v17, v[13:16]
.LBB556_19:
	s_or_b64 exec, exec, s[0:1]
	v_mov_b32_e32 v16, v12
	v_mov_b32_e32 v14, v10
	v_cmp_gt_u32_e32 vcc, 29, v0
	v_mov_b32_e32 v15, v11
	v_mov_b32_e32 v13, v9
	s_waitcnt lgkmcnt(0)
	s_barrier
	s_and_saveexec_b64 s[0:1], vcc
	s_cbranch_execz .LBB556_21
; %bb.20:
	s_movk_i32 s2, 0x1c0
	v_mad_u32_u24 v18, v0, s2, v17
	ds_read_b128 v[13:16], v18
	ds_read_b128 v[18:21], v18 offset:16
	s_waitcnt lgkmcnt(0)
	v_add_f64 v[13:14], v[18:19], v[13:14]
	v_add_f64 v[15:16], v[20:21], v[15:16]
.LBB556_21:
	s_or_b64 exec, exec, s[0:1]
	s_branch .LBB556_34
.LBB556_22:
                                        ; implicit-def: $vgpr15_vgpr16
                                        ; implicit-def: $vgpr13_vgpr14
	s_cbranch_execz .LBB556_34
; %bb.23:
	s_movk_i32 s0, 0x179
	v_cmp_gt_u32_e32 vcc, s0, v0
	s_and_saveexec_b64 s[0:1], vcc
	s_cbranch_execz .LBB556_25
; %bb.24:
	ds_read_b128 v[13:16], v17 offset:7424
	ds_read_b128 v[18:21], v17
	s_waitcnt lgkmcnt(0)
	v_add_f64 v[13:14], v[13:14], v[18:19]
	v_add_f64 v[15:16], v[15:16], v[20:21]
	ds_write_b128 v17, v[13:16]
.LBB556_25:
	s_or_b64 exec, exec, s[0:1]
	s_movk_i32 s0, 0xe8
	v_cmp_gt_u32_e32 vcc, s0, v0
	s_waitcnt lgkmcnt(0)
	s_barrier
	s_and_saveexec_b64 s[0:1], vcc
	s_cbranch_execz .LBB556_27
; %bb.26:
	ds_read_b128 v[13:16], v17 offset:3712
	ds_read_b128 v[18:21], v17
	s_waitcnt lgkmcnt(0)
	v_add_f64 v[13:14], v[13:14], v[18:19]
	v_add_f64 v[15:16], v[15:16], v[20:21]
	ds_write_b128 v17, v[13:16]
.LBB556_27:
	s_or_b64 exec, exec, s[0:1]
	s_movk_i32 s0, 0x74
	v_cmp_gt_u32_e32 vcc, s0, v0
	s_waitcnt lgkmcnt(0)
	s_barrier
	s_and_saveexec_b64 s[0:1], vcc
	s_cbranch_execz .LBB556_29
; %bb.28:
	ds_read_b128 v[13:16], v17 offset:1856
	ds_read_b128 v[18:21], v17
	s_waitcnt lgkmcnt(0)
	v_add_f64 v[13:14], v[13:14], v[18:19]
	v_add_f64 v[15:16], v[15:16], v[20:21]
	ds_write_b128 v17, v[13:16]
.LBB556_29:
	s_or_b64 exec, exec, s[0:1]
	v_cmp_gt_u32_e32 vcc, 58, v0
	s_waitcnt lgkmcnt(0)
	s_barrier
	s_and_saveexec_b64 s[0:1], vcc
	s_cbranch_execz .LBB556_31
; %bb.30:
	ds_read_b128 v[13:16], v17 offset:928
	ds_read_b128 v[18:21], v17
	s_waitcnt lgkmcnt(0)
	v_add_f64 v[13:14], v[13:14], v[18:19]
	v_add_f64 v[15:16], v[15:16], v[20:21]
	ds_write_b128 v17, v[13:16]
.LBB556_31:
	s_or_b64 exec, exec, s[0:1]
	v_cmp_gt_u32_e32 vcc, 29, v0
	s_waitcnt lgkmcnt(0)
	s_and_saveexec_b64 s[0:1], vcc
	s_cbranch_execz .LBB556_33
; %bb.32:
	ds_read_b128 v[9:12], v17 offset:464
	ds_read_b128 v[13:16], v17
	s_waitcnt lgkmcnt(0)
	v_add_f64 v[9:10], v[9:10], v[13:14]
	v_add_f64 v[11:12], v[11:12], v[15:16]
.LBB556_33:
	s_or_b64 exec, exec, s[0:1]
	v_mov_b32_e32 v16, v12
	v_mov_b32_e32 v14, v10
	;; [unrolled: 1-line block ×4, first 2 shown]
.LBB556_34:
	v_cmp_gt_u32_e32 vcc, 29, v0
	s_and_b64 exec, exec, vcc
	s_cbranch_execz .LBB556_39
; %bb.35:
	v_mul_f64 v[9:10], v[15:16], -v[7:8]
	v_mul_f64 v[11:12], v[5:6], v[15:16]
	v_cmp_eq_f64_e32 vcc, 0, v[1:2]
	v_cmp_eq_f64_e64 s[0:1], 0, v[3:4]
	v_fma_f64 v[5:6], v[5:6], v[13:14], v[9:10]
	v_fma_f64 v[7:8], v[7:8], v[13:14], v[11:12]
	s_and_b64 s[0:1], vcc, s[0:1]
	s_and_saveexec_b64 s[2:3], s[0:1]
	s_xor_b64 s[0:1], exec, s[2:3]
	s_cbranch_execz .LBB556_37
; %bb.36:
	v_mad_u64_u32 v[0:1], s[2:3], s6, 29, v[0:1]
	v_mov_b32_e32 v1, 0
	v_mov_b32_e32 v2, s13
	v_lshlrev_b64 v[0:1], 4, v[0:1]
	v_add_co_u32_e32 v0, vcc, s12, v0
	v_addc_co_u32_e32 v1, vcc, v2, v1, vcc
	global_store_dwordx4 v[0:1], v[5:8], off
                                        ; implicit-def: $vgpr0
                                        ; implicit-def: $vgpr1_vgpr2
                                        ; implicit-def: $vgpr5_vgpr6
.LBB556_37:
	s_andn2_saveexec_b64 s[0:1], s[0:1]
	s_cbranch_execz .LBB556_39
; %bb.38:
	v_mad_u64_u32 v[9:10], s[0:1], s6, 29, v[0:1]
	v_mov_b32_e32 v10, 0
	v_mov_b32_e32 v0, s13
	v_lshlrev_b64 v[9:10], 4, v[9:10]
	v_add_co_u32_e32 v13, vcc, s12, v9
	v_addc_co_u32_e32 v14, vcc, v0, v10, vcc
	global_load_dwordx4 v[9:12], v[13:14], off
	s_waitcnt vmcnt(0)
	v_fma_f64 v[5:6], v[1:2], v[9:10], v[5:6]
	v_fma_f64 v[7:8], v[3:4], v[9:10], v[7:8]
	v_fma_f64 v[3:4], -v[3:4], v[11:12], v[5:6]
	v_fma_f64 v[5:6], v[1:2], v[11:12], v[7:8]
	global_store_dwordx4 v[13:14], v[3:6], off
.LBB556_39:
	s_endpgm
	.section	.rodata,"a",@progbits
	.p2align	6, 0x0
	.amdhsa_kernel _ZN9rocsparseL20bsrxmvn_17_32_kernelILj29E21rocsparse_complex_numIdEliS1_IfES2_S2_EEvT2_20rocsparse_direction_NS_24const_host_device_scalarIT0_EES4_PKS4_PKT1_SD_SA_PKT3_PKT4_S8_PT5_21rocsparse_index_base_b
		.amdhsa_group_segment_fixed_size 13456
		.amdhsa_private_segment_fixed_size 0
		.amdhsa_kernarg_size 112
		.amdhsa_user_sgpr_count 6
		.amdhsa_user_sgpr_private_segment_buffer 1
		.amdhsa_user_sgpr_dispatch_ptr 0
		.amdhsa_user_sgpr_queue_ptr 0
		.amdhsa_user_sgpr_kernarg_segment_ptr 1
		.amdhsa_user_sgpr_dispatch_id 0
		.amdhsa_user_sgpr_flat_scratch_init 0
		.amdhsa_user_sgpr_private_segment_size 0
		.amdhsa_uses_dynamic_stack 0
		.amdhsa_system_sgpr_private_segment_wavefront_offset 0
		.amdhsa_system_sgpr_workgroup_id_x 1
		.amdhsa_system_sgpr_workgroup_id_y 0
		.amdhsa_system_sgpr_workgroup_id_z 0
		.amdhsa_system_sgpr_workgroup_info 0
		.amdhsa_system_vgpr_workitem_id 0
		.amdhsa_next_free_vgpr 33
		.amdhsa_next_free_sgpr 77
		.amdhsa_reserve_vcc 1
		.amdhsa_reserve_flat_scratch 0
		.amdhsa_float_round_mode_32 0
		.amdhsa_float_round_mode_16_64 0
		.amdhsa_float_denorm_mode_32 3
		.amdhsa_float_denorm_mode_16_64 3
		.amdhsa_dx10_clamp 1
		.amdhsa_ieee_mode 1
		.amdhsa_fp16_overflow 0
		.amdhsa_exception_fp_ieee_invalid_op 0
		.amdhsa_exception_fp_denorm_src 0
		.amdhsa_exception_fp_ieee_div_zero 0
		.amdhsa_exception_fp_ieee_overflow 0
		.amdhsa_exception_fp_ieee_underflow 0
		.amdhsa_exception_fp_ieee_inexact 0
		.amdhsa_exception_int_div_zero 0
	.end_amdhsa_kernel
	.section	.text._ZN9rocsparseL20bsrxmvn_17_32_kernelILj29E21rocsparse_complex_numIdEliS1_IfES2_S2_EEvT2_20rocsparse_direction_NS_24const_host_device_scalarIT0_EES4_PKS4_PKT1_SD_SA_PKT3_PKT4_S8_PT5_21rocsparse_index_base_b,"axG",@progbits,_ZN9rocsparseL20bsrxmvn_17_32_kernelILj29E21rocsparse_complex_numIdEliS1_IfES2_S2_EEvT2_20rocsparse_direction_NS_24const_host_device_scalarIT0_EES4_PKS4_PKT1_SD_SA_PKT3_PKT4_S8_PT5_21rocsparse_index_base_b,comdat
.Lfunc_end556:
	.size	_ZN9rocsparseL20bsrxmvn_17_32_kernelILj29E21rocsparse_complex_numIdEliS1_IfES2_S2_EEvT2_20rocsparse_direction_NS_24const_host_device_scalarIT0_EES4_PKS4_PKT1_SD_SA_PKT3_PKT4_S8_PT5_21rocsparse_index_base_b, .Lfunc_end556-_ZN9rocsparseL20bsrxmvn_17_32_kernelILj29E21rocsparse_complex_numIdEliS1_IfES2_S2_EEvT2_20rocsparse_direction_NS_24const_host_device_scalarIT0_EES4_PKS4_PKT1_SD_SA_PKT3_PKT4_S8_PT5_21rocsparse_index_base_b
                                        ; -- End function
	.set _ZN9rocsparseL20bsrxmvn_17_32_kernelILj29E21rocsparse_complex_numIdEliS1_IfES2_S2_EEvT2_20rocsparse_direction_NS_24const_host_device_scalarIT0_EES4_PKS4_PKT1_SD_SA_PKT3_PKT4_S8_PT5_21rocsparse_index_base_b.num_vgpr, 30
	.set _ZN9rocsparseL20bsrxmvn_17_32_kernelILj29E21rocsparse_complex_numIdEliS1_IfES2_S2_EEvT2_20rocsparse_direction_NS_24const_host_device_scalarIT0_EES4_PKS4_PKT1_SD_SA_PKT3_PKT4_S8_PT5_21rocsparse_index_base_b.num_agpr, 0
	.set _ZN9rocsparseL20bsrxmvn_17_32_kernelILj29E21rocsparse_complex_numIdEliS1_IfES2_S2_EEvT2_20rocsparse_direction_NS_24const_host_device_scalarIT0_EES4_PKS4_PKT1_SD_SA_PKT3_PKT4_S8_PT5_21rocsparse_index_base_b.numbered_sgpr, 22
	.set _ZN9rocsparseL20bsrxmvn_17_32_kernelILj29E21rocsparse_complex_numIdEliS1_IfES2_S2_EEvT2_20rocsparse_direction_NS_24const_host_device_scalarIT0_EES4_PKS4_PKT1_SD_SA_PKT3_PKT4_S8_PT5_21rocsparse_index_base_b.num_named_barrier, 0
	.set _ZN9rocsparseL20bsrxmvn_17_32_kernelILj29E21rocsparse_complex_numIdEliS1_IfES2_S2_EEvT2_20rocsparse_direction_NS_24const_host_device_scalarIT0_EES4_PKS4_PKT1_SD_SA_PKT3_PKT4_S8_PT5_21rocsparse_index_base_b.private_seg_size, 0
	.set _ZN9rocsparseL20bsrxmvn_17_32_kernelILj29E21rocsparse_complex_numIdEliS1_IfES2_S2_EEvT2_20rocsparse_direction_NS_24const_host_device_scalarIT0_EES4_PKS4_PKT1_SD_SA_PKT3_PKT4_S8_PT5_21rocsparse_index_base_b.uses_vcc, 1
	.set _ZN9rocsparseL20bsrxmvn_17_32_kernelILj29E21rocsparse_complex_numIdEliS1_IfES2_S2_EEvT2_20rocsparse_direction_NS_24const_host_device_scalarIT0_EES4_PKS4_PKT1_SD_SA_PKT3_PKT4_S8_PT5_21rocsparse_index_base_b.uses_flat_scratch, 0
	.set _ZN9rocsparseL20bsrxmvn_17_32_kernelILj29E21rocsparse_complex_numIdEliS1_IfES2_S2_EEvT2_20rocsparse_direction_NS_24const_host_device_scalarIT0_EES4_PKS4_PKT1_SD_SA_PKT3_PKT4_S8_PT5_21rocsparse_index_base_b.has_dyn_sized_stack, 0
	.set _ZN9rocsparseL20bsrxmvn_17_32_kernelILj29E21rocsparse_complex_numIdEliS1_IfES2_S2_EEvT2_20rocsparse_direction_NS_24const_host_device_scalarIT0_EES4_PKS4_PKT1_SD_SA_PKT3_PKT4_S8_PT5_21rocsparse_index_base_b.has_recursion, 0
	.set _ZN9rocsparseL20bsrxmvn_17_32_kernelILj29E21rocsparse_complex_numIdEliS1_IfES2_S2_EEvT2_20rocsparse_direction_NS_24const_host_device_scalarIT0_EES4_PKS4_PKT1_SD_SA_PKT3_PKT4_S8_PT5_21rocsparse_index_base_b.has_indirect_call, 0
	.section	.AMDGPU.csdata,"",@progbits
; Kernel info:
; codeLenInByte = 1732
; TotalNumSgprs: 26
; NumVgprs: 30
; ScratchSize: 0
; MemoryBound: 0
; FloatMode: 240
; IeeeMode: 1
; LDSByteSize: 13456 bytes/workgroup (compile time only)
; SGPRBlocks: 10
; VGPRBlocks: 8
; NumSGPRsForWavesPerEU: 81
; NumVGPRsForWavesPerEU: 33
; Occupancy: 7
; WaveLimiterHint : 1
; COMPUTE_PGM_RSRC2:SCRATCH_EN: 0
; COMPUTE_PGM_RSRC2:USER_SGPR: 6
; COMPUTE_PGM_RSRC2:TRAP_HANDLER: 0
; COMPUTE_PGM_RSRC2:TGID_X_EN: 1
; COMPUTE_PGM_RSRC2:TGID_Y_EN: 0
; COMPUTE_PGM_RSRC2:TGID_Z_EN: 0
; COMPUTE_PGM_RSRC2:TIDIG_COMP_CNT: 0
	.section	.text._ZN9rocsparseL20bsrxmvn_17_32_kernelILj30E21rocsparse_complex_numIdEliS1_IfES2_S2_EEvT2_20rocsparse_direction_NS_24const_host_device_scalarIT0_EES4_PKS4_PKT1_SD_SA_PKT3_PKT4_S8_PT5_21rocsparse_index_base_b,"axG",@progbits,_ZN9rocsparseL20bsrxmvn_17_32_kernelILj30E21rocsparse_complex_numIdEliS1_IfES2_S2_EEvT2_20rocsparse_direction_NS_24const_host_device_scalarIT0_EES4_PKS4_PKT1_SD_SA_PKT3_PKT4_S8_PT5_21rocsparse_index_base_b,comdat
	.globl	_ZN9rocsparseL20bsrxmvn_17_32_kernelILj30E21rocsparse_complex_numIdEliS1_IfES2_S2_EEvT2_20rocsparse_direction_NS_24const_host_device_scalarIT0_EES4_PKS4_PKT1_SD_SA_PKT3_PKT4_S8_PT5_21rocsparse_index_base_b ; -- Begin function _ZN9rocsparseL20bsrxmvn_17_32_kernelILj30E21rocsparse_complex_numIdEliS1_IfES2_S2_EEvT2_20rocsparse_direction_NS_24const_host_device_scalarIT0_EES4_PKS4_PKT1_SD_SA_PKT3_PKT4_S8_PT5_21rocsparse_index_base_b
	.p2align	8
	.type	_ZN9rocsparseL20bsrxmvn_17_32_kernelILj30E21rocsparse_complex_numIdEliS1_IfES2_S2_EEvT2_20rocsparse_direction_NS_24const_host_device_scalarIT0_EES4_PKS4_PKT1_SD_SA_PKT3_PKT4_S8_PT5_21rocsparse_index_base_b,@function
_ZN9rocsparseL20bsrxmvn_17_32_kernelILj30E21rocsparse_complex_numIdEliS1_IfES2_S2_EEvT2_20rocsparse_direction_NS_24const_host_device_scalarIT0_EES4_PKS4_PKT1_SD_SA_PKT3_PKT4_S8_PT5_21rocsparse_index_base_b: ; @_ZN9rocsparseL20bsrxmvn_17_32_kernelILj30E21rocsparse_complex_numIdEliS1_IfES2_S2_EEvT2_20rocsparse_direction_NS_24const_host_device_scalarIT0_EES4_PKS4_PKT1_SD_SA_PKT3_PKT4_S8_PT5_21rocsparse_index_base_b
; %bb.0:
	s_load_dwordx2 s[0:1], s[4:5], 0x8
	s_load_dwordx2 s[14:15], s[4:5], 0x68
	s_add_u32 s7, s4, 8
	s_addc_u32 s8, s5, 0
	s_add_u32 s9, s4, 0x50
	s_addc_u32 s10, s5, 0
	s_waitcnt lgkmcnt(0)
	s_bitcmp1_b32 s15, 0
	s_cselect_b32 s1, s8, s1
	s_cselect_b32 s0, s7, s0
	v_mov_b32_e32 v1, s0
	v_mov_b32_e32 v2, s1
	flat_load_dwordx4 v[5:8], v[1:2]
	s_load_dwordx2 s[2:3], s[4:5], 0x50
	s_waitcnt lgkmcnt(0)
	s_cselect_b32 s0, s10, s3
	s_cselect_b32 s1, s9, s2
	v_mov_b32_e32 v1, s1
	v_mov_b32_e32 v2, s0
	flat_load_dwordx4 v[1:4], v[1:2]
	s_waitcnt vmcnt(0)
	v_cmp_eq_f64_e32 vcc, 0, v[5:6]
	v_cmp_eq_f64_e64 s[0:1], 0, v[7:8]
	s_and_b64 s[8:9], vcc, s[0:1]
	s_mov_b64 s[0:1], -1
	s_and_saveexec_b64 s[2:3], s[8:9]
	s_cbranch_execz .LBB557_2
; %bb.1:
	s_waitcnt lgkmcnt(0)
	v_cmp_neq_f64_e32 vcc, 1.0, v[1:2]
	v_cmp_neq_f64_e64 s[0:1], 0, v[3:4]
	s_or_b64 s[0:1], vcc, s[0:1]
	s_orn2_b64 s[0:1], s[0:1], exec
.LBB557_2:
	s_or_b64 exec, exec, s[2:3]
	s_and_saveexec_b64 s[2:3], s[0:1]
	s_cbranch_execz .LBB557_39
; %bb.3:
	s_load_dwordx4 s[0:3], s[4:5], 0x20
	s_load_dwordx2 s[8:9], s[4:5], 0x30
	s_waitcnt lgkmcnt(0)
	s_cmp_eq_u64 s[0:1], 0
	s_cbranch_scc1 .LBB557_5
; %bb.4:
	s_ashr_i32 s7, s6, 31
	s_lshl_b64 s[6:7], s[6:7], 2
	s_add_u32 s0, s0, s6
	s_addc_u32 s1, s1, s7
	s_load_dword s0, s[0:1], 0x0
	s_waitcnt lgkmcnt(0)
	s_sub_i32 s6, s0, s14
.LBB557_5:
	s_load_dword s7, s[4:5], 0x4
	s_load_dwordx2 s[12:13], s[4:5], 0x60
	v_mul_u32_u24_e32 v13, 0x889, v0
	v_mov_b32_e32 v9, 30
	v_mul_lo_u16_sdwa v9, v13, v9 dst_sel:DWORD dst_unused:UNUSED_PAD src0_sel:WORD_1 src1_sel:DWORD
	s_waitcnt lgkmcnt(0)
	s_cmp_eq_u32 s7, 1
	s_cselect_b64 s[0:1], -1, 0
	s_cmp_lg_u32 s7, 1
	s_cselect_b64 s[16:17], -1, 0
	s_ashr_i32 s7, s6, 31
	s_lshl_b64 s[10:11], s[6:7], 3
	s_add_u32 s2, s2, s10
	s_addc_u32 s3, s3, s11
	s_add_u32 s7, s2, 8
	s_addc_u32 s15, s3, 0
	;; [unrolled: 2-line block ×3, first 2 shown]
	s_cmp_eq_u64 s[8:9], 0
	s_cselect_b32 s9, s15, s11
	s_cselect_b32 s8, s7, s10
	s_load_dwordx2 s[18:19], s[8:9], 0x0
	s_load_dwordx2 s[20:21], s[2:3], 0x0
	v_sub_u16_e32 v20, v0, v9
	v_mov_b32_e32 v11, 0
	v_mov_b32_e32 v12, 0
	s_waitcnt lgkmcnt(0)
	v_mov_b32_e32 v9, s18
	v_mov_b32_e32 v10, s19
	v_cmp_ge_i64_e32 vcc, s[20:21], v[9:10]
	v_mov_b32_e32 v9, 0
	v_mov_b32_e32 v10, 0
	s_cbranch_vccnz .LBB557_10
; %bb.6:
	s_load_dwordx2 s[2:3], s[4:5], 0x48
	s_load_dwordx4 s[8:11], s[4:5], 0x38
	s_sub_u32 s4, s18, s14
	s_mov_b32 s7, 0xffff
	s_subb_u32 s5, s19, 0
	s_movk_i32 s15, 0x384
	v_and_b32_sdwa v9, s7, v13 dst_sel:DWORD dst_unused:UNUSED_PAD src0_sel:DWORD src1_sel:WORD_1
	v_subrev_u32_e32 v10, 30, v9
	v_cmp_gt_u32_e32 vcc, s15, v0
	s_sub_u32 s18, s20, s14
	v_cndmask_b32_e32 v9, v10, v9, vcc
	s_subb_u32 s19, s21, 0
	v_cndmask_b32_e64 v13, v20, v9, s[0:1]
	s_mul_i32 s0, s19, 0x1c20
	s_mul_hi_u32 s1, s18, 0x1c20
	s_add_i32 s1, s1, s0
	s_mul_i32 s0, s18, 0x1c20
	s_waitcnt lgkmcnt(0)
	s_add_u32 s0, s10, s0
	s_addc_u32 s1, s11, s1
	v_lshlrev_b32_e32 v9, 3, v0
	v_mov_b32_e32 v10, s1
	v_add_co_u32_e32 v14, vcc, s0, v9
	v_addc_co_u32_e32 v15, vcc, 0, v10, vcc
	s_movk_i32 s0, 0x383
	v_cmp_lt_u32_e32 vcc, s0, v0
	v_cndmask_b32_e64 v21, 0, 1, vcc
	v_mov_b32_e32 v9, s21
	v_add_co_u32_e32 v10, vcc, s20, v21
	v_addc_co_u32_e32 v11, vcc, 0, v9, vcc
	v_subrev_co_u32_e32 v9, vcc, s14, v10
	v_subbrev_co_u32_e32 v10, vcc, 0, v11, vcc
	v_lshlrev_b64 v[9:10], 2, v[9:10]
	v_mov_b32_e32 v11, s9
	v_add_co_u32_e32 v16, vcc, s8, v9
	v_addc_co_u32_e32 v17, vcc, v11, v10, vcc
	v_mov_b32_e32 v11, 0
	v_mov_b32_e32 v12, 0
	;; [unrolled: 1-line block ×6, first 2 shown]
	s_branch .LBB557_8
.LBB557_7:                              ;   in Loop: Header=BB557_8 Depth=1
	s_or_b64 exec, exec, s[0:1]
	s_add_u32 s18, s18, 1
	s_addc_u32 s19, s19, 0
	v_cmp_lt_i64_e32 vcc, s[18:19], v[18:19]
	v_add_co_u32_e64 v16, s[0:1], 4, v16
	v_addc_co_u32_e64 v17, s[0:1], 0, v17, s[0:1]
	s_cbranch_vccz .LBB557_10
.LBB557_8:                              ; =>This Inner Loop Header: Depth=1
	v_mov_b32_e32 v23, s19
	v_add_co_u32_e32 v22, vcc, s18, v21
	v_addc_co_u32_e32 v23, vcc, 0, v23, vcc
	v_cmp_gt_i64_e32 vcc, s[4:5], v[22:23]
	s_and_saveexec_b64 s[0:1], vcc
	s_cbranch_execz .LBB557_7
; %bb.9:                                ;   in Loop: Header=BB557_8 Depth=1
	global_load_dword v22, v[16:17], off
	global_load_dwordx2 v[26:27], v[14:15], off
	v_mov_b32_e32 v24, s3
	s_waitcnt vmcnt(1)
	v_subrev_u32_e32 v22, s14, v22
	v_mad_u64_u32 v[22:23], s[8:9], v22, 30, v[13:14]
	s_waitcnt vmcnt(0)
	v_cvt_f64_f32_e32 v[28:29], v26
	v_cvt_f64_f32_e32 v[26:27], v27
	v_ashrrev_i32_e32 v23, 31, v22
	v_lshlrev_b64 v[22:23], 4, v[22:23]
	v_add_co_u32_e32 v22, vcc, s2, v22
	v_addc_co_u32_e32 v23, vcc, v24, v23, vcc
	global_load_dwordx4 v[22:25], v[22:23], off
	v_add_co_u32_e32 v14, vcc, 0x1c20, v14
	v_addc_co_u32_e32 v15, vcc, 0, v15, vcc
	s_waitcnt vmcnt(0)
	v_fma_f64 v[9:10], v[28:29], v[22:23], v[9:10]
	v_fma_f64 v[11:12], v[26:27], v[22:23], v[11:12]
	v_fma_f64 v[9:10], -v[26:27], v[24:25], v[9:10]
	v_fma_f64 v[11:12], v[28:29], v[24:25], v[11:12]
	s_branch .LBB557_7
.LBB557_10:
	v_lshlrev_b32_e32 v17, 4, v0
	s_and_b64 vcc, exec, s[16:17]
	ds_write_b128 v17, v[9:12]
	s_waitcnt lgkmcnt(0)
	s_barrier
	s_cbranch_vccz .LBB557_22
; %bb.11:
	v_cmp_gt_u16_e32 vcc, 14, v20
	s_and_saveexec_b64 s[0:1], vcc
	s_cbranch_execz .LBB557_13
; %bb.12:
	ds_read_b128 v[13:16], v17 offset:256
	ds_read_b128 v[21:24], v17
	s_waitcnt lgkmcnt(0)
	v_add_f64 v[13:14], v[13:14], v[21:22]
	v_add_f64 v[15:16], v[15:16], v[23:24]
	ds_write_b128 v17, v[13:16]
.LBB557_13:
	s_or_b64 exec, exec, s[0:1]
	v_cmp_gt_u16_e32 vcc, 8, v20
	s_waitcnt lgkmcnt(0)
	s_barrier
	s_and_saveexec_b64 s[0:1], vcc
	s_cbranch_execz .LBB557_15
; %bb.14:
	ds_read_b128 v[13:16], v17 offset:128
	ds_read_b128 v[21:24], v17
	s_waitcnt lgkmcnt(0)
	v_add_f64 v[13:14], v[13:14], v[21:22]
	v_add_f64 v[15:16], v[15:16], v[23:24]
	ds_write_b128 v17, v[13:16]
.LBB557_15:
	s_or_b64 exec, exec, s[0:1]
	v_cmp_gt_u16_e32 vcc, 4, v20
	s_waitcnt lgkmcnt(0)
	s_barrier
	;; [unrolled: 14-line block ×3, first 2 shown]
	s_and_saveexec_b64 s[0:1], vcc
	s_cbranch_execz .LBB557_19
; %bb.18:
	ds_read_b128 v[13:16], v17
	ds_read_b128 v[18:21], v17 offset:32
	s_waitcnt lgkmcnt(0)
	v_add_f64 v[13:14], v[18:19], v[13:14]
	v_add_f64 v[15:16], v[20:21], v[15:16]
	ds_write_b128 v17, v[13:16]
.LBB557_19:
	s_or_b64 exec, exec, s[0:1]
	v_mov_b32_e32 v16, v12
	v_mov_b32_e32 v14, v10
	v_cmp_gt_u32_e32 vcc, 30, v0
	v_mov_b32_e32 v15, v11
	v_mov_b32_e32 v13, v9
	s_waitcnt lgkmcnt(0)
	s_barrier
	s_and_saveexec_b64 s[0:1], vcc
	s_cbranch_execz .LBB557_21
; %bb.20:
	s_movk_i32 s2, 0x1d0
	v_mad_u32_u24 v18, v0, s2, v17
	ds_read_b128 v[13:16], v18
	ds_read_b128 v[18:21], v18 offset:16
	s_waitcnt lgkmcnt(0)
	v_add_f64 v[13:14], v[18:19], v[13:14]
	v_add_f64 v[15:16], v[20:21], v[15:16]
.LBB557_21:
	s_or_b64 exec, exec, s[0:1]
	s_branch .LBB557_34
.LBB557_22:
                                        ; implicit-def: $vgpr15_vgpr16
                                        ; implicit-def: $vgpr13_vgpr14
	s_cbranch_execz .LBB557_34
; %bb.23:
	s_movk_i32 s0, 0x1a4
	v_cmp_gt_u32_e32 vcc, s0, v0
	s_and_saveexec_b64 s[0:1], vcc
	s_cbranch_execz .LBB557_25
; %bb.24:
	ds_read_b128 v[13:16], v17 offset:7680
	ds_read_b128 v[18:21], v17
	s_waitcnt lgkmcnt(0)
	v_add_f64 v[13:14], v[13:14], v[18:19]
	v_add_f64 v[15:16], v[15:16], v[20:21]
	ds_write_b128 v17, v[13:16]
.LBB557_25:
	s_or_b64 exec, exec, s[0:1]
	s_movk_i32 s0, 0xf0
	v_cmp_gt_u32_e32 vcc, s0, v0
	s_waitcnt lgkmcnt(0)
	s_barrier
	s_and_saveexec_b64 s[0:1], vcc
	s_cbranch_execz .LBB557_27
; %bb.26:
	ds_read_b128 v[13:16], v17 offset:3840
	ds_read_b128 v[18:21], v17
	s_waitcnt lgkmcnt(0)
	v_add_f64 v[13:14], v[13:14], v[18:19]
	v_add_f64 v[15:16], v[15:16], v[20:21]
	ds_write_b128 v17, v[13:16]
.LBB557_27:
	s_or_b64 exec, exec, s[0:1]
	s_movk_i32 s0, 0x78
	v_cmp_gt_u32_e32 vcc, s0, v0
	s_waitcnt lgkmcnt(0)
	s_barrier
	s_and_saveexec_b64 s[0:1], vcc
	s_cbranch_execz .LBB557_29
; %bb.28:
	ds_read_b128 v[13:16], v17 offset:1920
	ds_read_b128 v[18:21], v17
	s_waitcnt lgkmcnt(0)
	v_add_f64 v[13:14], v[13:14], v[18:19]
	v_add_f64 v[15:16], v[15:16], v[20:21]
	ds_write_b128 v17, v[13:16]
.LBB557_29:
	s_or_b64 exec, exec, s[0:1]
	v_cmp_gt_u32_e32 vcc, 60, v0
	s_waitcnt lgkmcnt(0)
	s_barrier
	s_and_saveexec_b64 s[0:1], vcc
	s_cbranch_execz .LBB557_31
; %bb.30:
	ds_read_b128 v[13:16], v17 offset:960
	ds_read_b128 v[18:21], v17
	s_waitcnt lgkmcnt(0)
	v_add_f64 v[13:14], v[13:14], v[18:19]
	v_add_f64 v[15:16], v[15:16], v[20:21]
	ds_write_b128 v17, v[13:16]
.LBB557_31:
	s_or_b64 exec, exec, s[0:1]
	v_cmp_gt_u32_e32 vcc, 30, v0
	s_waitcnt lgkmcnt(0)
	s_and_saveexec_b64 s[0:1], vcc
	s_cbranch_execz .LBB557_33
; %bb.32:
	ds_read_b128 v[9:12], v17 offset:480
	ds_read_b128 v[13:16], v17
	s_waitcnt lgkmcnt(0)
	v_add_f64 v[9:10], v[9:10], v[13:14]
	v_add_f64 v[11:12], v[11:12], v[15:16]
.LBB557_33:
	s_or_b64 exec, exec, s[0:1]
	v_mov_b32_e32 v16, v12
	v_mov_b32_e32 v14, v10
	v_mov_b32_e32 v15, v11
	v_mov_b32_e32 v13, v9
.LBB557_34:
	v_cmp_gt_u32_e32 vcc, 30, v0
	s_and_b64 exec, exec, vcc
	s_cbranch_execz .LBB557_39
; %bb.35:
	v_mul_f64 v[9:10], v[15:16], -v[7:8]
	v_mul_f64 v[11:12], v[5:6], v[15:16]
	v_cmp_eq_f64_e32 vcc, 0, v[1:2]
	v_cmp_eq_f64_e64 s[0:1], 0, v[3:4]
	v_fma_f64 v[5:6], v[5:6], v[13:14], v[9:10]
	v_fma_f64 v[7:8], v[7:8], v[13:14], v[11:12]
	s_and_b64 s[0:1], vcc, s[0:1]
	s_and_saveexec_b64 s[2:3], s[0:1]
	s_xor_b64 s[0:1], exec, s[2:3]
	s_cbranch_execz .LBB557_37
; %bb.36:
	v_mad_u64_u32 v[0:1], s[2:3], s6, 30, v[0:1]
	v_mov_b32_e32 v1, 0
	v_mov_b32_e32 v2, s13
	v_lshlrev_b64 v[0:1], 4, v[0:1]
	v_add_co_u32_e32 v0, vcc, s12, v0
	v_addc_co_u32_e32 v1, vcc, v2, v1, vcc
	global_store_dwordx4 v[0:1], v[5:8], off
                                        ; implicit-def: $vgpr0
                                        ; implicit-def: $vgpr1_vgpr2
                                        ; implicit-def: $vgpr5_vgpr6
.LBB557_37:
	s_andn2_saveexec_b64 s[0:1], s[0:1]
	s_cbranch_execz .LBB557_39
; %bb.38:
	v_mad_u64_u32 v[9:10], s[0:1], s6, 30, v[0:1]
	v_mov_b32_e32 v10, 0
	v_mov_b32_e32 v0, s13
	v_lshlrev_b64 v[9:10], 4, v[9:10]
	v_add_co_u32_e32 v13, vcc, s12, v9
	v_addc_co_u32_e32 v14, vcc, v0, v10, vcc
	global_load_dwordx4 v[9:12], v[13:14], off
	s_waitcnt vmcnt(0)
	v_fma_f64 v[5:6], v[1:2], v[9:10], v[5:6]
	v_fma_f64 v[7:8], v[3:4], v[9:10], v[7:8]
	v_fma_f64 v[3:4], -v[3:4], v[11:12], v[5:6]
	v_fma_f64 v[5:6], v[1:2], v[11:12], v[7:8]
	global_store_dwordx4 v[13:14], v[3:6], off
.LBB557_39:
	s_endpgm
	.section	.rodata,"a",@progbits
	.p2align	6, 0x0
	.amdhsa_kernel _ZN9rocsparseL20bsrxmvn_17_32_kernelILj30E21rocsparse_complex_numIdEliS1_IfES2_S2_EEvT2_20rocsparse_direction_NS_24const_host_device_scalarIT0_EES4_PKS4_PKT1_SD_SA_PKT3_PKT4_S8_PT5_21rocsparse_index_base_b
		.amdhsa_group_segment_fixed_size 14400
		.amdhsa_private_segment_fixed_size 0
		.amdhsa_kernarg_size 112
		.amdhsa_user_sgpr_count 6
		.amdhsa_user_sgpr_private_segment_buffer 1
		.amdhsa_user_sgpr_dispatch_ptr 0
		.amdhsa_user_sgpr_queue_ptr 0
		.amdhsa_user_sgpr_kernarg_segment_ptr 1
		.amdhsa_user_sgpr_dispatch_id 0
		.amdhsa_user_sgpr_flat_scratch_init 0
		.amdhsa_user_sgpr_private_segment_size 0
		.amdhsa_uses_dynamic_stack 0
		.amdhsa_system_sgpr_private_segment_wavefront_offset 0
		.amdhsa_system_sgpr_workgroup_id_x 1
		.amdhsa_system_sgpr_workgroup_id_y 0
		.amdhsa_system_sgpr_workgroup_id_z 0
		.amdhsa_system_sgpr_workgroup_info 0
		.amdhsa_system_vgpr_workitem_id 0
		.amdhsa_next_free_vgpr 30
		.amdhsa_next_free_sgpr 61
		.amdhsa_reserve_vcc 1
		.amdhsa_reserve_flat_scratch 0
		.amdhsa_float_round_mode_32 0
		.amdhsa_float_round_mode_16_64 0
		.amdhsa_float_denorm_mode_32 3
		.amdhsa_float_denorm_mode_16_64 3
		.amdhsa_dx10_clamp 1
		.amdhsa_ieee_mode 1
		.amdhsa_fp16_overflow 0
		.amdhsa_exception_fp_ieee_invalid_op 0
		.amdhsa_exception_fp_denorm_src 0
		.amdhsa_exception_fp_ieee_div_zero 0
		.amdhsa_exception_fp_ieee_overflow 0
		.amdhsa_exception_fp_ieee_underflow 0
		.amdhsa_exception_fp_ieee_inexact 0
		.amdhsa_exception_int_div_zero 0
	.end_amdhsa_kernel
	.section	.text._ZN9rocsparseL20bsrxmvn_17_32_kernelILj30E21rocsparse_complex_numIdEliS1_IfES2_S2_EEvT2_20rocsparse_direction_NS_24const_host_device_scalarIT0_EES4_PKS4_PKT1_SD_SA_PKT3_PKT4_S8_PT5_21rocsparse_index_base_b,"axG",@progbits,_ZN9rocsparseL20bsrxmvn_17_32_kernelILj30E21rocsparse_complex_numIdEliS1_IfES2_S2_EEvT2_20rocsparse_direction_NS_24const_host_device_scalarIT0_EES4_PKS4_PKT1_SD_SA_PKT3_PKT4_S8_PT5_21rocsparse_index_base_b,comdat
.Lfunc_end557:
	.size	_ZN9rocsparseL20bsrxmvn_17_32_kernelILj30E21rocsparse_complex_numIdEliS1_IfES2_S2_EEvT2_20rocsparse_direction_NS_24const_host_device_scalarIT0_EES4_PKS4_PKT1_SD_SA_PKT3_PKT4_S8_PT5_21rocsparse_index_base_b, .Lfunc_end557-_ZN9rocsparseL20bsrxmvn_17_32_kernelILj30E21rocsparse_complex_numIdEliS1_IfES2_S2_EEvT2_20rocsparse_direction_NS_24const_host_device_scalarIT0_EES4_PKS4_PKT1_SD_SA_PKT3_PKT4_S8_PT5_21rocsparse_index_base_b
                                        ; -- End function
	.set _ZN9rocsparseL20bsrxmvn_17_32_kernelILj30E21rocsparse_complex_numIdEliS1_IfES2_S2_EEvT2_20rocsparse_direction_NS_24const_host_device_scalarIT0_EES4_PKS4_PKT1_SD_SA_PKT3_PKT4_S8_PT5_21rocsparse_index_base_b.num_vgpr, 30
	.set _ZN9rocsparseL20bsrxmvn_17_32_kernelILj30E21rocsparse_complex_numIdEliS1_IfES2_S2_EEvT2_20rocsparse_direction_NS_24const_host_device_scalarIT0_EES4_PKS4_PKT1_SD_SA_PKT3_PKT4_S8_PT5_21rocsparse_index_base_b.num_agpr, 0
	.set _ZN9rocsparseL20bsrxmvn_17_32_kernelILj30E21rocsparse_complex_numIdEliS1_IfES2_S2_EEvT2_20rocsparse_direction_NS_24const_host_device_scalarIT0_EES4_PKS4_PKT1_SD_SA_PKT3_PKT4_S8_PT5_21rocsparse_index_base_b.numbered_sgpr, 22
	.set _ZN9rocsparseL20bsrxmvn_17_32_kernelILj30E21rocsparse_complex_numIdEliS1_IfES2_S2_EEvT2_20rocsparse_direction_NS_24const_host_device_scalarIT0_EES4_PKS4_PKT1_SD_SA_PKT3_PKT4_S8_PT5_21rocsparse_index_base_b.num_named_barrier, 0
	.set _ZN9rocsparseL20bsrxmvn_17_32_kernelILj30E21rocsparse_complex_numIdEliS1_IfES2_S2_EEvT2_20rocsparse_direction_NS_24const_host_device_scalarIT0_EES4_PKS4_PKT1_SD_SA_PKT3_PKT4_S8_PT5_21rocsparse_index_base_b.private_seg_size, 0
	.set _ZN9rocsparseL20bsrxmvn_17_32_kernelILj30E21rocsparse_complex_numIdEliS1_IfES2_S2_EEvT2_20rocsparse_direction_NS_24const_host_device_scalarIT0_EES4_PKS4_PKT1_SD_SA_PKT3_PKT4_S8_PT5_21rocsparse_index_base_b.uses_vcc, 1
	.set _ZN9rocsparseL20bsrxmvn_17_32_kernelILj30E21rocsparse_complex_numIdEliS1_IfES2_S2_EEvT2_20rocsparse_direction_NS_24const_host_device_scalarIT0_EES4_PKS4_PKT1_SD_SA_PKT3_PKT4_S8_PT5_21rocsparse_index_base_b.uses_flat_scratch, 0
	.set _ZN9rocsparseL20bsrxmvn_17_32_kernelILj30E21rocsparse_complex_numIdEliS1_IfES2_S2_EEvT2_20rocsparse_direction_NS_24const_host_device_scalarIT0_EES4_PKS4_PKT1_SD_SA_PKT3_PKT4_S8_PT5_21rocsparse_index_base_b.has_dyn_sized_stack, 0
	.set _ZN9rocsparseL20bsrxmvn_17_32_kernelILj30E21rocsparse_complex_numIdEliS1_IfES2_S2_EEvT2_20rocsparse_direction_NS_24const_host_device_scalarIT0_EES4_PKS4_PKT1_SD_SA_PKT3_PKT4_S8_PT5_21rocsparse_index_base_b.has_recursion, 0
	.set _ZN9rocsparseL20bsrxmvn_17_32_kernelILj30E21rocsparse_complex_numIdEliS1_IfES2_S2_EEvT2_20rocsparse_direction_NS_24const_host_device_scalarIT0_EES4_PKS4_PKT1_SD_SA_PKT3_PKT4_S8_PT5_21rocsparse_index_base_b.has_indirect_call, 0
	.section	.AMDGPU.csdata,"",@progbits
; Kernel info:
; codeLenInByte = 1732
; TotalNumSgprs: 26
; NumVgprs: 30
; ScratchSize: 0
; MemoryBound: 0
; FloatMode: 240
; IeeeMode: 1
; LDSByteSize: 14400 bytes/workgroup (compile time only)
; SGPRBlocks: 8
; VGPRBlocks: 7
; NumSGPRsForWavesPerEU: 65
; NumVGPRsForWavesPerEU: 30
; Occupancy: 8
; WaveLimiterHint : 1
; COMPUTE_PGM_RSRC2:SCRATCH_EN: 0
; COMPUTE_PGM_RSRC2:USER_SGPR: 6
; COMPUTE_PGM_RSRC2:TRAP_HANDLER: 0
; COMPUTE_PGM_RSRC2:TGID_X_EN: 1
; COMPUTE_PGM_RSRC2:TGID_Y_EN: 0
; COMPUTE_PGM_RSRC2:TGID_Z_EN: 0
; COMPUTE_PGM_RSRC2:TIDIG_COMP_CNT: 0
	.section	.text._ZN9rocsparseL20bsrxmvn_17_32_kernelILj31E21rocsparse_complex_numIdEliS1_IfES2_S2_EEvT2_20rocsparse_direction_NS_24const_host_device_scalarIT0_EES4_PKS4_PKT1_SD_SA_PKT3_PKT4_S8_PT5_21rocsparse_index_base_b,"axG",@progbits,_ZN9rocsparseL20bsrxmvn_17_32_kernelILj31E21rocsparse_complex_numIdEliS1_IfES2_S2_EEvT2_20rocsparse_direction_NS_24const_host_device_scalarIT0_EES4_PKS4_PKT1_SD_SA_PKT3_PKT4_S8_PT5_21rocsparse_index_base_b,comdat
	.globl	_ZN9rocsparseL20bsrxmvn_17_32_kernelILj31E21rocsparse_complex_numIdEliS1_IfES2_S2_EEvT2_20rocsparse_direction_NS_24const_host_device_scalarIT0_EES4_PKS4_PKT1_SD_SA_PKT3_PKT4_S8_PT5_21rocsparse_index_base_b ; -- Begin function _ZN9rocsparseL20bsrxmvn_17_32_kernelILj31E21rocsparse_complex_numIdEliS1_IfES2_S2_EEvT2_20rocsparse_direction_NS_24const_host_device_scalarIT0_EES4_PKS4_PKT1_SD_SA_PKT3_PKT4_S8_PT5_21rocsparse_index_base_b
	.p2align	8
	.type	_ZN9rocsparseL20bsrxmvn_17_32_kernelILj31E21rocsparse_complex_numIdEliS1_IfES2_S2_EEvT2_20rocsparse_direction_NS_24const_host_device_scalarIT0_EES4_PKS4_PKT1_SD_SA_PKT3_PKT4_S8_PT5_21rocsparse_index_base_b,@function
_ZN9rocsparseL20bsrxmvn_17_32_kernelILj31E21rocsparse_complex_numIdEliS1_IfES2_S2_EEvT2_20rocsparse_direction_NS_24const_host_device_scalarIT0_EES4_PKS4_PKT1_SD_SA_PKT3_PKT4_S8_PT5_21rocsparse_index_base_b: ; @_ZN9rocsparseL20bsrxmvn_17_32_kernelILj31E21rocsparse_complex_numIdEliS1_IfES2_S2_EEvT2_20rocsparse_direction_NS_24const_host_device_scalarIT0_EES4_PKS4_PKT1_SD_SA_PKT3_PKT4_S8_PT5_21rocsparse_index_base_b
; %bb.0:
	s_load_dwordx2 s[0:1], s[4:5], 0x8
	s_load_dwordx2 s[14:15], s[4:5], 0x68
	s_add_u32 s7, s4, 8
	s_addc_u32 s8, s5, 0
	s_add_u32 s9, s4, 0x50
	s_addc_u32 s10, s5, 0
	s_waitcnt lgkmcnt(0)
	s_bitcmp1_b32 s15, 0
	s_cselect_b32 s1, s8, s1
	s_cselect_b32 s0, s7, s0
	v_mov_b32_e32 v1, s0
	v_mov_b32_e32 v2, s1
	flat_load_dwordx4 v[5:8], v[1:2]
	s_load_dwordx2 s[2:3], s[4:5], 0x50
	s_waitcnt lgkmcnt(0)
	s_cselect_b32 s0, s10, s3
	s_cselect_b32 s1, s9, s2
	v_mov_b32_e32 v1, s1
	v_mov_b32_e32 v2, s0
	flat_load_dwordx4 v[1:4], v[1:2]
	s_waitcnt vmcnt(0)
	v_cmp_eq_f64_e32 vcc, 0, v[5:6]
	v_cmp_eq_f64_e64 s[0:1], 0, v[7:8]
	s_and_b64 s[8:9], vcc, s[0:1]
	s_mov_b64 s[0:1], -1
	s_and_saveexec_b64 s[2:3], s[8:9]
	s_cbranch_execz .LBB558_2
; %bb.1:
	s_waitcnt lgkmcnt(0)
	v_cmp_neq_f64_e32 vcc, 1.0, v[1:2]
	v_cmp_neq_f64_e64 s[0:1], 0, v[3:4]
	s_or_b64 s[0:1], vcc, s[0:1]
	s_orn2_b64 s[0:1], s[0:1], exec
.LBB558_2:
	s_or_b64 exec, exec, s[2:3]
	s_and_saveexec_b64 s[2:3], s[0:1]
	s_cbranch_execz .LBB558_39
; %bb.3:
	s_load_dwordx4 s[0:3], s[4:5], 0x20
	s_load_dwordx2 s[8:9], s[4:5], 0x30
	s_waitcnt lgkmcnt(0)
	s_cmp_eq_u64 s[0:1], 0
	s_cbranch_scc1 .LBB558_5
; %bb.4:
	s_ashr_i32 s7, s6, 31
	s_lshl_b64 s[6:7], s[6:7], 2
	s_add_u32 s0, s0, s6
	s_addc_u32 s1, s1, s7
	s_load_dword s0, s[0:1], 0x0
	s_waitcnt lgkmcnt(0)
	s_sub_i32 s6, s0, s14
.LBB558_5:
	s_load_dword s7, s[4:5], 0x4
	s_load_dwordx2 s[12:13], s[4:5], 0x60
	v_mul_u32_u24_e32 v13, 0x843, v0
	v_mov_b32_e32 v9, 31
	v_mul_lo_u16_sdwa v9, v13, v9 dst_sel:DWORD dst_unused:UNUSED_PAD src0_sel:WORD_1 src1_sel:DWORD
	s_waitcnt lgkmcnt(0)
	s_cmp_eq_u32 s7, 1
	s_cselect_b64 s[0:1], -1, 0
	s_cmp_lg_u32 s7, 1
	s_cselect_b64 s[16:17], -1, 0
	s_ashr_i32 s7, s6, 31
	s_lshl_b64 s[10:11], s[6:7], 3
	s_add_u32 s2, s2, s10
	s_addc_u32 s3, s3, s11
	s_add_u32 s7, s2, 8
	s_addc_u32 s15, s3, 0
	;; [unrolled: 2-line block ×3, first 2 shown]
	s_cmp_eq_u64 s[8:9], 0
	s_cselect_b32 s9, s15, s11
	s_cselect_b32 s8, s7, s10
	s_load_dwordx2 s[18:19], s[8:9], 0x0
	s_load_dwordx2 s[20:21], s[2:3], 0x0
	v_sub_u16_e32 v20, v0, v9
	v_mov_b32_e32 v11, 0
	v_mov_b32_e32 v12, 0
	s_waitcnt lgkmcnt(0)
	v_mov_b32_e32 v9, s18
	v_mov_b32_e32 v10, s19
	v_cmp_ge_i64_e32 vcc, s[20:21], v[9:10]
	v_mov_b32_e32 v9, 0
	v_mov_b32_e32 v10, 0
	s_cbranch_vccnz .LBB558_10
; %bb.6:
	s_load_dwordx2 s[2:3], s[4:5], 0x48
	s_load_dwordx4 s[8:11], s[4:5], 0x38
	s_sub_u32 s4, s18, s14
	s_mov_b32 s7, 0xffff
	s_subb_u32 s5, s19, 0
	s_movk_i32 s15, 0x3c1
	v_and_b32_sdwa v9, s7, v13 dst_sel:DWORD dst_unused:UNUSED_PAD src0_sel:DWORD src1_sel:WORD_1
	v_subrev_u32_e32 v10, 31, v9
	v_cmp_gt_u32_e32 vcc, s15, v0
	s_sub_u32 s18, s20, s14
	v_cndmask_b32_e32 v9, v10, v9, vcc
	s_subb_u32 s19, s21, 0
	v_cndmask_b32_e64 v13, v20, v9, s[0:1]
	s_mul_i32 s0, s19, 0x1e08
	s_mul_hi_u32 s1, s18, 0x1e08
	s_add_i32 s1, s1, s0
	s_mul_i32 s0, s18, 0x1e08
	s_waitcnt lgkmcnt(0)
	s_add_u32 s0, s10, s0
	s_addc_u32 s1, s11, s1
	v_lshlrev_b32_e32 v9, 3, v0
	v_mov_b32_e32 v10, s1
	v_add_co_u32_e32 v14, vcc, s0, v9
	v_addc_co_u32_e32 v15, vcc, 0, v10, vcc
	s_movk_i32 s0, 0x3c0
	v_cmp_lt_u32_e32 vcc, s0, v0
	v_cndmask_b32_e64 v21, 0, 1, vcc
	v_mov_b32_e32 v9, s21
	v_add_co_u32_e32 v10, vcc, s20, v21
	v_addc_co_u32_e32 v11, vcc, 0, v9, vcc
	v_subrev_co_u32_e32 v9, vcc, s14, v10
	v_subbrev_co_u32_e32 v10, vcc, 0, v11, vcc
	v_lshlrev_b64 v[9:10], 2, v[9:10]
	v_mov_b32_e32 v11, s9
	v_add_co_u32_e32 v16, vcc, s8, v9
	v_addc_co_u32_e32 v17, vcc, v11, v10, vcc
	v_mov_b32_e32 v11, 0
	v_mov_b32_e32 v12, 0
	;; [unrolled: 1-line block ×6, first 2 shown]
	s_branch .LBB558_8
.LBB558_7:                              ;   in Loop: Header=BB558_8 Depth=1
	s_or_b64 exec, exec, s[0:1]
	s_add_u32 s18, s18, 1
	s_addc_u32 s19, s19, 0
	v_cmp_lt_i64_e32 vcc, s[18:19], v[18:19]
	v_add_co_u32_e64 v16, s[0:1], 4, v16
	v_addc_co_u32_e64 v17, s[0:1], 0, v17, s[0:1]
	s_cbranch_vccz .LBB558_10
.LBB558_8:                              ; =>This Inner Loop Header: Depth=1
	v_mov_b32_e32 v23, s19
	v_add_co_u32_e32 v22, vcc, s18, v21
	v_addc_co_u32_e32 v23, vcc, 0, v23, vcc
	v_cmp_gt_i64_e32 vcc, s[4:5], v[22:23]
	s_and_saveexec_b64 s[0:1], vcc
	s_cbranch_execz .LBB558_7
; %bb.9:                                ;   in Loop: Header=BB558_8 Depth=1
	global_load_dword v22, v[16:17], off
	global_load_dwordx2 v[26:27], v[14:15], off
	v_mov_b32_e32 v24, s3
	s_waitcnt vmcnt(1)
	v_subrev_u32_e32 v22, s14, v22
	v_mad_u64_u32 v[22:23], s[8:9], v22, 31, v[13:14]
	s_waitcnt vmcnt(0)
	v_cvt_f64_f32_e32 v[28:29], v26
	v_cvt_f64_f32_e32 v[26:27], v27
	v_ashrrev_i32_e32 v23, 31, v22
	v_lshlrev_b64 v[22:23], 4, v[22:23]
	v_add_co_u32_e32 v22, vcc, s2, v22
	v_addc_co_u32_e32 v23, vcc, v24, v23, vcc
	global_load_dwordx4 v[22:25], v[22:23], off
	v_add_co_u32_e32 v14, vcc, 0x1e08, v14
	v_addc_co_u32_e32 v15, vcc, 0, v15, vcc
	s_waitcnt vmcnt(0)
	v_fma_f64 v[9:10], v[28:29], v[22:23], v[9:10]
	v_fma_f64 v[11:12], v[26:27], v[22:23], v[11:12]
	v_fma_f64 v[9:10], -v[26:27], v[24:25], v[9:10]
	v_fma_f64 v[11:12], v[28:29], v[24:25], v[11:12]
	s_branch .LBB558_7
.LBB558_10:
	v_lshlrev_b32_e32 v17, 4, v0
	s_and_b64 vcc, exec, s[16:17]
	ds_write_b128 v17, v[9:12]
	s_waitcnt lgkmcnt(0)
	s_barrier
	s_cbranch_vccz .LBB558_22
; %bb.11:
	v_cmp_gt_u16_e32 vcc, 15, v20
	s_and_saveexec_b64 s[0:1], vcc
	s_cbranch_execz .LBB558_13
; %bb.12:
	ds_read_b128 v[13:16], v17 offset:256
	ds_read_b128 v[21:24], v17
	s_waitcnt lgkmcnt(0)
	v_add_f64 v[13:14], v[13:14], v[21:22]
	v_add_f64 v[15:16], v[15:16], v[23:24]
	ds_write_b128 v17, v[13:16]
.LBB558_13:
	s_or_b64 exec, exec, s[0:1]
	v_cmp_gt_u16_e32 vcc, 8, v20
	s_waitcnt lgkmcnt(0)
	s_barrier
	s_and_saveexec_b64 s[0:1], vcc
	s_cbranch_execz .LBB558_15
; %bb.14:
	ds_read_b128 v[13:16], v17 offset:128
	ds_read_b128 v[21:24], v17
	s_waitcnt lgkmcnt(0)
	v_add_f64 v[13:14], v[13:14], v[21:22]
	v_add_f64 v[15:16], v[15:16], v[23:24]
	ds_write_b128 v17, v[13:16]
.LBB558_15:
	s_or_b64 exec, exec, s[0:1]
	v_cmp_gt_u16_e32 vcc, 4, v20
	s_waitcnt lgkmcnt(0)
	s_barrier
	;; [unrolled: 14-line block ×3, first 2 shown]
	s_and_saveexec_b64 s[0:1], vcc
	s_cbranch_execz .LBB558_19
; %bb.18:
	ds_read_b128 v[13:16], v17
	ds_read_b128 v[18:21], v17 offset:32
	s_waitcnt lgkmcnt(0)
	v_add_f64 v[13:14], v[18:19], v[13:14]
	v_add_f64 v[15:16], v[20:21], v[15:16]
	ds_write_b128 v17, v[13:16]
.LBB558_19:
	s_or_b64 exec, exec, s[0:1]
	v_mov_b32_e32 v16, v12
	v_mov_b32_e32 v14, v10
	v_cmp_gt_u32_e32 vcc, 31, v0
	v_mov_b32_e32 v15, v11
	v_mov_b32_e32 v13, v9
	s_waitcnt lgkmcnt(0)
	s_barrier
	s_and_saveexec_b64 s[0:1], vcc
	s_cbranch_execz .LBB558_21
; %bb.20:
	s_movk_i32 s2, 0x1e0
	v_mad_u32_u24 v18, v0, s2, v17
	ds_read_b128 v[13:16], v18
	ds_read_b128 v[18:21], v18 offset:16
	s_waitcnt lgkmcnt(0)
	v_add_f64 v[13:14], v[18:19], v[13:14]
	v_add_f64 v[15:16], v[20:21], v[15:16]
.LBB558_21:
	s_or_b64 exec, exec, s[0:1]
	s_branch .LBB558_34
.LBB558_22:
                                        ; implicit-def: $vgpr15_vgpr16
                                        ; implicit-def: $vgpr13_vgpr14
	s_cbranch_execz .LBB558_34
; %bb.23:
	s_movk_i32 s0, 0x1d1
	v_cmp_gt_u32_e32 vcc, s0, v0
	s_and_saveexec_b64 s[0:1], vcc
	s_cbranch_execz .LBB558_25
; %bb.24:
	ds_read_b128 v[13:16], v17 offset:7936
	ds_read_b128 v[18:21], v17
	s_waitcnt lgkmcnt(0)
	v_add_f64 v[13:14], v[13:14], v[18:19]
	v_add_f64 v[15:16], v[15:16], v[20:21]
	ds_write_b128 v17, v[13:16]
.LBB558_25:
	s_or_b64 exec, exec, s[0:1]
	s_movk_i32 s0, 0xf8
	v_cmp_gt_u32_e32 vcc, s0, v0
	s_waitcnt lgkmcnt(0)
	s_barrier
	s_and_saveexec_b64 s[0:1], vcc
	s_cbranch_execz .LBB558_27
; %bb.26:
	ds_read_b128 v[13:16], v17 offset:3968
	ds_read_b128 v[18:21], v17
	s_waitcnt lgkmcnt(0)
	v_add_f64 v[13:14], v[13:14], v[18:19]
	v_add_f64 v[15:16], v[15:16], v[20:21]
	ds_write_b128 v17, v[13:16]
.LBB558_27:
	s_or_b64 exec, exec, s[0:1]
	s_movk_i32 s0, 0x7c
	v_cmp_gt_u32_e32 vcc, s0, v0
	s_waitcnt lgkmcnt(0)
	s_barrier
	s_and_saveexec_b64 s[0:1], vcc
	s_cbranch_execz .LBB558_29
; %bb.28:
	ds_read_b128 v[13:16], v17 offset:1984
	ds_read_b128 v[18:21], v17
	s_waitcnt lgkmcnt(0)
	v_add_f64 v[13:14], v[13:14], v[18:19]
	v_add_f64 v[15:16], v[15:16], v[20:21]
	ds_write_b128 v17, v[13:16]
.LBB558_29:
	s_or_b64 exec, exec, s[0:1]
	v_cmp_gt_u32_e32 vcc, 62, v0
	s_waitcnt lgkmcnt(0)
	s_barrier
	s_and_saveexec_b64 s[0:1], vcc
	s_cbranch_execz .LBB558_31
; %bb.30:
	ds_read_b128 v[13:16], v17 offset:992
	ds_read_b128 v[18:21], v17
	s_waitcnt lgkmcnt(0)
	v_add_f64 v[13:14], v[13:14], v[18:19]
	v_add_f64 v[15:16], v[15:16], v[20:21]
	ds_write_b128 v17, v[13:16]
.LBB558_31:
	s_or_b64 exec, exec, s[0:1]
	v_cmp_gt_u32_e32 vcc, 31, v0
	s_waitcnt lgkmcnt(0)
	s_and_saveexec_b64 s[0:1], vcc
	s_cbranch_execz .LBB558_33
; %bb.32:
	ds_read_b128 v[9:12], v17 offset:496
	ds_read_b128 v[13:16], v17
	s_waitcnt lgkmcnt(0)
	v_add_f64 v[9:10], v[9:10], v[13:14]
	v_add_f64 v[11:12], v[11:12], v[15:16]
.LBB558_33:
	s_or_b64 exec, exec, s[0:1]
	v_mov_b32_e32 v16, v12
	v_mov_b32_e32 v14, v10
	;; [unrolled: 1-line block ×4, first 2 shown]
.LBB558_34:
	v_cmp_gt_u32_e32 vcc, 31, v0
	s_and_b64 exec, exec, vcc
	s_cbranch_execz .LBB558_39
; %bb.35:
	v_mul_f64 v[9:10], v[15:16], -v[7:8]
	v_mul_f64 v[11:12], v[5:6], v[15:16]
	v_cmp_eq_f64_e32 vcc, 0, v[1:2]
	v_cmp_eq_f64_e64 s[0:1], 0, v[3:4]
	v_fma_f64 v[5:6], v[5:6], v[13:14], v[9:10]
	v_fma_f64 v[7:8], v[7:8], v[13:14], v[11:12]
	s_and_b64 s[0:1], vcc, s[0:1]
	s_and_saveexec_b64 s[2:3], s[0:1]
	s_xor_b64 s[0:1], exec, s[2:3]
	s_cbranch_execz .LBB558_37
; %bb.36:
	v_mad_u64_u32 v[0:1], s[2:3], s6, 31, v[0:1]
	v_mov_b32_e32 v1, 0
	v_mov_b32_e32 v2, s13
	v_lshlrev_b64 v[0:1], 4, v[0:1]
	v_add_co_u32_e32 v0, vcc, s12, v0
	v_addc_co_u32_e32 v1, vcc, v2, v1, vcc
	global_store_dwordx4 v[0:1], v[5:8], off
                                        ; implicit-def: $vgpr0
                                        ; implicit-def: $vgpr1_vgpr2
                                        ; implicit-def: $vgpr5_vgpr6
.LBB558_37:
	s_andn2_saveexec_b64 s[0:1], s[0:1]
	s_cbranch_execz .LBB558_39
; %bb.38:
	v_mad_u64_u32 v[9:10], s[0:1], s6, 31, v[0:1]
	v_mov_b32_e32 v10, 0
	v_mov_b32_e32 v0, s13
	v_lshlrev_b64 v[9:10], 4, v[9:10]
	v_add_co_u32_e32 v13, vcc, s12, v9
	v_addc_co_u32_e32 v14, vcc, v0, v10, vcc
	global_load_dwordx4 v[9:12], v[13:14], off
	s_waitcnt vmcnt(0)
	v_fma_f64 v[5:6], v[1:2], v[9:10], v[5:6]
	v_fma_f64 v[7:8], v[3:4], v[9:10], v[7:8]
	v_fma_f64 v[3:4], -v[3:4], v[11:12], v[5:6]
	v_fma_f64 v[5:6], v[1:2], v[11:12], v[7:8]
	global_store_dwordx4 v[13:14], v[3:6], off
.LBB558_39:
	s_endpgm
	.section	.rodata,"a",@progbits
	.p2align	6, 0x0
	.amdhsa_kernel _ZN9rocsparseL20bsrxmvn_17_32_kernelILj31E21rocsparse_complex_numIdEliS1_IfES2_S2_EEvT2_20rocsparse_direction_NS_24const_host_device_scalarIT0_EES4_PKS4_PKT1_SD_SA_PKT3_PKT4_S8_PT5_21rocsparse_index_base_b
		.amdhsa_group_segment_fixed_size 15376
		.amdhsa_private_segment_fixed_size 0
		.amdhsa_kernarg_size 112
		.amdhsa_user_sgpr_count 6
		.amdhsa_user_sgpr_private_segment_buffer 1
		.amdhsa_user_sgpr_dispatch_ptr 0
		.amdhsa_user_sgpr_queue_ptr 0
		.amdhsa_user_sgpr_kernarg_segment_ptr 1
		.amdhsa_user_sgpr_dispatch_id 0
		.amdhsa_user_sgpr_flat_scratch_init 0
		.amdhsa_user_sgpr_private_segment_size 0
		.amdhsa_uses_dynamic_stack 0
		.amdhsa_system_sgpr_private_segment_wavefront_offset 0
		.amdhsa_system_sgpr_workgroup_id_x 1
		.amdhsa_system_sgpr_workgroup_id_y 0
		.amdhsa_system_sgpr_workgroup_id_z 0
		.amdhsa_system_sgpr_workgroup_info 0
		.amdhsa_system_vgpr_workitem_id 0
		.amdhsa_next_free_vgpr 30
		.amdhsa_next_free_sgpr 61
		.amdhsa_reserve_vcc 1
		.amdhsa_reserve_flat_scratch 0
		.amdhsa_float_round_mode_32 0
		.amdhsa_float_round_mode_16_64 0
		.amdhsa_float_denorm_mode_32 3
		.amdhsa_float_denorm_mode_16_64 3
		.amdhsa_dx10_clamp 1
		.amdhsa_ieee_mode 1
		.amdhsa_fp16_overflow 0
		.amdhsa_exception_fp_ieee_invalid_op 0
		.amdhsa_exception_fp_denorm_src 0
		.amdhsa_exception_fp_ieee_div_zero 0
		.amdhsa_exception_fp_ieee_overflow 0
		.amdhsa_exception_fp_ieee_underflow 0
		.amdhsa_exception_fp_ieee_inexact 0
		.amdhsa_exception_int_div_zero 0
	.end_amdhsa_kernel
	.section	.text._ZN9rocsparseL20bsrxmvn_17_32_kernelILj31E21rocsparse_complex_numIdEliS1_IfES2_S2_EEvT2_20rocsparse_direction_NS_24const_host_device_scalarIT0_EES4_PKS4_PKT1_SD_SA_PKT3_PKT4_S8_PT5_21rocsparse_index_base_b,"axG",@progbits,_ZN9rocsparseL20bsrxmvn_17_32_kernelILj31E21rocsparse_complex_numIdEliS1_IfES2_S2_EEvT2_20rocsparse_direction_NS_24const_host_device_scalarIT0_EES4_PKS4_PKT1_SD_SA_PKT3_PKT4_S8_PT5_21rocsparse_index_base_b,comdat
.Lfunc_end558:
	.size	_ZN9rocsparseL20bsrxmvn_17_32_kernelILj31E21rocsparse_complex_numIdEliS1_IfES2_S2_EEvT2_20rocsparse_direction_NS_24const_host_device_scalarIT0_EES4_PKS4_PKT1_SD_SA_PKT3_PKT4_S8_PT5_21rocsparse_index_base_b, .Lfunc_end558-_ZN9rocsparseL20bsrxmvn_17_32_kernelILj31E21rocsparse_complex_numIdEliS1_IfES2_S2_EEvT2_20rocsparse_direction_NS_24const_host_device_scalarIT0_EES4_PKS4_PKT1_SD_SA_PKT3_PKT4_S8_PT5_21rocsparse_index_base_b
                                        ; -- End function
	.set _ZN9rocsparseL20bsrxmvn_17_32_kernelILj31E21rocsparse_complex_numIdEliS1_IfES2_S2_EEvT2_20rocsparse_direction_NS_24const_host_device_scalarIT0_EES4_PKS4_PKT1_SD_SA_PKT3_PKT4_S8_PT5_21rocsparse_index_base_b.num_vgpr, 30
	.set _ZN9rocsparseL20bsrxmvn_17_32_kernelILj31E21rocsparse_complex_numIdEliS1_IfES2_S2_EEvT2_20rocsparse_direction_NS_24const_host_device_scalarIT0_EES4_PKS4_PKT1_SD_SA_PKT3_PKT4_S8_PT5_21rocsparse_index_base_b.num_agpr, 0
	.set _ZN9rocsparseL20bsrxmvn_17_32_kernelILj31E21rocsparse_complex_numIdEliS1_IfES2_S2_EEvT2_20rocsparse_direction_NS_24const_host_device_scalarIT0_EES4_PKS4_PKT1_SD_SA_PKT3_PKT4_S8_PT5_21rocsparse_index_base_b.numbered_sgpr, 22
	.set _ZN9rocsparseL20bsrxmvn_17_32_kernelILj31E21rocsparse_complex_numIdEliS1_IfES2_S2_EEvT2_20rocsparse_direction_NS_24const_host_device_scalarIT0_EES4_PKS4_PKT1_SD_SA_PKT3_PKT4_S8_PT5_21rocsparse_index_base_b.num_named_barrier, 0
	.set _ZN9rocsparseL20bsrxmvn_17_32_kernelILj31E21rocsparse_complex_numIdEliS1_IfES2_S2_EEvT2_20rocsparse_direction_NS_24const_host_device_scalarIT0_EES4_PKS4_PKT1_SD_SA_PKT3_PKT4_S8_PT5_21rocsparse_index_base_b.private_seg_size, 0
	.set _ZN9rocsparseL20bsrxmvn_17_32_kernelILj31E21rocsparse_complex_numIdEliS1_IfES2_S2_EEvT2_20rocsparse_direction_NS_24const_host_device_scalarIT0_EES4_PKS4_PKT1_SD_SA_PKT3_PKT4_S8_PT5_21rocsparse_index_base_b.uses_vcc, 1
	.set _ZN9rocsparseL20bsrxmvn_17_32_kernelILj31E21rocsparse_complex_numIdEliS1_IfES2_S2_EEvT2_20rocsparse_direction_NS_24const_host_device_scalarIT0_EES4_PKS4_PKT1_SD_SA_PKT3_PKT4_S8_PT5_21rocsparse_index_base_b.uses_flat_scratch, 0
	.set _ZN9rocsparseL20bsrxmvn_17_32_kernelILj31E21rocsparse_complex_numIdEliS1_IfES2_S2_EEvT2_20rocsparse_direction_NS_24const_host_device_scalarIT0_EES4_PKS4_PKT1_SD_SA_PKT3_PKT4_S8_PT5_21rocsparse_index_base_b.has_dyn_sized_stack, 0
	.set _ZN9rocsparseL20bsrxmvn_17_32_kernelILj31E21rocsparse_complex_numIdEliS1_IfES2_S2_EEvT2_20rocsparse_direction_NS_24const_host_device_scalarIT0_EES4_PKS4_PKT1_SD_SA_PKT3_PKT4_S8_PT5_21rocsparse_index_base_b.has_recursion, 0
	.set _ZN9rocsparseL20bsrxmvn_17_32_kernelILj31E21rocsparse_complex_numIdEliS1_IfES2_S2_EEvT2_20rocsparse_direction_NS_24const_host_device_scalarIT0_EES4_PKS4_PKT1_SD_SA_PKT3_PKT4_S8_PT5_21rocsparse_index_base_b.has_indirect_call, 0
	.section	.AMDGPU.csdata,"",@progbits
; Kernel info:
; codeLenInByte = 1732
; TotalNumSgprs: 26
; NumVgprs: 30
; ScratchSize: 0
; MemoryBound: 0
; FloatMode: 240
; IeeeMode: 1
; LDSByteSize: 15376 bytes/workgroup (compile time only)
; SGPRBlocks: 8
; VGPRBlocks: 7
; NumSGPRsForWavesPerEU: 65
; NumVGPRsForWavesPerEU: 30
; Occupancy: 8
; WaveLimiterHint : 1
; COMPUTE_PGM_RSRC2:SCRATCH_EN: 0
; COMPUTE_PGM_RSRC2:USER_SGPR: 6
; COMPUTE_PGM_RSRC2:TRAP_HANDLER: 0
; COMPUTE_PGM_RSRC2:TGID_X_EN: 1
; COMPUTE_PGM_RSRC2:TGID_Y_EN: 0
; COMPUTE_PGM_RSRC2:TGID_Z_EN: 0
; COMPUTE_PGM_RSRC2:TIDIG_COMP_CNT: 0
	.section	.text._ZN9rocsparseL20bsrxmvn_17_32_kernelILj32E21rocsparse_complex_numIdEliS1_IfES2_S2_EEvT2_20rocsparse_direction_NS_24const_host_device_scalarIT0_EES4_PKS4_PKT1_SD_SA_PKT3_PKT4_S8_PT5_21rocsparse_index_base_b,"axG",@progbits,_ZN9rocsparseL20bsrxmvn_17_32_kernelILj32E21rocsparse_complex_numIdEliS1_IfES2_S2_EEvT2_20rocsparse_direction_NS_24const_host_device_scalarIT0_EES4_PKS4_PKT1_SD_SA_PKT3_PKT4_S8_PT5_21rocsparse_index_base_b,comdat
	.globl	_ZN9rocsparseL20bsrxmvn_17_32_kernelILj32E21rocsparse_complex_numIdEliS1_IfES2_S2_EEvT2_20rocsparse_direction_NS_24const_host_device_scalarIT0_EES4_PKS4_PKT1_SD_SA_PKT3_PKT4_S8_PT5_21rocsparse_index_base_b ; -- Begin function _ZN9rocsparseL20bsrxmvn_17_32_kernelILj32E21rocsparse_complex_numIdEliS1_IfES2_S2_EEvT2_20rocsparse_direction_NS_24const_host_device_scalarIT0_EES4_PKS4_PKT1_SD_SA_PKT3_PKT4_S8_PT5_21rocsparse_index_base_b
	.p2align	8
	.type	_ZN9rocsparseL20bsrxmvn_17_32_kernelILj32E21rocsparse_complex_numIdEliS1_IfES2_S2_EEvT2_20rocsparse_direction_NS_24const_host_device_scalarIT0_EES4_PKS4_PKT1_SD_SA_PKT3_PKT4_S8_PT5_21rocsparse_index_base_b,@function
_ZN9rocsparseL20bsrxmvn_17_32_kernelILj32E21rocsparse_complex_numIdEliS1_IfES2_S2_EEvT2_20rocsparse_direction_NS_24const_host_device_scalarIT0_EES4_PKS4_PKT1_SD_SA_PKT3_PKT4_S8_PT5_21rocsparse_index_base_b: ; @_ZN9rocsparseL20bsrxmvn_17_32_kernelILj32E21rocsparse_complex_numIdEliS1_IfES2_S2_EEvT2_20rocsparse_direction_NS_24const_host_device_scalarIT0_EES4_PKS4_PKT1_SD_SA_PKT3_PKT4_S8_PT5_21rocsparse_index_base_b
; %bb.0:
	s_load_dwordx2 s[0:1], s[4:5], 0x8
	s_load_dwordx2 s[8:9], s[4:5], 0x68
	s_add_u32 s7, s4, 8
	s_addc_u32 s10, s5, 0
	s_add_u32 s11, s4, 0x50
	s_addc_u32 s12, s5, 0
	s_waitcnt lgkmcnt(0)
	s_bitcmp1_b32 s9, 0
	s_cselect_b32 s1, s10, s1
	s_cselect_b32 s0, s7, s0
	v_mov_b32_e32 v1, s0
	v_mov_b32_e32 v2, s1
	flat_load_dwordx4 v[5:8], v[1:2]
	s_load_dwordx2 s[2:3], s[4:5], 0x50
	s_waitcnt lgkmcnt(0)
	s_cselect_b32 s0, s12, s3
	s_cselect_b32 s1, s11, s2
	v_mov_b32_e32 v1, s1
	v_mov_b32_e32 v2, s0
	flat_load_dwordx4 v[1:4], v[1:2]
	s_waitcnt vmcnt(0)
	v_cmp_eq_f64_e32 vcc, 0, v[5:6]
	v_cmp_eq_f64_e64 s[0:1], 0, v[7:8]
	s_and_b64 s[10:11], vcc, s[0:1]
	s_mov_b64 s[0:1], -1
	s_and_saveexec_b64 s[2:3], s[10:11]
	s_cbranch_execz .LBB559_2
; %bb.1:
	s_waitcnt lgkmcnt(0)
	v_cmp_neq_f64_e32 vcc, 1.0, v[1:2]
	v_cmp_neq_f64_e64 s[0:1], 0, v[3:4]
	s_or_b64 s[0:1], vcc, s[0:1]
	s_orn2_b64 s[0:1], s[0:1], exec
.LBB559_2:
	s_or_b64 exec, exec, s[2:3]
	s_and_saveexec_b64 s[2:3], s[0:1]
	s_cbranch_execz .LBB559_37
; %bb.3:
	s_load_dwordx4 s[0:3], s[4:5], 0x20
	s_load_dwordx2 s[12:13], s[4:5], 0x30
	s_waitcnt lgkmcnt(0)
	s_cmp_eq_u64 s[0:1], 0
	s_cbranch_scc1 .LBB559_5
; %bb.4:
	s_ashr_i32 s7, s6, 31
	s_lshl_b64 s[6:7], s[6:7], 2
	s_add_u32 s0, s0, s6
	s_addc_u32 s1, s1, s7
	s_load_dword s0, s[0:1], 0x0
	s_waitcnt lgkmcnt(0)
	s_sub_i32 s6, s0, s8
.LBB559_5:
	s_load_dword s7, s[4:5], 0x4
	v_mov_b32_e32 v11, 0
	v_and_b32_e32 v18, 31, v0
	v_mov_b32_e32 v12, 0
	s_waitcnt lgkmcnt(0)
	s_cmp_eq_u32 s7, 1
	s_cselect_b64 s[0:1], -1, 0
	s_cmp_lg_u32 s7, 1
	s_cselect_b64 s[10:11], -1, 0
	s_ashr_i32 s7, s6, 31
	s_lshl_b64 s[14:15], s[6:7], 3
	s_add_u32 s18, s2, s14
	s_addc_u32 s19, s3, s15
	s_add_u32 s2, s18, 8
	s_addc_u32 s3, s19, 0
	;; [unrolled: 2-line block ×3, first 2 shown]
	s_cmp_eq_u64 s[12:13], 0
	s_cselect_b32 s13, s3, s9
	s_cselect_b32 s12, s2, s7
	s_load_dwordx2 s[16:17], s[12:13], 0x0
	s_load_dwordx2 s[14:15], s[18:19], 0x0
	;; [unrolled: 1-line block ×3, first 2 shown]
	s_waitcnt lgkmcnt(0)
	v_mov_b32_e32 v9, s16
	v_mov_b32_e32 v10, s17
	v_cmp_ge_i64_e32 vcc, s[14:15], v[9:10]
	v_mov_b32_e32 v9, 0
	v_mov_b32_e32 v10, 0
	s_cbranch_vccnz .LBB559_8
; %bb.6:
	s_load_dwordx2 s[12:13], s[4:5], 0x48
	s_load_dwordx4 s[20:23], s[4:5], 0x38
	s_sub_u32 s16, s16, s8
	s_subb_u32 s17, s17, 0
	v_lshrrev_b32_e32 v9, 5, v0
	v_cndmask_b32_e64 v17, v18, v9, s[0:1]
	s_sub_u32 s0, s14, s8
	s_subb_u32 s1, s15, 0
	s_lshl_b64 s[4:5], s[0:1], 13
	s_waitcnt lgkmcnt(0)
	s_add_u32 s4, s22, s4
	s_mov_b32 s9, 0
	s_addc_u32 s5, s23, s5
	v_lshlrev_b32_e32 v9, 3, v0
	v_mov_b32_e32 v10, s5
	v_add_co_u32_e32 v13, vcc, s4, v9
	s_lshl_b64 s[4:5], s[14:15], 2
	s_lshl_b64 s[14:15], s[8:9], 2
	s_sub_u32 s4, s4, s14
	s_subb_u32 s5, s5, s15
	v_mov_b32_e32 v11, 0
	v_addc_co_u32_e32 v14, vcc, 0, v10, vcc
	s_add_u32 s4, s20, s4
	v_mov_b32_e32 v12, 0
	v_mov_b32_e32 v15, s16
	;; [unrolled: 1-line block ×3, first 2 shown]
	s_addc_u32 s5, s21, s5
	v_mov_b32_e32 v19, s13
	v_mov_b32_e32 v16, s17
	;; [unrolled: 1-line block ×3, first 2 shown]
.LBB559_7:                              ; =>This Inner Loop Header: Depth=1
	s_load_dword s7, s[4:5], 0x0
	global_load_dwordx2 v[24:25], v[13:14], off
	s_waitcnt lgkmcnt(0)
	s_sub_i32 s7, s7, s8
	v_lshl_or_b32 v20, s7, 5, v17
	v_ashrrev_i32_e32 v21, 31, v20
	v_lshlrev_b64 v[20:21], 4, v[20:21]
	s_add_u32 s0, s0, 1
	v_add_co_u32_e32 v20, vcc, s12, v20
	v_addc_co_u32_e32 v21, vcc, v19, v21, vcc
	global_load_dwordx4 v[20:23], v[20:21], off
	v_add_co_u32_e32 v13, vcc, 0x2000, v13
	v_addc_co_u32_e32 v14, vcc, 0, v14, vcc
	s_addc_u32 s1, s1, 0
	v_cmp_lt_i64_e32 vcc, s[0:1], v[15:16]
	s_add_u32 s4, s4, 4
	s_addc_u32 s5, s5, 0
	s_and_b64 vcc, exec, vcc
	s_waitcnt vmcnt(1)
	v_cvt_f64_f32_e32 v[26:27], v24
	v_cvt_f64_f32_e32 v[24:25], v25
	s_waitcnt vmcnt(0)
	v_fma_f64 v[9:10], v[26:27], v[20:21], v[9:10]
	v_fma_f64 v[11:12], v[24:25], v[20:21], v[11:12]
	v_fma_f64 v[9:10], -v[24:25], v[22:23], v[9:10]
	v_fma_f64 v[11:12], v[26:27], v[22:23], v[11:12]
	s_cbranch_vccnz .LBB559_7
.LBB559_8:
	v_lshlrev_b32_e32 v17, 4, v0
	s_and_b64 vcc, exec, s[10:11]
	ds_write_b128 v17, v[9:12]
	s_waitcnt lgkmcnt(0)
	s_barrier
	s_cbranch_vccz .LBB559_20
; %bb.9:
	v_cmp_gt_u32_e32 vcc, 16, v18
	s_and_saveexec_b64 s[0:1], vcc
	s_cbranch_execz .LBB559_11
; %bb.10:
	ds_read_b128 v[13:16], v17 offset:256
	ds_read_b128 v[19:22], v17
	s_waitcnt lgkmcnt(0)
	v_add_f64 v[13:14], v[13:14], v[19:20]
	v_add_f64 v[15:16], v[15:16], v[21:22]
	ds_write_b128 v17, v[13:16]
.LBB559_11:
	s_or_b64 exec, exec, s[0:1]
	v_cmp_gt_u32_e32 vcc, 8, v18
	s_waitcnt lgkmcnt(0)
	s_barrier
	s_and_saveexec_b64 s[0:1], vcc
	s_cbranch_execz .LBB559_13
; %bb.12:
	ds_read_b128 v[13:16], v17 offset:128
	ds_read_b128 v[19:22], v17
	s_waitcnt lgkmcnt(0)
	v_add_f64 v[13:14], v[13:14], v[19:20]
	v_add_f64 v[15:16], v[15:16], v[21:22]
	ds_write_b128 v17, v[13:16]
.LBB559_13:
	s_or_b64 exec, exec, s[0:1]
	v_cmp_gt_u32_e32 vcc, 4, v18
	s_waitcnt lgkmcnt(0)
	s_barrier
	;; [unrolled: 14-line block ×3, first 2 shown]
	s_and_saveexec_b64 s[0:1], vcc
	s_cbranch_execz .LBB559_17
; %bb.16:
	ds_read_b128 v[13:16], v17
	ds_read_b128 v[18:21], v17 offset:32
	s_waitcnt lgkmcnt(0)
	v_add_f64 v[13:14], v[18:19], v[13:14]
	v_add_f64 v[15:16], v[20:21], v[15:16]
	ds_write_b128 v17, v[13:16]
.LBB559_17:
	s_or_b64 exec, exec, s[0:1]
	v_mov_b32_e32 v16, v12
	v_mov_b32_e32 v14, v10
	v_cmp_gt_u32_e32 vcc, 32, v0
	v_mov_b32_e32 v15, v11
	v_mov_b32_e32 v13, v9
	s_waitcnt lgkmcnt(0)
	s_barrier
	s_and_saveexec_b64 s[0:1], vcc
	s_cbranch_execz .LBB559_19
; %bb.18:
	s_movk_i32 s4, 0x1f0
	v_mad_u32_u24 v18, v0, s4, v17
	ds_read_b128 v[13:16], v18
	ds_read_b128 v[18:21], v18 offset:16
	s_waitcnt lgkmcnt(0)
	v_add_f64 v[13:14], v[18:19], v[13:14]
	v_add_f64 v[15:16], v[20:21], v[15:16]
.LBB559_19:
	s_or_b64 exec, exec, s[0:1]
	s_branch .LBB559_32
.LBB559_20:
                                        ; implicit-def: $vgpr15_vgpr16
                                        ; implicit-def: $vgpr13_vgpr14
	s_cbranch_execz .LBB559_32
; %bb.21:
	s_movk_i32 s0, 0x200
	v_cmp_gt_u32_e32 vcc, s0, v0
	s_and_saveexec_b64 s[0:1], vcc
	s_cbranch_execz .LBB559_23
; %bb.22:
	ds_read_b128 v[13:16], v17 offset:8192
	ds_read_b128 v[18:21], v17
	s_waitcnt lgkmcnt(0)
	v_add_f64 v[13:14], v[13:14], v[18:19]
	v_add_f64 v[15:16], v[15:16], v[20:21]
	ds_write_b128 v17, v[13:16]
.LBB559_23:
	s_or_b64 exec, exec, s[0:1]
	s_movk_i32 s0, 0x100
	v_cmp_gt_u32_e32 vcc, s0, v0
	s_waitcnt lgkmcnt(0)
	s_barrier
	s_and_saveexec_b64 s[0:1], vcc
	s_cbranch_execz .LBB559_25
; %bb.24:
	ds_read_b128 v[13:16], v17 offset:4096
	ds_read_b128 v[18:21], v17
	s_waitcnt lgkmcnt(0)
	v_add_f64 v[13:14], v[13:14], v[18:19]
	v_add_f64 v[15:16], v[15:16], v[20:21]
	ds_write_b128 v17, v[13:16]
.LBB559_25:
	s_or_b64 exec, exec, s[0:1]
	s_movk_i32 s0, 0x80
	v_cmp_gt_u32_e32 vcc, s0, v0
	s_waitcnt lgkmcnt(0)
	s_barrier
	s_and_saveexec_b64 s[0:1], vcc
	s_cbranch_execz .LBB559_27
; %bb.26:
	ds_read_b128 v[13:16], v17 offset:2048
	ds_read_b128 v[18:21], v17
	s_waitcnt lgkmcnt(0)
	v_add_f64 v[13:14], v[13:14], v[18:19]
	v_add_f64 v[15:16], v[15:16], v[20:21]
	ds_write_b128 v17, v[13:16]
.LBB559_27:
	s_or_b64 exec, exec, s[0:1]
	v_cmp_gt_u32_e32 vcc, 64, v0
	s_waitcnt lgkmcnt(0)
	s_barrier
	s_and_saveexec_b64 s[0:1], vcc
	s_cbranch_execz .LBB559_29
; %bb.28:
	ds_read_b128 v[13:16], v17 offset:1024
	ds_read_b128 v[18:21], v17
	s_waitcnt lgkmcnt(0)
	v_add_f64 v[13:14], v[13:14], v[18:19]
	v_add_f64 v[15:16], v[15:16], v[20:21]
	ds_write_b128 v17, v[13:16]
.LBB559_29:
	s_or_b64 exec, exec, s[0:1]
	v_cmp_gt_u32_e32 vcc, 32, v0
	s_waitcnt lgkmcnt(0)
	s_and_saveexec_b64 s[0:1], vcc
	s_cbranch_execz .LBB559_31
; %bb.30:
	ds_read_b128 v[9:12], v17 offset:512
	ds_read_b128 v[13:16], v17
	s_waitcnt lgkmcnt(0)
	v_add_f64 v[9:10], v[9:10], v[13:14]
	v_add_f64 v[11:12], v[11:12], v[15:16]
.LBB559_31:
	s_or_b64 exec, exec, s[0:1]
	v_mov_b32_e32 v16, v12
	v_mov_b32_e32 v14, v10
	;; [unrolled: 1-line block ×4, first 2 shown]
.LBB559_32:
	v_cmp_gt_u32_e32 vcc, 32, v0
	s_and_b64 exec, exec, vcc
	s_cbranch_execz .LBB559_37
; %bb.33:
	v_mul_f64 v[9:10], v[15:16], -v[7:8]
	v_mul_f64 v[11:12], v[5:6], v[15:16]
	v_cmp_eq_f64_e32 vcc, 0, v[1:2]
	v_cmp_eq_f64_e64 s[0:1], 0, v[3:4]
	v_fma_f64 v[5:6], v[5:6], v[13:14], v[9:10]
	v_fma_f64 v[7:8], v[7:8], v[13:14], v[11:12]
	v_lshl_or_b32 v9, s6, 5, v0
	s_and_b64 s[0:1], vcc, s[0:1]
	s_and_saveexec_b64 s[4:5], s[0:1]
	s_xor_b64 s[0:1], exec, s[4:5]
	s_cbranch_execz .LBB559_35
; %bb.34:
	v_mov_b32_e32 v10, 0
	v_lshlrev_b64 v[0:1], 4, v[9:10]
	v_mov_b32_e32 v2, s3
	v_add_co_u32_e32 v0, vcc, s2, v0
	v_addc_co_u32_e32 v1, vcc, v2, v1, vcc
	global_store_dwordx4 v[0:1], v[5:8], off
                                        ; implicit-def: $vgpr9
                                        ; implicit-def: $vgpr1_vgpr2
                                        ; implicit-def: $vgpr5_vgpr6
.LBB559_35:
	s_andn2_saveexec_b64 s[0:1], s[0:1]
	s_cbranch_execz .LBB559_37
; %bb.36:
	v_mov_b32_e32 v10, 0
	v_lshlrev_b64 v[9:10], 4, v[9:10]
	v_mov_b32_e32 v0, s3
	v_add_co_u32_e32 v13, vcc, s2, v9
	v_addc_co_u32_e32 v14, vcc, v0, v10, vcc
	global_load_dwordx4 v[9:12], v[13:14], off
	s_waitcnt vmcnt(0)
	v_fma_f64 v[5:6], v[1:2], v[9:10], v[5:6]
	v_fma_f64 v[7:8], v[3:4], v[9:10], v[7:8]
	v_fma_f64 v[3:4], -v[3:4], v[11:12], v[5:6]
	v_fma_f64 v[5:6], v[1:2], v[11:12], v[7:8]
	global_store_dwordx4 v[13:14], v[3:6], off
.LBB559_37:
	s_endpgm
	.section	.rodata,"a",@progbits
	.p2align	6, 0x0
	.amdhsa_kernel _ZN9rocsparseL20bsrxmvn_17_32_kernelILj32E21rocsparse_complex_numIdEliS1_IfES2_S2_EEvT2_20rocsparse_direction_NS_24const_host_device_scalarIT0_EES4_PKS4_PKT1_SD_SA_PKT3_PKT4_S8_PT5_21rocsparse_index_base_b
		.amdhsa_group_segment_fixed_size 16384
		.amdhsa_private_segment_fixed_size 0
		.amdhsa_kernarg_size 112
		.amdhsa_user_sgpr_count 6
		.amdhsa_user_sgpr_private_segment_buffer 1
		.amdhsa_user_sgpr_dispatch_ptr 0
		.amdhsa_user_sgpr_queue_ptr 0
		.amdhsa_user_sgpr_kernarg_segment_ptr 1
		.amdhsa_user_sgpr_dispatch_id 0
		.amdhsa_user_sgpr_flat_scratch_init 0
		.amdhsa_user_sgpr_private_segment_size 0
		.amdhsa_uses_dynamic_stack 0
		.amdhsa_system_sgpr_private_segment_wavefront_offset 0
		.amdhsa_system_sgpr_workgroup_id_x 1
		.amdhsa_system_sgpr_workgroup_id_y 0
		.amdhsa_system_sgpr_workgroup_id_z 0
		.amdhsa_system_sgpr_workgroup_info 0
		.amdhsa_system_vgpr_workitem_id 0
		.amdhsa_next_free_vgpr 29
		.amdhsa_next_free_sgpr 61
		.amdhsa_reserve_vcc 1
		.amdhsa_reserve_flat_scratch 0
		.amdhsa_float_round_mode_32 0
		.amdhsa_float_round_mode_16_64 0
		.amdhsa_float_denorm_mode_32 3
		.amdhsa_float_denorm_mode_16_64 3
		.amdhsa_dx10_clamp 1
		.amdhsa_ieee_mode 1
		.amdhsa_fp16_overflow 0
		.amdhsa_exception_fp_ieee_invalid_op 0
		.amdhsa_exception_fp_denorm_src 0
		.amdhsa_exception_fp_ieee_div_zero 0
		.amdhsa_exception_fp_ieee_overflow 0
		.amdhsa_exception_fp_ieee_underflow 0
		.amdhsa_exception_fp_ieee_inexact 0
		.amdhsa_exception_int_div_zero 0
	.end_amdhsa_kernel
	.section	.text._ZN9rocsparseL20bsrxmvn_17_32_kernelILj32E21rocsparse_complex_numIdEliS1_IfES2_S2_EEvT2_20rocsparse_direction_NS_24const_host_device_scalarIT0_EES4_PKS4_PKT1_SD_SA_PKT3_PKT4_S8_PT5_21rocsparse_index_base_b,"axG",@progbits,_ZN9rocsparseL20bsrxmvn_17_32_kernelILj32E21rocsparse_complex_numIdEliS1_IfES2_S2_EEvT2_20rocsparse_direction_NS_24const_host_device_scalarIT0_EES4_PKS4_PKT1_SD_SA_PKT3_PKT4_S8_PT5_21rocsparse_index_base_b,comdat
.Lfunc_end559:
	.size	_ZN9rocsparseL20bsrxmvn_17_32_kernelILj32E21rocsparse_complex_numIdEliS1_IfES2_S2_EEvT2_20rocsparse_direction_NS_24const_host_device_scalarIT0_EES4_PKS4_PKT1_SD_SA_PKT3_PKT4_S8_PT5_21rocsparse_index_base_b, .Lfunc_end559-_ZN9rocsparseL20bsrxmvn_17_32_kernelILj32E21rocsparse_complex_numIdEliS1_IfES2_S2_EEvT2_20rocsparse_direction_NS_24const_host_device_scalarIT0_EES4_PKS4_PKT1_SD_SA_PKT3_PKT4_S8_PT5_21rocsparse_index_base_b
                                        ; -- End function
	.set _ZN9rocsparseL20bsrxmvn_17_32_kernelILj32E21rocsparse_complex_numIdEliS1_IfES2_S2_EEvT2_20rocsparse_direction_NS_24const_host_device_scalarIT0_EES4_PKS4_PKT1_SD_SA_PKT3_PKT4_S8_PT5_21rocsparse_index_base_b.num_vgpr, 28
	.set _ZN9rocsparseL20bsrxmvn_17_32_kernelILj32E21rocsparse_complex_numIdEliS1_IfES2_S2_EEvT2_20rocsparse_direction_NS_24const_host_device_scalarIT0_EES4_PKS4_PKT1_SD_SA_PKT3_PKT4_S8_PT5_21rocsparse_index_base_b.num_agpr, 0
	.set _ZN9rocsparseL20bsrxmvn_17_32_kernelILj32E21rocsparse_complex_numIdEliS1_IfES2_S2_EEvT2_20rocsparse_direction_NS_24const_host_device_scalarIT0_EES4_PKS4_PKT1_SD_SA_PKT3_PKT4_S8_PT5_21rocsparse_index_base_b.numbered_sgpr, 24
	.set _ZN9rocsparseL20bsrxmvn_17_32_kernelILj32E21rocsparse_complex_numIdEliS1_IfES2_S2_EEvT2_20rocsparse_direction_NS_24const_host_device_scalarIT0_EES4_PKS4_PKT1_SD_SA_PKT3_PKT4_S8_PT5_21rocsparse_index_base_b.num_named_barrier, 0
	.set _ZN9rocsparseL20bsrxmvn_17_32_kernelILj32E21rocsparse_complex_numIdEliS1_IfES2_S2_EEvT2_20rocsparse_direction_NS_24const_host_device_scalarIT0_EES4_PKS4_PKT1_SD_SA_PKT3_PKT4_S8_PT5_21rocsparse_index_base_b.private_seg_size, 0
	.set _ZN9rocsparseL20bsrxmvn_17_32_kernelILj32E21rocsparse_complex_numIdEliS1_IfES2_S2_EEvT2_20rocsparse_direction_NS_24const_host_device_scalarIT0_EES4_PKS4_PKT1_SD_SA_PKT3_PKT4_S8_PT5_21rocsparse_index_base_b.uses_vcc, 1
	.set _ZN9rocsparseL20bsrxmvn_17_32_kernelILj32E21rocsparse_complex_numIdEliS1_IfES2_S2_EEvT2_20rocsparse_direction_NS_24const_host_device_scalarIT0_EES4_PKS4_PKT1_SD_SA_PKT3_PKT4_S8_PT5_21rocsparse_index_base_b.uses_flat_scratch, 0
	.set _ZN9rocsparseL20bsrxmvn_17_32_kernelILj32E21rocsparse_complex_numIdEliS1_IfES2_S2_EEvT2_20rocsparse_direction_NS_24const_host_device_scalarIT0_EES4_PKS4_PKT1_SD_SA_PKT3_PKT4_S8_PT5_21rocsparse_index_base_b.has_dyn_sized_stack, 0
	.set _ZN9rocsparseL20bsrxmvn_17_32_kernelILj32E21rocsparse_complex_numIdEliS1_IfES2_S2_EEvT2_20rocsparse_direction_NS_24const_host_device_scalarIT0_EES4_PKS4_PKT1_SD_SA_PKT3_PKT4_S8_PT5_21rocsparse_index_base_b.has_recursion, 0
	.set _ZN9rocsparseL20bsrxmvn_17_32_kernelILj32E21rocsparse_complex_numIdEliS1_IfES2_S2_EEvT2_20rocsparse_direction_NS_24const_host_device_scalarIT0_EES4_PKS4_PKT1_SD_SA_PKT3_PKT4_S8_PT5_21rocsparse_index_base_b.has_indirect_call, 0
	.section	.AMDGPU.csdata,"",@progbits
; Kernel info:
; codeLenInByte = 1584
; TotalNumSgprs: 28
; NumVgprs: 28
; ScratchSize: 0
; MemoryBound: 0
; FloatMode: 240
; IeeeMode: 1
; LDSByteSize: 16384 bytes/workgroup (compile time only)
; SGPRBlocks: 8
; VGPRBlocks: 7
; NumSGPRsForWavesPerEU: 65
; NumVGPRsForWavesPerEU: 29
; Occupancy: 8
; WaveLimiterHint : 1
; COMPUTE_PGM_RSRC2:SCRATCH_EN: 0
; COMPUTE_PGM_RSRC2:USER_SGPR: 6
; COMPUTE_PGM_RSRC2:TRAP_HANDLER: 0
; COMPUTE_PGM_RSRC2:TGID_X_EN: 1
; COMPUTE_PGM_RSRC2:TGID_Y_EN: 0
; COMPUTE_PGM_RSRC2:TGID_Z_EN: 0
; COMPUTE_PGM_RSRC2:TIDIG_COMP_CNT: 0
	.section	.text._ZN9rocsparseL20bsrxmvn_17_32_kernelILj17E21rocsparse_complex_numIdEllS1_IfES2_S2_EEvT2_20rocsparse_direction_NS_24const_host_device_scalarIT0_EES4_PKS4_PKT1_SD_SA_PKT3_PKT4_S8_PT5_21rocsparse_index_base_b,"axG",@progbits,_ZN9rocsparseL20bsrxmvn_17_32_kernelILj17E21rocsparse_complex_numIdEllS1_IfES2_S2_EEvT2_20rocsparse_direction_NS_24const_host_device_scalarIT0_EES4_PKS4_PKT1_SD_SA_PKT3_PKT4_S8_PT5_21rocsparse_index_base_b,comdat
	.globl	_ZN9rocsparseL20bsrxmvn_17_32_kernelILj17E21rocsparse_complex_numIdEllS1_IfES2_S2_EEvT2_20rocsparse_direction_NS_24const_host_device_scalarIT0_EES4_PKS4_PKT1_SD_SA_PKT3_PKT4_S8_PT5_21rocsparse_index_base_b ; -- Begin function _ZN9rocsparseL20bsrxmvn_17_32_kernelILj17E21rocsparse_complex_numIdEllS1_IfES2_S2_EEvT2_20rocsparse_direction_NS_24const_host_device_scalarIT0_EES4_PKS4_PKT1_SD_SA_PKT3_PKT4_S8_PT5_21rocsparse_index_base_b
	.p2align	8
	.type	_ZN9rocsparseL20bsrxmvn_17_32_kernelILj17E21rocsparse_complex_numIdEllS1_IfES2_S2_EEvT2_20rocsparse_direction_NS_24const_host_device_scalarIT0_EES4_PKS4_PKT1_SD_SA_PKT3_PKT4_S8_PT5_21rocsparse_index_base_b,@function
_ZN9rocsparseL20bsrxmvn_17_32_kernelILj17E21rocsparse_complex_numIdEllS1_IfES2_S2_EEvT2_20rocsparse_direction_NS_24const_host_device_scalarIT0_EES4_PKS4_PKT1_SD_SA_PKT3_PKT4_S8_PT5_21rocsparse_index_base_b: ; @_ZN9rocsparseL20bsrxmvn_17_32_kernelILj17E21rocsparse_complex_numIdEllS1_IfES2_S2_EEvT2_20rocsparse_direction_NS_24const_host_device_scalarIT0_EES4_PKS4_PKT1_SD_SA_PKT3_PKT4_S8_PT5_21rocsparse_index_base_b
; %bb.0:
	s_load_dwordx2 s[0:1], s[4:5], 0x10
	s_load_dwordx2 s[14:15], s[4:5], 0x70
	s_add_u32 s7, s4, 16
	s_addc_u32 s8, s5, 0
	s_add_u32 s9, s4, 0x58
	s_addc_u32 s10, s5, 0
	s_waitcnt lgkmcnt(0)
	s_bitcmp1_b32 s15, 0
	s_cselect_b32 s1, s8, s1
	s_cselect_b32 s0, s7, s0
	v_mov_b32_e32 v1, s0
	v_mov_b32_e32 v2, s1
	flat_load_dwordx4 v[5:8], v[1:2]
	s_load_dwordx2 s[2:3], s[4:5], 0x58
	s_waitcnt lgkmcnt(0)
	s_cselect_b32 s0, s10, s3
	s_cselect_b32 s1, s9, s2
	v_mov_b32_e32 v1, s1
	v_mov_b32_e32 v2, s0
	flat_load_dwordx4 v[1:4], v[1:2]
	s_waitcnt vmcnt(0)
	v_cmp_eq_f64_e32 vcc, 0, v[5:6]
	v_cmp_eq_f64_e64 s[0:1], 0, v[7:8]
	s_and_b64 s[8:9], vcc, s[0:1]
	s_mov_b64 s[0:1], -1
	s_and_saveexec_b64 s[2:3], s[8:9]
	s_cbranch_execz .LBB560_2
; %bb.1:
	s_waitcnt lgkmcnt(0)
	v_cmp_neq_f64_e32 vcc, 1.0, v[1:2]
	v_cmp_neq_f64_e64 s[0:1], 0, v[3:4]
	s_or_b64 s[0:1], vcc, s[0:1]
	s_orn2_b64 s[0:1], s[0:1], exec
.LBB560_2:
	s_or_b64 exec, exec, s[2:3]
	s_and_saveexec_b64 s[2:3], s[0:1]
	s_cbranch_execz .LBB560_39
; %bb.3:
	s_load_dwordx4 s[0:3], s[4:5], 0x28
	s_load_dwordx2 s[8:9], s[4:5], 0x38
	s_mov_b32 s7, 0
	s_waitcnt lgkmcnt(0)
	s_cmp_eq_u64 s[0:1], 0
	s_cbranch_scc1 .LBB560_5
; %bb.4:
	s_lshl_b64 s[6:7], s[6:7], 3
	s_add_u32 s0, s0, s6
	s_addc_u32 s1, s1, s7
	s_load_dwordx2 s[0:1], s[0:1], 0x0
	s_waitcnt lgkmcnt(0)
	s_sub_u32 s6, s0, s14
	s_subb_u32 s7, s1, 0
.LBB560_5:
	s_load_dword s10, s[4:5], 0x8
	s_load_dwordx2 s[12:13], s[4:5], 0x68
	v_mul_u32_u24_e32 v13, 0xf10, v0
	v_mov_b32_e32 v9, 17
	v_mul_lo_u16_sdwa v9, v13, v9 dst_sel:DWORD dst_unused:UNUSED_PAD src0_sel:WORD_1 src1_sel:DWORD
	s_waitcnt lgkmcnt(0)
	s_cmp_eq_u32 s10, 1
	s_cselect_b64 s[0:1], -1, 0
	s_cmp_lg_u32 s10, 1
	s_cselect_b64 s[16:17], -1, 0
	s_lshl_b64 s[10:11], s[6:7], 3
	s_add_u32 s20, s2, s10
	s_addc_u32 s21, s3, s11
	s_add_u32 s2, s20, 8
	s_addc_u32 s3, s21, 0
	s_add_u32 s10, s8, s10
	s_addc_u32 s11, s9, s11
	s_cmp_eq_u64 s[8:9], 0
	s_cselect_b32 s9, s3, s11
	s_cselect_b32 s8, s2, s10
	s_load_dwordx2 s[2:3], s[8:9], 0x0
	s_load_dwordx2 s[18:19], s[20:21], 0x0
	v_sub_u16_e32 v21, v0, v9
	v_mov_b32_e32 v11, 0
	v_mov_b32_e32 v12, 0
	s_waitcnt lgkmcnt(0)
	v_mov_b32_e32 v10, s3
	v_mov_b32_e32 v9, s2
	v_cmp_ge_i64_e32 vcc, s[18:19], v[9:10]
	v_mov_b32_e32 v9, 0
	v_mov_b32_e32 v10, 0
	s_cbranch_vccnz .LBB560_10
; %bb.6:
	v_mov_b32_e32 v9, 31
	v_mul_lo_u16_sdwa v9, v13, v9 dst_sel:DWORD dst_unused:UNUSED_PAD src0_sel:WORD_1 src1_sel:DWORD
	v_lshrrev_b16_e32 v9, 9, v9
	v_mul_lo_u16_e32 v9, 17, v9
	s_sub_u32 s2, s2, s14
	s_load_dwordx2 s[20:21], s[4:5], 0x50
	s_load_dwordx4 s[8:11], s[4:5], 0x40
	v_sub_u16_sdwa v9, v13, v9 dst_sel:DWORD dst_unused:UNUSED_PAD src0_sel:WORD_1 src1_sel:DWORD
	s_subb_u32 s3, s3, 0
	v_and_b32_e32 v9, 0xff, v9
	s_sub_u32 s4, s18, s14
	v_cndmask_b32_e64 v9, v21, v9, s[0:1]
	s_subb_u32 s5, s19, 0
	v_lshlrev_b32_e32 v9, 4, v9
	s_mul_i32 s0, s5, 0x908
	s_mul_hi_u32 s1, s4, 0x908
	s_waitcnt lgkmcnt(0)
	v_mov_b32_e32 v10, s21
	v_add_co_u32_e32 v13, vcc, s20, v9
	s_add_i32 s1, s1, s0
	s_mul_i32 s0, s4, 0x908
	v_addc_co_u32_e32 v14, vcc, 0, v10, vcc
	s_add_u32 s0, s10, s0
	v_lshlrev_b32_e32 v9, 3, v0
	s_addc_u32 s1, s11, s1
	v_add_co_u32_e32 v15, vcc, s0, v9
	s_movk_i32 s0, 0xe3
	v_mov_b32_e32 v10, s1
	v_mul_u32_u24_sdwa v9, v0, s0 dst_sel:DWORD dst_unused:UNUSED_PAD src0_sel:WORD_0 src1_sel:DWORD
	v_addc_co_u32_e32 v16, vcc, 0, v10, vcc
	v_lshrrev_b32_e32 v22, 16, v9
	v_mov_b32_e32 v9, s19
	v_add_co_u32_e32 v10, vcc, s18, v22
	v_addc_co_u32_e32 v11, vcc, 0, v9, vcc
	v_subrev_co_u32_e32 v9, vcc, s14, v10
	v_subbrev_co_u32_e32 v10, vcc, 0, v11, vcc
	v_lshlrev_b64 v[9:10], 3, v[9:10]
	v_mov_b32_e32 v11, s9
	v_add_co_u32_e32 v17, vcc, s8, v9
	v_addc_co_u32_e32 v18, vcc, v11, v10, vcc
	v_mov_b32_e32 v11, 0
	v_mov_b32_e32 v12, 0
	;; [unrolled: 1-line block ×4, first 2 shown]
	s_movk_i32 s8, 0x110
	v_mov_b32_e32 v19, s2
	v_mov_b32_e32 v10, v12
	s_branch .LBB560_8
.LBB560_7:                              ;   in Loop: Header=BB560_8 Depth=1
	s_or_b64 exec, exec, s[0:1]
	s_add_u32 s4, s4, 1
	s_addc_u32 s5, s5, 0
	v_cmp_lt_i64_e32 vcc, s[4:5], v[19:20]
	v_add_co_u32_e64 v17, s[0:1], 8, v17
	v_addc_co_u32_e64 v18, s[0:1], 0, v18, s[0:1]
	s_cbranch_vccz .LBB560_10
.LBB560_8:                              ; =>This Inner Loop Header: Depth=1
	v_mov_b32_e32 v24, s5
	v_add_co_u32_e32 v23, vcc, s4, v22
	v_addc_co_u32_e32 v24, vcc, 0, v24, vcc
	v_cmp_gt_i64_e32 vcc, s[2:3], v[23:24]
	s_and_saveexec_b64 s[0:1], vcc
	s_cbranch_execz .LBB560_7
; %bb.9:                                ;   in Loop: Header=BB560_8 Depth=1
	global_load_dwordx2 v[23:24], v[17:18], off
	s_waitcnt vmcnt(0)
	v_subrev_co_u32_e32 v23, vcc, s14, v23
	v_subbrev_co_u32_e32 v25, vcc, 0, v24, vcc
	v_mad_u64_u32 v[23:24], s[10:11], v23, s8, v[13:14]
	v_mad_u64_u32 v[24:25], s[10:11], v25, s8, v[24:25]
	global_load_dwordx2 v[27:28], v[15:16], off
	s_nop 0
	global_load_dwordx4 v[23:26], v[23:24], off
	v_add_co_u32_e32 v15, vcc, 0x908, v15
	v_addc_co_u32_e32 v16, vcc, 0, v16, vcc
	s_waitcnt vmcnt(1)
	v_cvt_f64_f32_e32 v[29:30], v27
	v_cvt_f64_f32_e32 v[27:28], v28
	s_waitcnt vmcnt(0)
	v_fma_f64 v[9:10], v[29:30], v[23:24], v[9:10]
	v_fma_f64 v[11:12], v[27:28], v[23:24], v[11:12]
	v_fma_f64 v[9:10], -v[27:28], v[25:26], v[9:10]
	v_fma_f64 v[11:12], v[29:30], v[25:26], v[11:12]
	s_branch .LBB560_7
.LBB560_10:
	v_lshlrev_b32_e32 v17, 4, v0
	s_and_b64 vcc, exec, s[16:17]
	ds_write_b128 v17, v[9:12]
	s_waitcnt lgkmcnt(0)
	s_barrier
	s_cbranch_vccz .LBB560_22
; %bb.11:
	v_cmp_eq_u16_e32 vcc, 0, v21
	s_and_saveexec_b64 s[0:1], vcc
	s_cbranch_execz .LBB560_13
; %bb.12:
	ds_read_b128 v[13:16], v17 offset:256
	ds_read_b128 v[22:25], v17
	s_waitcnt lgkmcnt(0)
	v_add_f64 v[13:14], v[13:14], v[22:23]
	v_add_f64 v[15:16], v[15:16], v[24:25]
	ds_write_b128 v17, v[13:16]
.LBB560_13:
	s_or_b64 exec, exec, s[0:1]
	v_cmp_gt_u16_e32 vcc, 8, v21
	s_waitcnt lgkmcnt(0)
	s_barrier
	s_and_saveexec_b64 s[0:1], vcc
	s_cbranch_execz .LBB560_15
; %bb.14:
	ds_read_b128 v[13:16], v17 offset:128
	ds_read_b128 v[22:25], v17
	s_waitcnt lgkmcnt(0)
	v_add_f64 v[13:14], v[13:14], v[22:23]
	v_add_f64 v[15:16], v[15:16], v[24:25]
	ds_write_b128 v17, v[13:16]
.LBB560_15:
	s_or_b64 exec, exec, s[0:1]
	v_cmp_gt_u16_e32 vcc, 4, v21
	s_waitcnt lgkmcnt(0)
	s_barrier
	;; [unrolled: 14-line block ×3, first 2 shown]
	s_and_saveexec_b64 s[0:1], vcc
	s_cbranch_execz .LBB560_19
; %bb.18:
	ds_read_b128 v[13:16], v17
	ds_read_b128 v[18:21], v17 offset:32
	s_waitcnt lgkmcnt(0)
	v_add_f64 v[13:14], v[18:19], v[13:14]
	v_add_f64 v[15:16], v[20:21], v[15:16]
	ds_write_b128 v17, v[13:16]
.LBB560_19:
	s_or_b64 exec, exec, s[0:1]
	v_mov_b32_e32 v16, v12
	v_mov_b32_e32 v14, v10
	v_cmp_gt_u32_e32 vcc, 17, v0
	v_mov_b32_e32 v15, v11
	v_mov_b32_e32 v13, v9
	s_waitcnt lgkmcnt(0)
	s_barrier
	s_and_saveexec_b64 s[0:1], vcc
	s_cbranch_execz .LBB560_21
; %bb.20:
	v_lshl_add_u32 v18, v0, 8, v17
	ds_read_b128 v[13:16], v18
	ds_read_b128 v[18:21], v18 offset:16
	s_waitcnt lgkmcnt(0)
	v_add_f64 v[13:14], v[18:19], v[13:14]
	v_add_f64 v[15:16], v[20:21], v[15:16]
.LBB560_21:
	s_or_b64 exec, exec, s[0:1]
	v_cmp_gt_u32_e64 s[0:1], 17, v0
	s_branch .LBB560_34
.LBB560_22:
                                        ; implicit-def: $vgpr15_vgpr16
                                        ; implicit-def: $vgpr13_vgpr14
	v_cmp_gt_u32_e64 s[0:1], 17, v0
	s_cbranch_execz .LBB560_34
; %bb.23:
	s_and_saveexec_b64 s[2:3], s[0:1]
	s_cbranch_execz .LBB560_25
; %bb.24:
	ds_read_b128 v[13:16], v17 offset:4352
	ds_read_b128 v[18:21], v17
	s_waitcnt lgkmcnt(0)
	v_add_f64 v[13:14], v[13:14], v[18:19]
	v_add_f64 v[15:16], v[15:16], v[20:21]
	ds_write_b128 v17, v[13:16]
.LBB560_25:
	s_or_b64 exec, exec, s[2:3]
	s_movk_i32 s2, 0x88
	v_cmp_gt_u32_e32 vcc, s2, v0
	s_waitcnt lgkmcnt(0)
	s_barrier
	s_and_saveexec_b64 s[2:3], vcc
	s_cbranch_execz .LBB560_27
; %bb.26:
	ds_read_b128 v[13:16], v17 offset:2176
	ds_read_b128 v[18:21], v17
	s_waitcnt lgkmcnt(0)
	v_add_f64 v[13:14], v[13:14], v[18:19]
	v_add_f64 v[15:16], v[15:16], v[20:21]
	ds_write_b128 v17, v[13:16]
.LBB560_27:
	s_or_b64 exec, exec, s[2:3]
	s_movk_i32 s2, 0x44
	v_cmp_gt_u32_e32 vcc, s2, v0
	s_waitcnt lgkmcnt(0)
	s_barrier
	s_and_saveexec_b64 s[2:3], vcc
	s_cbranch_execz .LBB560_29
; %bb.28:
	ds_read_b128 v[13:16], v17 offset:1088
	ds_read_b128 v[18:21], v17
	s_waitcnt lgkmcnt(0)
	v_add_f64 v[13:14], v[13:14], v[18:19]
	v_add_f64 v[15:16], v[15:16], v[20:21]
	ds_write_b128 v17, v[13:16]
.LBB560_29:
	s_or_b64 exec, exec, s[2:3]
	v_cmp_gt_u32_e32 vcc, 34, v0
	s_waitcnt lgkmcnt(0)
	s_barrier
	s_and_saveexec_b64 s[2:3], vcc
	s_cbranch_execz .LBB560_31
; %bb.30:
	ds_read_b128 v[13:16], v17 offset:544
	ds_read_b128 v[18:21], v17
	s_waitcnt lgkmcnt(0)
	v_add_f64 v[13:14], v[13:14], v[18:19]
	v_add_f64 v[15:16], v[15:16], v[20:21]
	ds_write_b128 v17, v[13:16]
.LBB560_31:
	s_or_b64 exec, exec, s[2:3]
	s_waitcnt lgkmcnt(0)
	s_and_saveexec_b64 s[2:3], s[0:1]
	s_cbranch_execz .LBB560_33
; %bb.32:
	ds_read_b128 v[9:12], v17 offset:272
	ds_read_b128 v[13:16], v17
	s_waitcnt lgkmcnt(0)
	v_add_f64 v[9:10], v[9:10], v[13:14]
	v_add_f64 v[11:12], v[11:12], v[15:16]
.LBB560_33:
	s_or_b64 exec, exec, s[2:3]
	v_mov_b32_e32 v16, v12
	v_mov_b32_e32 v14, v10
	;; [unrolled: 1-line block ×4, first 2 shown]
.LBB560_34:
	v_cmp_gt_u32_e32 vcc, 17, v0
	s_and_b64 exec, exec, vcc
	s_cbranch_execz .LBB560_39
; %bb.35:
	v_mul_f64 v[9:10], v[15:16], -v[7:8]
	v_mul_f64 v[11:12], v[5:6], v[15:16]
	v_cmp_eq_f64_e32 vcc, 0, v[1:2]
	v_cmp_eq_f64_e64 s[0:1], 0, v[3:4]
	s_mul_i32 s2, s7, 0x110
	s_mul_hi_u32 s3, s6, 0x110
	s_mul_i32 s4, s6, 0x110
	v_fma_f64 v[5:6], v[5:6], v[13:14], v[9:10]
	v_fma_f64 v[7:8], v[7:8], v[13:14], v[11:12]
	s_and_b64 s[0:1], vcc, s[0:1]
	s_and_saveexec_b64 s[6:7], s[0:1]
	s_xor_b64 s[0:1], exec, s[6:7]
	s_cbranch_execz .LBB560_37
; %bb.36:
	s_add_i32 s5, s3, s2
	s_add_u32 s6, s12, s4
	s_addc_u32 s7, s13, s5
	global_store_dwordx4 v17, v[5:8], s[6:7]
                                        ; implicit-def: $vgpr17
                                        ; implicit-def: $vgpr1_vgpr2
                                        ; implicit-def: $vgpr5_vgpr6
.LBB560_37:
	s_andn2_saveexec_b64 s[0:1], s[0:1]
	s_cbranch_execz .LBB560_39
; %bb.38:
	s_add_i32 s3, s3, s2
	s_add_u32 s0, s12, s4
	s_addc_u32 s1, s13, s3
	global_load_dwordx4 v[9:12], v17, s[0:1]
	s_waitcnt vmcnt(0)
	v_fma_f64 v[5:6], v[1:2], v[9:10], v[5:6]
	v_fma_f64 v[7:8], v[3:4], v[9:10], v[7:8]
	v_fma_f64 v[3:4], -v[3:4], v[11:12], v[5:6]
	v_fma_f64 v[5:6], v[1:2], v[11:12], v[7:8]
	global_store_dwordx4 v17, v[3:6], s[0:1]
.LBB560_39:
	s_endpgm
	.section	.rodata,"a",@progbits
	.p2align	6, 0x0
	.amdhsa_kernel _ZN9rocsparseL20bsrxmvn_17_32_kernelILj17E21rocsparse_complex_numIdEllS1_IfES2_S2_EEvT2_20rocsparse_direction_NS_24const_host_device_scalarIT0_EES4_PKS4_PKT1_SD_SA_PKT3_PKT4_S8_PT5_21rocsparse_index_base_b
		.amdhsa_group_segment_fixed_size 4624
		.amdhsa_private_segment_fixed_size 0
		.amdhsa_kernarg_size 120
		.amdhsa_user_sgpr_count 6
		.amdhsa_user_sgpr_private_segment_buffer 1
		.amdhsa_user_sgpr_dispatch_ptr 0
		.amdhsa_user_sgpr_queue_ptr 0
		.amdhsa_user_sgpr_kernarg_segment_ptr 1
		.amdhsa_user_sgpr_dispatch_id 0
		.amdhsa_user_sgpr_flat_scratch_init 0
		.amdhsa_user_sgpr_private_segment_size 0
		.amdhsa_uses_dynamic_stack 0
		.amdhsa_system_sgpr_private_segment_wavefront_offset 0
		.amdhsa_system_sgpr_workgroup_id_x 1
		.amdhsa_system_sgpr_workgroup_id_y 0
		.amdhsa_system_sgpr_workgroup_id_z 0
		.amdhsa_system_sgpr_workgroup_info 0
		.amdhsa_system_vgpr_workitem_id 0
		.amdhsa_next_free_vgpr 31
		.amdhsa_next_free_sgpr 22
		.amdhsa_reserve_vcc 1
		.amdhsa_reserve_flat_scratch 0
		.amdhsa_float_round_mode_32 0
		.amdhsa_float_round_mode_16_64 0
		.amdhsa_float_denorm_mode_32 3
		.amdhsa_float_denorm_mode_16_64 3
		.amdhsa_dx10_clamp 1
		.amdhsa_ieee_mode 1
		.amdhsa_fp16_overflow 0
		.amdhsa_exception_fp_ieee_invalid_op 0
		.amdhsa_exception_fp_denorm_src 0
		.amdhsa_exception_fp_ieee_div_zero 0
		.amdhsa_exception_fp_ieee_overflow 0
		.amdhsa_exception_fp_ieee_underflow 0
		.amdhsa_exception_fp_ieee_inexact 0
		.amdhsa_exception_int_div_zero 0
	.end_amdhsa_kernel
	.section	.text._ZN9rocsparseL20bsrxmvn_17_32_kernelILj17E21rocsparse_complex_numIdEllS1_IfES2_S2_EEvT2_20rocsparse_direction_NS_24const_host_device_scalarIT0_EES4_PKS4_PKT1_SD_SA_PKT3_PKT4_S8_PT5_21rocsparse_index_base_b,"axG",@progbits,_ZN9rocsparseL20bsrxmvn_17_32_kernelILj17E21rocsparse_complex_numIdEllS1_IfES2_S2_EEvT2_20rocsparse_direction_NS_24const_host_device_scalarIT0_EES4_PKS4_PKT1_SD_SA_PKT3_PKT4_S8_PT5_21rocsparse_index_base_b,comdat
.Lfunc_end560:
	.size	_ZN9rocsparseL20bsrxmvn_17_32_kernelILj17E21rocsparse_complex_numIdEllS1_IfES2_S2_EEvT2_20rocsparse_direction_NS_24const_host_device_scalarIT0_EES4_PKS4_PKT1_SD_SA_PKT3_PKT4_S8_PT5_21rocsparse_index_base_b, .Lfunc_end560-_ZN9rocsparseL20bsrxmvn_17_32_kernelILj17E21rocsparse_complex_numIdEllS1_IfES2_S2_EEvT2_20rocsparse_direction_NS_24const_host_device_scalarIT0_EES4_PKS4_PKT1_SD_SA_PKT3_PKT4_S8_PT5_21rocsparse_index_base_b
                                        ; -- End function
	.set _ZN9rocsparseL20bsrxmvn_17_32_kernelILj17E21rocsparse_complex_numIdEllS1_IfES2_S2_EEvT2_20rocsparse_direction_NS_24const_host_device_scalarIT0_EES4_PKS4_PKT1_SD_SA_PKT3_PKT4_S8_PT5_21rocsparse_index_base_b.num_vgpr, 31
	.set _ZN9rocsparseL20bsrxmvn_17_32_kernelILj17E21rocsparse_complex_numIdEllS1_IfES2_S2_EEvT2_20rocsparse_direction_NS_24const_host_device_scalarIT0_EES4_PKS4_PKT1_SD_SA_PKT3_PKT4_S8_PT5_21rocsparse_index_base_b.num_agpr, 0
	.set _ZN9rocsparseL20bsrxmvn_17_32_kernelILj17E21rocsparse_complex_numIdEllS1_IfES2_S2_EEvT2_20rocsparse_direction_NS_24const_host_device_scalarIT0_EES4_PKS4_PKT1_SD_SA_PKT3_PKT4_S8_PT5_21rocsparse_index_base_b.numbered_sgpr, 22
	.set _ZN9rocsparseL20bsrxmvn_17_32_kernelILj17E21rocsparse_complex_numIdEllS1_IfES2_S2_EEvT2_20rocsparse_direction_NS_24const_host_device_scalarIT0_EES4_PKS4_PKT1_SD_SA_PKT3_PKT4_S8_PT5_21rocsparse_index_base_b.num_named_barrier, 0
	.set _ZN9rocsparseL20bsrxmvn_17_32_kernelILj17E21rocsparse_complex_numIdEllS1_IfES2_S2_EEvT2_20rocsparse_direction_NS_24const_host_device_scalarIT0_EES4_PKS4_PKT1_SD_SA_PKT3_PKT4_S8_PT5_21rocsparse_index_base_b.private_seg_size, 0
	.set _ZN9rocsparseL20bsrxmvn_17_32_kernelILj17E21rocsparse_complex_numIdEllS1_IfES2_S2_EEvT2_20rocsparse_direction_NS_24const_host_device_scalarIT0_EES4_PKS4_PKT1_SD_SA_PKT3_PKT4_S8_PT5_21rocsparse_index_base_b.uses_vcc, 1
	.set _ZN9rocsparseL20bsrxmvn_17_32_kernelILj17E21rocsparse_complex_numIdEllS1_IfES2_S2_EEvT2_20rocsparse_direction_NS_24const_host_device_scalarIT0_EES4_PKS4_PKT1_SD_SA_PKT3_PKT4_S8_PT5_21rocsparse_index_base_b.uses_flat_scratch, 0
	.set _ZN9rocsparseL20bsrxmvn_17_32_kernelILj17E21rocsparse_complex_numIdEllS1_IfES2_S2_EEvT2_20rocsparse_direction_NS_24const_host_device_scalarIT0_EES4_PKS4_PKT1_SD_SA_PKT3_PKT4_S8_PT5_21rocsparse_index_base_b.has_dyn_sized_stack, 0
	.set _ZN9rocsparseL20bsrxmvn_17_32_kernelILj17E21rocsparse_complex_numIdEllS1_IfES2_S2_EEvT2_20rocsparse_direction_NS_24const_host_device_scalarIT0_EES4_PKS4_PKT1_SD_SA_PKT3_PKT4_S8_PT5_21rocsparse_index_base_b.has_recursion, 0
	.set _ZN9rocsparseL20bsrxmvn_17_32_kernelILj17E21rocsparse_complex_numIdEllS1_IfES2_S2_EEvT2_20rocsparse_direction_NS_24const_host_device_scalarIT0_EES4_PKS4_PKT1_SD_SA_PKT3_PKT4_S8_PT5_21rocsparse_index_base_b.has_indirect_call, 0
	.section	.AMDGPU.csdata,"",@progbits
; Kernel info:
; codeLenInByte = 1732
; TotalNumSgprs: 26
; NumVgprs: 31
; ScratchSize: 0
; MemoryBound: 0
; FloatMode: 240
; IeeeMode: 1
; LDSByteSize: 4624 bytes/workgroup (compile time only)
; SGPRBlocks: 3
; VGPRBlocks: 7
; NumSGPRsForWavesPerEU: 26
; NumVGPRsForWavesPerEU: 31
; Occupancy: 8
; WaveLimiterHint : 1
; COMPUTE_PGM_RSRC2:SCRATCH_EN: 0
; COMPUTE_PGM_RSRC2:USER_SGPR: 6
; COMPUTE_PGM_RSRC2:TRAP_HANDLER: 0
; COMPUTE_PGM_RSRC2:TGID_X_EN: 1
; COMPUTE_PGM_RSRC2:TGID_Y_EN: 0
; COMPUTE_PGM_RSRC2:TGID_Z_EN: 0
; COMPUTE_PGM_RSRC2:TIDIG_COMP_CNT: 0
	.section	.text._ZN9rocsparseL20bsrxmvn_17_32_kernelILj18E21rocsparse_complex_numIdEllS1_IfES2_S2_EEvT2_20rocsparse_direction_NS_24const_host_device_scalarIT0_EES4_PKS4_PKT1_SD_SA_PKT3_PKT4_S8_PT5_21rocsparse_index_base_b,"axG",@progbits,_ZN9rocsparseL20bsrxmvn_17_32_kernelILj18E21rocsparse_complex_numIdEllS1_IfES2_S2_EEvT2_20rocsparse_direction_NS_24const_host_device_scalarIT0_EES4_PKS4_PKT1_SD_SA_PKT3_PKT4_S8_PT5_21rocsparse_index_base_b,comdat
	.globl	_ZN9rocsparseL20bsrxmvn_17_32_kernelILj18E21rocsparse_complex_numIdEllS1_IfES2_S2_EEvT2_20rocsparse_direction_NS_24const_host_device_scalarIT0_EES4_PKS4_PKT1_SD_SA_PKT3_PKT4_S8_PT5_21rocsparse_index_base_b ; -- Begin function _ZN9rocsparseL20bsrxmvn_17_32_kernelILj18E21rocsparse_complex_numIdEllS1_IfES2_S2_EEvT2_20rocsparse_direction_NS_24const_host_device_scalarIT0_EES4_PKS4_PKT1_SD_SA_PKT3_PKT4_S8_PT5_21rocsparse_index_base_b
	.p2align	8
	.type	_ZN9rocsparseL20bsrxmvn_17_32_kernelILj18E21rocsparse_complex_numIdEllS1_IfES2_S2_EEvT2_20rocsparse_direction_NS_24const_host_device_scalarIT0_EES4_PKS4_PKT1_SD_SA_PKT3_PKT4_S8_PT5_21rocsparse_index_base_b,@function
_ZN9rocsparseL20bsrxmvn_17_32_kernelILj18E21rocsparse_complex_numIdEllS1_IfES2_S2_EEvT2_20rocsparse_direction_NS_24const_host_device_scalarIT0_EES4_PKS4_PKT1_SD_SA_PKT3_PKT4_S8_PT5_21rocsparse_index_base_b: ; @_ZN9rocsparseL20bsrxmvn_17_32_kernelILj18E21rocsparse_complex_numIdEllS1_IfES2_S2_EEvT2_20rocsparse_direction_NS_24const_host_device_scalarIT0_EES4_PKS4_PKT1_SD_SA_PKT3_PKT4_S8_PT5_21rocsparse_index_base_b
; %bb.0:
	s_load_dwordx2 s[0:1], s[4:5], 0x10
	s_load_dwordx2 s[14:15], s[4:5], 0x70
	s_add_u32 s7, s4, 16
	s_addc_u32 s8, s5, 0
	s_add_u32 s9, s4, 0x58
	s_addc_u32 s10, s5, 0
	s_waitcnt lgkmcnt(0)
	s_bitcmp1_b32 s15, 0
	s_cselect_b32 s1, s8, s1
	s_cselect_b32 s0, s7, s0
	v_mov_b32_e32 v1, s0
	v_mov_b32_e32 v2, s1
	flat_load_dwordx4 v[5:8], v[1:2]
	s_load_dwordx2 s[2:3], s[4:5], 0x58
	s_waitcnt lgkmcnt(0)
	s_cselect_b32 s0, s10, s3
	s_cselect_b32 s1, s9, s2
	v_mov_b32_e32 v1, s1
	v_mov_b32_e32 v2, s0
	flat_load_dwordx4 v[1:4], v[1:2]
	s_waitcnt vmcnt(0)
	v_cmp_eq_f64_e32 vcc, 0, v[5:6]
	v_cmp_eq_f64_e64 s[0:1], 0, v[7:8]
	s_and_b64 s[8:9], vcc, s[0:1]
	s_mov_b64 s[0:1], -1
	s_and_saveexec_b64 s[2:3], s[8:9]
	s_cbranch_execz .LBB561_2
; %bb.1:
	s_waitcnt lgkmcnt(0)
	v_cmp_neq_f64_e32 vcc, 1.0, v[1:2]
	v_cmp_neq_f64_e64 s[0:1], 0, v[3:4]
	s_or_b64 s[0:1], vcc, s[0:1]
	s_orn2_b64 s[0:1], s[0:1], exec
.LBB561_2:
	s_or_b64 exec, exec, s[2:3]
	s_and_saveexec_b64 s[2:3], s[0:1]
	s_cbranch_execz .LBB561_39
; %bb.3:
	s_load_dwordx4 s[0:3], s[4:5], 0x28
	s_load_dwordx2 s[8:9], s[4:5], 0x38
	s_mov_b32 s7, 0
	s_waitcnt lgkmcnt(0)
	s_cmp_eq_u64 s[0:1], 0
	s_cbranch_scc1 .LBB561_5
; %bb.4:
	s_lshl_b64 s[6:7], s[6:7], 3
	s_add_u32 s0, s0, s6
	s_addc_u32 s1, s1, s7
	s_load_dwordx2 s[0:1], s[0:1], 0x0
	s_waitcnt lgkmcnt(0)
	s_sub_u32 s6, s0, s14
	s_subb_u32 s7, s1, 0
.LBB561_5:
	s_load_dword s10, s[4:5], 0x8
	s_load_dwordx2 s[12:13], s[4:5], 0x68
	v_mul_u32_u24_e32 v13, 0xe39, v0
	v_mov_b32_e32 v14, 18
	v_mul_lo_u16_sdwa v9, v13, v14 dst_sel:DWORD dst_unused:UNUSED_PAD src0_sel:WORD_1 src1_sel:DWORD
	s_waitcnt lgkmcnt(0)
	s_cmp_eq_u32 s10, 1
	s_cselect_b64 s[0:1], -1, 0
	s_cmp_lg_u32 s10, 1
	s_cselect_b64 s[16:17], -1, 0
	s_lshl_b64 s[10:11], s[6:7], 3
	s_add_u32 s20, s2, s10
	s_addc_u32 s21, s3, s11
	s_add_u32 s2, s20, 8
	s_addc_u32 s3, s21, 0
	;; [unrolled: 2-line block ×3, first 2 shown]
	s_cmp_eq_u64 s[8:9], 0
	s_cselect_b32 s9, s3, s11
	s_cselect_b32 s8, s2, s10
	s_load_dwordx2 s[2:3], s[8:9], 0x0
	s_load_dwordx2 s[18:19], s[20:21], 0x0
	v_sub_u16_e32 v21, v0, v9
	v_mov_b32_e32 v11, 0
	v_mov_b32_e32 v12, 0
	s_waitcnt lgkmcnt(0)
	v_mov_b32_e32 v10, s3
	v_mov_b32_e32 v9, s2
	v_cmp_ge_i64_e32 vcc, s[18:19], v[9:10]
	v_mov_b32_e32 v9, 0
	v_mov_b32_e32 v10, 0
	s_cbranch_vccnz .LBB561_10
; %bb.6:
	v_mov_b32_e32 v9, 15
	v_mul_lo_u16_sdwa v9, v13, v9 dst_sel:DWORD dst_unused:UNUSED_PAD src0_sel:WORD_1 src1_sel:DWORD
	v_mul_lo_u16_sdwa v9, v9, v14 dst_sel:DWORD dst_unused:UNUSED_PAD src0_sel:BYTE_1 src1_sel:DWORD
	s_sub_u32 s2, s2, s14
	s_load_dwordx2 s[20:21], s[4:5], 0x50
	s_load_dwordx4 s[8:11], s[4:5], 0x40
	v_sub_u16_sdwa v9, v13, v9 dst_sel:DWORD dst_unused:UNUSED_PAD src0_sel:WORD_1 src1_sel:DWORD
	s_subb_u32 s3, s3, 0
	v_and_b32_e32 v9, 0xff, v9
	s_sub_u32 s4, s18, s14
	v_cndmask_b32_e64 v9, v21, v9, s[0:1]
	s_subb_u32 s5, s19, 0
	v_lshlrev_b32_e32 v9, 4, v9
	s_mul_i32 s0, s5, 0xa20
	s_mul_hi_u32 s1, s4, 0xa20
	s_waitcnt lgkmcnt(0)
	v_mov_b32_e32 v10, s21
	v_add_co_u32_e32 v13, vcc, s20, v9
	s_add_i32 s1, s1, s0
	s_mul_i32 s0, s4, 0xa20
	v_addc_co_u32_e32 v14, vcc, 0, v10, vcc
	s_add_u32 s0, s10, s0
	v_lshlrev_b32_e32 v9, 3, v0
	s_addc_u32 s1, s11, s1
	v_add_co_u32_e32 v15, vcc, s0, v9
	s_movk_i32 s0, 0x195
	v_mov_b32_e32 v10, s1
	v_mul_u32_u24_sdwa v9, v0, s0 dst_sel:DWORD dst_unused:UNUSED_PAD src0_sel:WORD_0 src1_sel:DWORD
	v_addc_co_u32_e32 v16, vcc, 0, v10, vcc
	v_lshrrev_b32_e32 v22, 17, v9
	v_mov_b32_e32 v9, s19
	v_add_co_u32_e32 v10, vcc, s18, v22
	v_addc_co_u32_e32 v11, vcc, 0, v9, vcc
	v_subrev_co_u32_e32 v9, vcc, s14, v10
	v_subbrev_co_u32_e32 v10, vcc, 0, v11, vcc
	v_lshlrev_b64 v[9:10], 3, v[9:10]
	v_mov_b32_e32 v11, s9
	v_add_co_u32_e32 v17, vcc, s8, v9
	v_addc_co_u32_e32 v18, vcc, v11, v10, vcc
	v_mov_b32_e32 v11, 0
	v_mov_b32_e32 v12, 0
	;; [unrolled: 1-line block ×4, first 2 shown]
	s_movk_i32 s8, 0x120
	v_mov_b32_e32 v19, s2
	v_mov_b32_e32 v10, v12
	s_branch .LBB561_8
.LBB561_7:                              ;   in Loop: Header=BB561_8 Depth=1
	s_or_b64 exec, exec, s[0:1]
	s_add_u32 s4, s4, 1
	s_addc_u32 s5, s5, 0
	v_cmp_lt_i64_e32 vcc, s[4:5], v[19:20]
	v_add_co_u32_e64 v17, s[0:1], 8, v17
	v_addc_co_u32_e64 v18, s[0:1], 0, v18, s[0:1]
	s_cbranch_vccz .LBB561_10
.LBB561_8:                              ; =>This Inner Loop Header: Depth=1
	v_mov_b32_e32 v24, s5
	v_add_co_u32_e32 v23, vcc, s4, v22
	v_addc_co_u32_e32 v24, vcc, 0, v24, vcc
	v_cmp_gt_i64_e32 vcc, s[2:3], v[23:24]
	s_and_saveexec_b64 s[0:1], vcc
	s_cbranch_execz .LBB561_7
; %bb.9:                                ;   in Loop: Header=BB561_8 Depth=1
	global_load_dwordx2 v[23:24], v[17:18], off
	s_waitcnt vmcnt(0)
	v_subrev_co_u32_e32 v23, vcc, s14, v23
	v_subbrev_co_u32_e32 v25, vcc, 0, v24, vcc
	v_mad_u64_u32 v[23:24], s[10:11], v23, s8, v[13:14]
	v_mad_u64_u32 v[24:25], s[10:11], v25, s8, v[24:25]
	global_load_dwordx2 v[27:28], v[15:16], off
	s_nop 0
	global_load_dwordx4 v[23:26], v[23:24], off
	v_add_co_u32_e32 v15, vcc, 0xa20, v15
	v_addc_co_u32_e32 v16, vcc, 0, v16, vcc
	s_waitcnt vmcnt(1)
	v_cvt_f64_f32_e32 v[29:30], v27
	v_cvt_f64_f32_e32 v[27:28], v28
	s_waitcnt vmcnt(0)
	v_fma_f64 v[9:10], v[29:30], v[23:24], v[9:10]
	v_fma_f64 v[11:12], v[27:28], v[23:24], v[11:12]
	v_fma_f64 v[9:10], -v[27:28], v[25:26], v[9:10]
	v_fma_f64 v[11:12], v[29:30], v[25:26], v[11:12]
	s_branch .LBB561_7
.LBB561_10:
	v_lshlrev_b32_e32 v17, 4, v0
	s_and_b64 vcc, exec, s[16:17]
	ds_write_b128 v17, v[9:12]
	s_waitcnt lgkmcnt(0)
	s_barrier
	s_cbranch_vccz .LBB561_22
; %bb.11:
	v_cmp_gt_u16_e32 vcc, 2, v21
	s_and_saveexec_b64 s[0:1], vcc
	s_cbranch_execz .LBB561_13
; %bb.12:
	ds_read_b128 v[13:16], v17 offset:256
	ds_read_b128 v[22:25], v17
	s_waitcnt lgkmcnt(0)
	v_add_f64 v[13:14], v[13:14], v[22:23]
	v_add_f64 v[15:16], v[15:16], v[24:25]
	ds_write_b128 v17, v[13:16]
.LBB561_13:
	s_or_b64 exec, exec, s[0:1]
	v_cmp_gt_u16_e64 s[0:1], 8, v21
	s_waitcnt lgkmcnt(0)
	s_barrier
	s_and_saveexec_b64 s[2:3], s[0:1]
	s_cbranch_execz .LBB561_15
; %bb.14:
	ds_read_b128 v[13:16], v17 offset:128
	ds_read_b128 v[22:25], v17
	s_waitcnt lgkmcnt(0)
	v_add_f64 v[13:14], v[13:14], v[22:23]
	v_add_f64 v[15:16], v[15:16], v[24:25]
	ds_write_b128 v17, v[13:16]
.LBB561_15:
	s_or_b64 exec, exec, s[2:3]
	v_cmp_gt_u16_e64 s[0:1], 4, v21
	s_waitcnt lgkmcnt(0)
	s_barrier
	s_and_saveexec_b64 s[2:3], s[0:1]
	s_cbranch_execz .LBB561_17
; %bb.16:
	ds_read_b128 v[13:16], v17 offset:64
	ds_read_b128 v[18:21], v17
	s_waitcnt lgkmcnt(0)
	v_add_f64 v[13:14], v[13:14], v[18:19]
	v_add_f64 v[15:16], v[15:16], v[20:21]
	ds_write_b128 v17, v[13:16]
.LBB561_17:
	s_or_b64 exec, exec, s[2:3]
	s_waitcnt lgkmcnt(0)
	s_barrier
	s_and_saveexec_b64 s[0:1], vcc
	s_cbranch_execz .LBB561_19
; %bb.18:
	ds_read_b128 v[13:16], v17
	ds_read_b128 v[18:21], v17 offset:32
	s_waitcnt lgkmcnt(0)
	v_add_f64 v[13:14], v[18:19], v[13:14]
	v_add_f64 v[15:16], v[20:21], v[15:16]
	ds_write_b128 v17, v[13:16]
.LBB561_19:
	s_or_b64 exec, exec, s[0:1]
	v_mov_b32_e32 v16, v12
	v_mov_b32_e32 v14, v10
	v_cmp_gt_u32_e32 vcc, 18, v0
	v_mov_b32_e32 v15, v11
	v_mov_b32_e32 v13, v9
	s_waitcnt lgkmcnt(0)
	s_barrier
	s_and_saveexec_b64 s[0:1], vcc
	s_cbranch_execz .LBB561_21
; %bb.20:
	s_movk_i32 s2, 0x110
	v_mad_u32_u24 v18, v0, s2, v17
	ds_read_b128 v[13:16], v18
	ds_read_b128 v[18:21], v18 offset:16
	s_waitcnt lgkmcnt(0)
	v_add_f64 v[13:14], v[18:19], v[13:14]
	v_add_f64 v[15:16], v[20:21], v[15:16]
.LBB561_21:
	s_or_b64 exec, exec, s[0:1]
	s_branch .LBB561_34
.LBB561_22:
                                        ; implicit-def: $vgpr15_vgpr16
                                        ; implicit-def: $vgpr13_vgpr14
	s_cbranch_execz .LBB561_34
; %bb.23:
	v_cmp_gt_u32_e32 vcc, 36, v0
	s_and_saveexec_b64 s[0:1], vcc
	s_cbranch_execz .LBB561_25
; %bb.24:
	ds_read_b128 v[13:16], v17 offset:4608
	ds_read_b128 v[18:21], v17
	s_waitcnt lgkmcnt(0)
	v_add_f64 v[13:14], v[13:14], v[18:19]
	v_add_f64 v[15:16], v[15:16], v[20:21]
	ds_write_b128 v17, v[13:16]
.LBB561_25:
	s_or_b64 exec, exec, s[0:1]
	s_movk_i32 s0, 0x90
	v_cmp_gt_u32_e64 s[0:1], s0, v0
	s_waitcnt lgkmcnt(0)
	s_barrier
	s_and_saveexec_b64 s[2:3], s[0:1]
	s_cbranch_execz .LBB561_27
; %bb.26:
	ds_read_b128 v[13:16], v17 offset:2304
	ds_read_b128 v[18:21], v17
	s_waitcnt lgkmcnt(0)
	v_add_f64 v[13:14], v[13:14], v[18:19]
	v_add_f64 v[15:16], v[15:16], v[20:21]
	ds_write_b128 v17, v[13:16]
.LBB561_27:
	s_or_b64 exec, exec, s[2:3]
	s_movk_i32 s0, 0x48
	v_cmp_gt_u32_e64 s[0:1], s0, v0
	s_waitcnt lgkmcnt(0)
	s_barrier
	s_and_saveexec_b64 s[2:3], s[0:1]
	s_cbranch_execz .LBB561_29
; %bb.28:
	ds_read_b128 v[13:16], v17 offset:1152
	ds_read_b128 v[18:21], v17
	s_waitcnt lgkmcnt(0)
	v_add_f64 v[13:14], v[13:14], v[18:19]
	v_add_f64 v[15:16], v[15:16], v[20:21]
	ds_write_b128 v17, v[13:16]
.LBB561_29:
	s_or_b64 exec, exec, s[2:3]
	s_waitcnt lgkmcnt(0)
	s_barrier
	s_and_saveexec_b64 s[0:1], vcc
	s_cbranch_execz .LBB561_31
; %bb.30:
	ds_read_b128 v[13:16], v17 offset:576
	ds_read_b128 v[18:21], v17
	s_waitcnt lgkmcnt(0)
	v_add_f64 v[13:14], v[13:14], v[18:19]
	v_add_f64 v[15:16], v[15:16], v[20:21]
	ds_write_b128 v17, v[13:16]
.LBB561_31:
	s_or_b64 exec, exec, s[0:1]
	v_cmp_gt_u32_e32 vcc, 18, v0
	s_waitcnt lgkmcnt(0)
	s_and_saveexec_b64 s[0:1], vcc
	s_cbranch_execz .LBB561_33
; %bb.32:
	ds_read_b128 v[9:12], v17 offset:288
	ds_read_b128 v[13:16], v17
	s_waitcnt lgkmcnt(0)
	v_add_f64 v[9:10], v[9:10], v[13:14]
	v_add_f64 v[11:12], v[11:12], v[15:16]
.LBB561_33:
	s_or_b64 exec, exec, s[0:1]
	v_mov_b32_e32 v16, v12
	v_mov_b32_e32 v14, v10
	v_mov_b32_e32 v15, v11
	v_mov_b32_e32 v13, v9
.LBB561_34:
	v_cmp_gt_u32_e32 vcc, 18, v0
	s_and_b64 exec, exec, vcc
	s_cbranch_execz .LBB561_39
; %bb.35:
	v_mul_f64 v[9:10], v[15:16], -v[7:8]
	v_mul_f64 v[11:12], v[5:6], v[15:16]
	v_cmp_eq_f64_e32 vcc, 0, v[1:2]
	v_cmp_eq_f64_e64 s[0:1], 0, v[3:4]
	s_mul_i32 s2, s7, 0x120
	s_mul_hi_u32 s3, s6, 0x120
	s_mul_i32 s4, s6, 0x120
	v_fma_f64 v[5:6], v[5:6], v[13:14], v[9:10]
	v_fma_f64 v[7:8], v[7:8], v[13:14], v[11:12]
	s_and_b64 s[0:1], vcc, s[0:1]
	s_and_saveexec_b64 s[6:7], s[0:1]
	s_xor_b64 s[0:1], exec, s[6:7]
	s_cbranch_execz .LBB561_37
; %bb.36:
	s_add_i32 s5, s3, s2
	s_add_u32 s6, s12, s4
	s_addc_u32 s7, s13, s5
	global_store_dwordx4 v17, v[5:8], s[6:7]
                                        ; implicit-def: $vgpr17
                                        ; implicit-def: $vgpr1_vgpr2
                                        ; implicit-def: $vgpr5_vgpr6
.LBB561_37:
	s_andn2_saveexec_b64 s[0:1], s[0:1]
	s_cbranch_execz .LBB561_39
; %bb.38:
	s_add_i32 s3, s3, s2
	s_add_u32 s0, s12, s4
	s_addc_u32 s1, s13, s3
	global_load_dwordx4 v[9:12], v17, s[0:1]
	s_waitcnt vmcnt(0)
	v_fma_f64 v[5:6], v[1:2], v[9:10], v[5:6]
	v_fma_f64 v[7:8], v[3:4], v[9:10], v[7:8]
	v_fma_f64 v[3:4], -v[3:4], v[11:12], v[5:6]
	v_fma_f64 v[5:6], v[1:2], v[11:12], v[7:8]
	global_store_dwordx4 v17, v[3:6], s[0:1]
.LBB561_39:
	s_endpgm
	.section	.rodata,"a",@progbits
	.p2align	6, 0x0
	.amdhsa_kernel _ZN9rocsparseL20bsrxmvn_17_32_kernelILj18E21rocsparse_complex_numIdEllS1_IfES2_S2_EEvT2_20rocsparse_direction_NS_24const_host_device_scalarIT0_EES4_PKS4_PKT1_SD_SA_PKT3_PKT4_S8_PT5_21rocsparse_index_base_b
		.amdhsa_group_segment_fixed_size 5184
		.amdhsa_private_segment_fixed_size 0
		.amdhsa_kernarg_size 120
		.amdhsa_user_sgpr_count 6
		.amdhsa_user_sgpr_private_segment_buffer 1
		.amdhsa_user_sgpr_dispatch_ptr 0
		.amdhsa_user_sgpr_queue_ptr 0
		.amdhsa_user_sgpr_kernarg_segment_ptr 1
		.amdhsa_user_sgpr_dispatch_id 0
		.amdhsa_user_sgpr_flat_scratch_init 0
		.amdhsa_user_sgpr_private_segment_size 0
		.amdhsa_uses_dynamic_stack 0
		.amdhsa_system_sgpr_private_segment_wavefront_offset 0
		.amdhsa_system_sgpr_workgroup_id_x 1
		.amdhsa_system_sgpr_workgroup_id_y 0
		.amdhsa_system_sgpr_workgroup_id_z 0
		.amdhsa_system_sgpr_workgroup_info 0
		.amdhsa_system_vgpr_workitem_id 0
		.amdhsa_next_free_vgpr 31
		.amdhsa_next_free_sgpr 61
		.amdhsa_reserve_vcc 1
		.amdhsa_reserve_flat_scratch 0
		.amdhsa_float_round_mode_32 0
		.amdhsa_float_round_mode_16_64 0
		.amdhsa_float_denorm_mode_32 3
		.amdhsa_float_denorm_mode_16_64 3
		.amdhsa_dx10_clamp 1
		.amdhsa_ieee_mode 1
		.amdhsa_fp16_overflow 0
		.amdhsa_exception_fp_ieee_invalid_op 0
		.amdhsa_exception_fp_denorm_src 0
		.amdhsa_exception_fp_ieee_div_zero 0
		.amdhsa_exception_fp_ieee_overflow 0
		.amdhsa_exception_fp_ieee_underflow 0
		.amdhsa_exception_fp_ieee_inexact 0
		.amdhsa_exception_int_div_zero 0
	.end_amdhsa_kernel
	.section	.text._ZN9rocsparseL20bsrxmvn_17_32_kernelILj18E21rocsparse_complex_numIdEllS1_IfES2_S2_EEvT2_20rocsparse_direction_NS_24const_host_device_scalarIT0_EES4_PKS4_PKT1_SD_SA_PKT3_PKT4_S8_PT5_21rocsparse_index_base_b,"axG",@progbits,_ZN9rocsparseL20bsrxmvn_17_32_kernelILj18E21rocsparse_complex_numIdEllS1_IfES2_S2_EEvT2_20rocsparse_direction_NS_24const_host_device_scalarIT0_EES4_PKS4_PKT1_SD_SA_PKT3_PKT4_S8_PT5_21rocsparse_index_base_b,comdat
.Lfunc_end561:
	.size	_ZN9rocsparseL20bsrxmvn_17_32_kernelILj18E21rocsparse_complex_numIdEllS1_IfES2_S2_EEvT2_20rocsparse_direction_NS_24const_host_device_scalarIT0_EES4_PKS4_PKT1_SD_SA_PKT3_PKT4_S8_PT5_21rocsparse_index_base_b, .Lfunc_end561-_ZN9rocsparseL20bsrxmvn_17_32_kernelILj18E21rocsparse_complex_numIdEllS1_IfES2_S2_EEvT2_20rocsparse_direction_NS_24const_host_device_scalarIT0_EES4_PKS4_PKT1_SD_SA_PKT3_PKT4_S8_PT5_21rocsparse_index_base_b
                                        ; -- End function
	.set _ZN9rocsparseL20bsrxmvn_17_32_kernelILj18E21rocsparse_complex_numIdEllS1_IfES2_S2_EEvT2_20rocsparse_direction_NS_24const_host_device_scalarIT0_EES4_PKS4_PKT1_SD_SA_PKT3_PKT4_S8_PT5_21rocsparse_index_base_b.num_vgpr, 31
	.set _ZN9rocsparseL20bsrxmvn_17_32_kernelILj18E21rocsparse_complex_numIdEllS1_IfES2_S2_EEvT2_20rocsparse_direction_NS_24const_host_device_scalarIT0_EES4_PKS4_PKT1_SD_SA_PKT3_PKT4_S8_PT5_21rocsparse_index_base_b.num_agpr, 0
	.set _ZN9rocsparseL20bsrxmvn_17_32_kernelILj18E21rocsparse_complex_numIdEllS1_IfES2_S2_EEvT2_20rocsparse_direction_NS_24const_host_device_scalarIT0_EES4_PKS4_PKT1_SD_SA_PKT3_PKT4_S8_PT5_21rocsparse_index_base_b.numbered_sgpr, 22
	.set _ZN9rocsparseL20bsrxmvn_17_32_kernelILj18E21rocsparse_complex_numIdEllS1_IfES2_S2_EEvT2_20rocsparse_direction_NS_24const_host_device_scalarIT0_EES4_PKS4_PKT1_SD_SA_PKT3_PKT4_S8_PT5_21rocsparse_index_base_b.num_named_barrier, 0
	.set _ZN9rocsparseL20bsrxmvn_17_32_kernelILj18E21rocsparse_complex_numIdEllS1_IfES2_S2_EEvT2_20rocsparse_direction_NS_24const_host_device_scalarIT0_EES4_PKS4_PKT1_SD_SA_PKT3_PKT4_S8_PT5_21rocsparse_index_base_b.private_seg_size, 0
	.set _ZN9rocsparseL20bsrxmvn_17_32_kernelILj18E21rocsparse_complex_numIdEllS1_IfES2_S2_EEvT2_20rocsparse_direction_NS_24const_host_device_scalarIT0_EES4_PKS4_PKT1_SD_SA_PKT3_PKT4_S8_PT5_21rocsparse_index_base_b.uses_vcc, 1
	.set _ZN9rocsparseL20bsrxmvn_17_32_kernelILj18E21rocsparse_complex_numIdEllS1_IfES2_S2_EEvT2_20rocsparse_direction_NS_24const_host_device_scalarIT0_EES4_PKS4_PKT1_SD_SA_PKT3_PKT4_S8_PT5_21rocsparse_index_base_b.uses_flat_scratch, 0
	.set _ZN9rocsparseL20bsrxmvn_17_32_kernelILj18E21rocsparse_complex_numIdEllS1_IfES2_S2_EEvT2_20rocsparse_direction_NS_24const_host_device_scalarIT0_EES4_PKS4_PKT1_SD_SA_PKT3_PKT4_S8_PT5_21rocsparse_index_base_b.has_dyn_sized_stack, 0
	.set _ZN9rocsparseL20bsrxmvn_17_32_kernelILj18E21rocsparse_complex_numIdEllS1_IfES2_S2_EEvT2_20rocsparse_direction_NS_24const_host_device_scalarIT0_EES4_PKS4_PKT1_SD_SA_PKT3_PKT4_S8_PT5_21rocsparse_index_base_b.has_recursion, 0
	.set _ZN9rocsparseL20bsrxmvn_17_32_kernelILj18E21rocsparse_complex_numIdEllS1_IfES2_S2_EEvT2_20rocsparse_direction_NS_24const_host_device_scalarIT0_EES4_PKS4_PKT1_SD_SA_PKT3_PKT4_S8_PT5_21rocsparse_index_base_b.has_indirect_call, 0
	.section	.AMDGPU.csdata,"",@progbits
; Kernel info:
; codeLenInByte = 1736
; TotalNumSgprs: 26
; NumVgprs: 31
; ScratchSize: 0
; MemoryBound: 0
; FloatMode: 240
; IeeeMode: 1
; LDSByteSize: 5184 bytes/workgroup (compile time only)
; SGPRBlocks: 8
; VGPRBlocks: 7
; NumSGPRsForWavesPerEU: 65
; NumVGPRsForWavesPerEU: 31
; Occupancy: 8
; WaveLimiterHint : 1
; COMPUTE_PGM_RSRC2:SCRATCH_EN: 0
; COMPUTE_PGM_RSRC2:USER_SGPR: 6
; COMPUTE_PGM_RSRC2:TRAP_HANDLER: 0
; COMPUTE_PGM_RSRC2:TGID_X_EN: 1
; COMPUTE_PGM_RSRC2:TGID_Y_EN: 0
; COMPUTE_PGM_RSRC2:TGID_Z_EN: 0
; COMPUTE_PGM_RSRC2:TIDIG_COMP_CNT: 0
	.section	.text._ZN9rocsparseL20bsrxmvn_17_32_kernelILj19E21rocsparse_complex_numIdEllS1_IfES2_S2_EEvT2_20rocsparse_direction_NS_24const_host_device_scalarIT0_EES4_PKS4_PKT1_SD_SA_PKT3_PKT4_S8_PT5_21rocsparse_index_base_b,"axG",@progbits,_ZN9rocsparseL20bsrxmvn_17_32_kernelILj19E21rocsparse_complex_numIdEllS1_IfES2_S2_EEvT2_20rocsparse_direction_NS_24const_host_device_scalarIT0_EES4_PKS4_PKT1_SD_SA_PKT3_PKT4_S8_PT5_21rocsparse_index_base_b,comdat
	.globl	_ZN9rocsparseL20bsrxmvn_17_32_kernelILj19E21rocsparse_complex_numIdEllS1_IfES2_S2_EEvT2_20rocsparse_direction_NS_24const_host_device_scalarIT0_EES4_PKS4_PKT1_SD_SA_PKT3_PKT4_S8_PT5_21rocsparse_index_base_b ; -- Begin function _ZN9rocsparseL20bsrxmvn_17_32_kernelILj19E21rocsparse_complex_numIdEllS1_IfES2_S2_EEvT2_20rocsparse_direction_NS_24const_host_device_scalarIT0_EES4_PKS4_PKT1_SD_SA_PKT3_PKT4_S8_PT5_21rocsparse_index_base_b
	.p2align	8
	.type	_ZN9rocsparseL20bsrxmvn_17_32_kernelILj19E21rocsparse_complex_numIdEllS1_IfES2_S2_EEvT2_20rocsparse_direction_NS_24const_host_device_scalarIT0_EES4_PKS4_PKT1_SD_SA_PKT3_PKT4_S8_PT5_21rocsparse_index_base_b,@function
_ZN9rocsparseL20bsrxmvn_17_32_kernelILj19E21rocsparse_complex_numIdEllS1_IfES2_S2_EEvT2_20rocsparse_direction_NS_24const_host_device_scalarIT0_EES4_PKS4_PKT1_SD_SA_PKT3_PKT4_S8_PT5_21rocsparse_index_base_b: ; @_ZN9rocsparseL20bsrxmvn_17_32_kernelILj19E21rocsparse_complex_numIdEllS1_IfES2_S2_EEvT2_20rocsparse_direction_NS_24const_host_device_scalarIT0_EES4_PKS4_PKT1_SD_SA_PKT3_PKT4_S8_PT5_21rocsparse_index_base_b
; %bb.0:
	s_load_dwordx2 s[0:1], s[4:5], 0x10
	s_load_dwordx2 s[14:15], s[4:5], 0x70
	s_add_u32 s7, s4, 16
	s_addc_u32 s8, s5, 0
	s_add_u32 s9, s4, 0x58
	s_addc_u32 s10, s5, 0
	s_waitcnt lgkmcnt(0)
	s_bitcmp1_b32 s15, 0
	s_cselect_b32 s1, s8, s1
	s_cselect_b32 s0, s7, s0
	v_mov_b32_e32 v1, s0
	v_mov_b32_e32 v2, s1
	flat_load_dwordx4 v[5:8], v[1:2]
	s_load_dwordx2 s[2:3], s[4:5], 0x58
	s_waitcnt lgkmcnt(0)
	s_cselect_b32 s0, s10, s3
	s_cselect_b32 s1, s9, s2
	v_mov_b32_e32 v1, s1
	v_mov_b32_e32 v2, s0
	flat_load_dwordx4 v[1:4], v[1:2]
	s_waitcnt vmcnt(0)
	v_cmp_eq_f64_e32 vcc, 0, v[5:6]
	v_cmp_eq_f64_e64 s[0:1], 0, v[7:8]
	s_and_b64 s[8:9], vcc, s[0:1]
	s_mov_b64 s[0:1], -1
	s_and_saveexec_b64 s[2:3], s[8:9]
	s_cbranch_execz .LBB562_2
; %bb.1:
	s_waitcnt lgkmcnt(0)
	v_cmp_neq_f64_e32 vcc, 1.0, v[1:2]
	v_cmp_neq_f64_e64 s[0:1], 0, v[3:4]
	s_or_b64 s[0:1], vcc, s[0:1]
	s_orn2_b64 s[0:1], s[0:1], exec
.LBB562_2:
	s_or_b64 exec, exec, s[2:3]
	s_and_saveexec_b64 s[2:3], s[0:1]
	s_cbranch_execz .LBB562_39
; %bb.3:
	s_load_dwordx4 s[0:3], s[4:5], 0x28
	s_load_dwordx2 s[8:9], s[4:5], 0x38
	s_mov_b32 s7, 0
	s_waitcnt lgkmcnt(0)
	s_cmp_eq_u64 s[0:1], 0
	s_cbranch_scc1 .LBB562_5
; %bb.4:
	s_lshl_b64 s[6:7], s[6:7], 3
	s_add_u32 s0, s0, s6
	s_addc_u32 s1, s1, s7
	s_load_dwordx2 s[0:1], s[0:1], 0x0
	s_waitcnt lgkmcnt(0)
	s_sub_u32 s6, s0, s14
	s_subb_u32 s7, s1, 0
.LBB562_5:
	s_load_dword s10, s[4:5], 0x8
	s_load_dwordx2 s[12:13], s[4:5], 0x68
	v_mul_u32_u24_e32 v13, 0xd7a, v0
	v_mov_b32_e32 v14, 19
	v_mul_lo_u16_sdwa v9, v13, v14 dst_sel:DWORD dst_unused:UNUSED_PAD src0_sel:WORD_1 src1_sel:DWORD
	s_waitcnt lgkmcnt(0)
	s_cmp_eq_u32 s10, 1
	s_cselect_b64 s[0:1], -1, 0
	s_cmp_lg_u32 s10, 1
	s_cselect_b64 s[16:17], -1, 0
	s_lshl_b64 s[10:11], s[6:7], 3
	s_add_u32 s20, s2, s10
	s_addc_u32 s21, s3, s11
	s_add_u32 s2, s20, 8
	s_addc_u32 s3, s21, 0
	s_add_u32 s10, s8, s10
	s_addc_u32 s11, s9, s11
	s_cmp_eq_u64 s[8:9], 0
	s_cselect_b32 s9, s3, s11
	s_cselect_b32 s8, s2, s10
	s_load_dwordx2 s[2:3], s[8:9], 0x0
	s_load_dwordx2 s[18:19], s[20:21], 0x0
	v_sub_u16_e32 v21, v0, v9
	v_mov_b32_e32 v11, 0
	v_mov_b32_e32 v12, 0
	s_waitcnt lgkmcnt(0)
	v_mov_b32_e32 v10, s3
	v_mov_b32_e32 v9, s2
	v_cmp_ge_i64_e32 vcc, s[18:19], v[9:10]
	v_mov_b32_e32 v9, 0
	v_mov_b32_e32 v10, 0
	s_cbranch_vccnz .LBB562_10
; %bb.6:
	v_mov_b32_e32 v9, 14
	v_mul_lo_u16_sdwa v9, v13, v9 dst_sel:DWORD dst_unused:UNUSED_PAD src0_sel:WORD_1 src1_sel:DWORD
	v_mul_lo_u16_sdwa v9, v9, v14 dst_sel:DWORD dst_unused:UNUSED_PAD src0_sel:BYTE_1 src1_sel:DWORD
	s_sub_u32 s2, s2, s14
	s_load_dwordx2 s[20:21], s[4:5], 0x50
	s_load_dwordx4 s[8:11], s[4:5], 0x40
	v_sub_u16_sdwa v9, v13, v9 dst_sel:DWORD dst_unused:UNUSED_PAD src0_sel:WORD_1 src1_sel:DWORD
	s_subb_u32 s3, s3, 0
	v_and_b32_e32 v9, 0xff, v9
	s_sub_u32 s4, s18, s14
	v_cndmask_b32_e64 v9, v21, v9, s[0:1]
	s_subb_u32 s5, s19, 0
	v_lshlrev_b32_e32 v9, 4, v9
	s_mul_i32 s0, s5, 0xb48
	s_mul_hi_u32 s1, s4, 0xb48
	s_waitcnt lgkmcnt(0)
	v_mov_b32_e32 v10, s21
	v_add_co_u32_e32 v13, vcc, s20, v9
	s_add_i32 s1, s1, s0
	s_mul_i32 s0, s4, 0xb48
	v_addc_co_u32_e32 v14, vcc, 0, v10, vcc
	s_add_u32 s0, s10, s0
	v_lshlrev_b32_e32 v9, 3, v0
	s_addc_u32 s1, s11, s1
	v_add_co_u32_e32 v15, vcc, s0, v9
	s_movk_i32 s0, 0xb6
	v_mov_b32_e32 v10, s1
	v_mul_u32_u24_sdwa v9, v0, s0 dst_sel:DWORD dst_unused:UNUSED_PAD src0_sel:WORD_0 src1_sel:DWORD
	v_addc_co_u32_e32 v16, vcc, 0, v10, vcc
	v_lshrrev_b32_e32 v22, 16, v9
	v_mov_b32_e32 v9, s19
	v_add_co_u32_e32 v10, vcc, s18, v22
	v_addc_co_u32_e32 v11, vcc, 0, v9, vcc
	v_subrev_co_u32_e32 v9, vcc, s14, v10
	v_subbrev_co_u32_e32 v10, vcc, 0, v11, vcc
	v_lshlrev_b64 v[9:10], 3, v[9:10]
	v_mov_b32_e32 v11, s9
	v_add_co_u32_e32 v17, vcc, s8, v9
	v_addc_co_u32_e32 v18, vcc, v11, v10, vcc
	v_mov_b32_e32 v11, 0
	v_mov_b32_e32 v12, 0
	v_mov_b32_e32 v20, s3
	v_mov_b32_e32 v9, v11
	s_movk_i32 s8, 0x130
	v_mov_b32_e32 v19, s2
	v_mov_b32_e32 v10, v12
	s_branch .LBB562_8
.LBB562_7:                              ;   in Loop: Header=BB562_8 Depth=1
	s_or_b64 exec, exec, s[0:1]
	s_add_u32 s4, s4, 1
	s_addc_u32 s5, s5, 0
	v_cmp_lt_i64_e32 vcc, s[4:5], v[19:20]
	v_add_co_u32_e64 v17, s[0:1], 8, v17
	v_addc_co_u32_e64 v18, s[0:1], 0, v18, s[0:1]
	s_cbranch_vccz .LBB562_10
.LBB562_8:                              ; =>This Inner Loop Header: Depth=1
	v_mov_b32_e32 v24, s5
	v_add_co_u32_e32 v23, vcc, s4, v22
	v_addc_co_u32_e32 v24, vcc, 0, v24, vcc
	v_cmp_gt_i64_e32 vcc, s[2:3], v[23:24]
	s_and_saveexec_b64 s[0:1], vcc
	s_cbranch_execz .LBB562_7
; %bb.9:                                ;   in Loop: Header=BB562_8 Depth=1
	global_load_dwordx2 v[23:24], v[17:18], off
	s_waitcnt vmcnt(0)
	v_subrev_co_u32_e32 v23, vcc, s14, v23
	v_subbrev_co_u32_e32 v25, vcc, 0, v24, vcc
	v_mad_u64_u32 v[23:24], s[10:11], v23, s8, v[13:14]
	v_mad_u64_u32 v[24:25], s[10:11], v25, s8, v[24:25]
	global_load_dwordx2 v[27:28], v[15:16], off
	s_nop 0
	global_load_dwordx4 v[23:26], v[23:24], off
	v_add_co_u32_e32 v15, vcc, 0xb48, v15
	v_addc_co_u32_e32 v16, vcc, 0, v16, vcc
	s_waitcnt vmcnt(1)
	v_cvt_f64_f32_e32 v[29:30], v27
	v_cvt_f64_f32_e32 v[27:28], v28
	s_waitcnt vmcnt(0)
	v_fma_f64 v[9:10], v[29:30], v[23:24], v[9:10]
	v_fma_f64 v[11:12], v[27:28], v[23:24], v[11:12]
	v_fma_f64 v[9:10], -v[27:28], v[25:26], v[9:10]
	v_fma_f64 v[11:12], v[29:30], v[25:26], v[11:12]
	s_branch .LBB562_7
.LBB562_10:
	v_lshlrev_b32_e32 v17, 4, v0
	s_and_b64 vcc, exec, s[16:17]
	ds_write_b128 v17, v[9:12]
	s_waitcnt lgkmcnt(0)
	s_barrier
	s_cbranch_vccz .LBB562_22
; %bb.11:
	v_cmp_gt_u16_e32 vcc, 3, v21
	s_and_saveexec_b64 s[0:1], vcc
	s_cbranch_execz .LBB562_13
; %bb.12:
	ds_read_b128 v[13:16], v17 offset:256
	ds_read_b128 v[22:25], v17
	s_waitcnt lgkmcnt(0)
	v_add_f64 v[13:14], v[13:14], v[22:23]
	v_add_f64 v[15:16], v[15:16], v[24:25]
	ds_write_b128 v17, v[13:16]
.LBB562_13:
	s_or_b64 exec, exec, s[0:1]
	v_cmp_gt_u16_e32 vcc, 8, v21
	s_waitcnt lgkmcnt(0)
	s_barrier
	s_and_saveexec_b64 s[0:1], vcc
	s_cbranch_execz .LBB562_15
; %bb.14:
	ds_read_b128 v[13:16], v17 offset:128
	ds_read_b128 v[22:25], v17
	s_waitcnt lgkmcnt(0)
	v_add_f64 v[13:14], v[13:14], v[22:23]
	v_add_f64 v[15:16], v[15:16], v[24:25]
	ds_write_b128 v17, v[13:16]
.LBB562_15:
	s_or_b64 exec, exec, s[0:1]
	v_cmp_gt_u16_e32 vcc, 4, v21
	s_waitcnt lgkmcnt(0)
	s_barrier
	;; [unrolled: 14-line block ×3, first 2 shown]
	s_and_saveexec_b64 s[0:1], vcc
	s_cbranch_execz .LBB562_19
; %bb.18:
	ds_read_b128 v[13:16], v17
	ds_read_b128 v[18:21], v17 offset:32
	s_waitcnt lgkmcnt(0)
	v_add_f64 v[13:14], v[18:19], v[13:14]
	v_add_f64 v[15:16], v[20:21], v[15:16]
	ds_write_b128 v17, v[13:16]
.LBB562_19:
	s_or_b64 exec, exec, s[0:1]
	v_mov_b32_e32 v16, v12
	v_mov_b32_e32 v14, v10
	v_cmp_gt_u32_e32 vcc, 19, v0
	v_mov_b32_e32 v15, v11
	v_mov_b32_e32 v13, v9
	s_waitcnt lgkmcnt(0)
	s_barrier
	s_and_saveexec_b64 s[0:1], vcc
	s_cbranch_execz .LBB562_21
; %bb.20:
	s_movk_i32 s2, 0x120
	v_mad_u32_u24 v18, v0, s2, v17
	ds_read_b128 v[13:16], v18
	ds_read_b128 v[18:21], v18 offset:16
	s_waitcnt lgkmcnt(0)
	v_add_f64 v[13:14], v[18:19], v[13:14]
	v_add_f64 v[15:16], v[20:21], v[15:16]
.LBB562_21:
	s_or_b64 exec, exec, s[0:1]
	s_branch .LBB562_34
.LBB562_22:
                                        ; implicit-def: $vgpr15_vgpr16
                                        ; implicit-def: $vgpr13_vgpr14
	s_cbranch_execz .LBB562_34
; %bb.23:
	v_cmp_gt_u32_e32 vcc, 57, v0
	s_and_saveexec_b64 s[0:1], vcc
	s_cbranch_execz .LBB562_25
; %bb.24:
	ds_read_b128 v[13:16], v17 offset:4864
	ds_read_b128 v[18:21], v17
	s_waitcnt lgkmcnt(0)
	v_add_f64 v[13:14], v[13:14], v[18:19]
	v_add_f64 v[15:16], v[15:16], v[20:21]
	ds_write_b128 v17, v[13:16]
.LBB562_25:
	s_or_b64 exec, exec, s[0:1]
	s_movk_i32 s0, 0x98
	v_cmp_gt_u32_e32 vcc, s0, v0
	s_waitcnt lgkmcnt(0)
	s_barrier
	s_and_saveexec_b64 s[0:1], vcc
	s_cbranch_execz .LBB562_27
; %bb.26:
	ds_read_b128 v[13:16], v17 offset:2432
	ds_read_b128 v[18:21], v17
	s_waitcnt lgkmcnt(0)
	v_add_f64 v[13:14], v[13:14], v[18:19]
	v_add_f64 v[15:16], v[15:16], v[20:21]
	ds_write_b128 v17, v[13:16]
.LBB562_27:
	s_or_b64 exec, exec, s[0:1]
	s_movk_i32 s0, 0x4c
	v_cmp_gt_u32_e32 vcc, s0, v0
	s_waitcnt lgkmcnt(0)
	s_barrier
	s_and_saveexec_b64 s[0:1], vcc
	s_cbranch_execz .LBB562_29
; %bb.28:
	ds_read_b128 v[13:16], v17 offset:1216
	ds_read_b128 v[18:21], v17
	s_waitcnt lgkmcnt(0)
	v_add_f64 v[13:14], v[13:14], v[18:19]
	v_add_f64 v[15:16], v[15:16], v[20:21]
	ds_write_b128 v17, v[13:16]
.LBB562_29:
	s_or_b64 exec, exec, s[0:1]
	v_cmp_gt_u32_e32 vcc, 38, v0
	s_waitcnt lgkmcnt(0)
	s_barrier
	s_and_saveexec_b64 s[0:1], vcc
	s_cbranch_execz .LBB562_31
; %bb.30:
	ds_read_b128 v[13:16], v17 offset:608
	ds_read_b128 v[18:21], v17
	s_waitcnt lgkmcnt(0)
	v_add_f64 v[13:14], v[13:14], v[18:19]
	v_add_f64 v[15:16], v[15:16], v[20:21]
	ds_write_b128 v17, v[13:16]
.LBB562_31:
	s_or_b64 exec, exec, s[0:1]
	v_cmp_gt_u32_e32 vcc, 19, v0
	s_waitcnt lgkmcnt(0)
	s_and_saveexec_b64 s[0:1], vcc
	s_cbranch_execz .LBB562_33
; %bb.32:
	ds_read_b128 v[9:12], v17 offset:304
	ds_read_b128 v[13:16], v17
	s_waitcnt lgkmcnt(0)
	v_add_f64 v[9:10], v[9:10], v[13:14]
	v_add_f64 v[11:12], v[11:12], v[15:16]
.LBB562_33:
	s_or_b64 exec, exec, s[0:1]
	v_mov_b32_e32 v16, v12
	v_mov_b32_e32 v14, v10
	v_mov_b32_e32 v15, v11
	v_mov_b32_e32 v13, v9
.LBB562_34:
	v_cmp_gt_u32_e32 vcc, 19, v0
	s_and_b64 exec, exec, vcc
	s_cbranch_execz .LBB562_39
; %bb.35:
	v_mul_f64 v[9:10], v[15:16], -v[7:8]
	v_mul_f64 v[11:12], v[5:6], v[15:16]
	v_cmp_eq_f64_e32 vcc, 0, v[1:2]
	v_cmp_eq_f64_e64 s[0:1], 0, v[3:4]
	s_mul_i32 s2, s7, 0x130
	s_mul_hi_u32 s3, s6, 0x130
	s_mul_i32 s4, s6, 0x130
	v_fma_f64 v[5:6], v[5:6], v[13:14], v[9:10]
	v_fma_f64 v[7:8], v[7:8], v[13:14], v[11:12]
	s_and_b64 s[0:1], vcc, s[0:1]
	s_and_saveexec_b64 s[6:7], s[0:1]
	s_xor_b64 s[0:1], exec, s[6:7]
	s_cbranch_execz .LBB562_37
; %bb.36:
	s_add_i32 s5, s3, s2
	s_add_u32 s6, s12, s4
	s_addc_u32 s7, s13, s5
	global_store_dwordx4 v17, v[5:8], s[6:7]
                                        ; implicit-def: $vgpr17
                                        ; implicit-def: $vgpr1_vgpr2
                                        ; implicit-def: $vgpr5_vgpr6
.LBB562_37:
	s_andn2_saveexec_b64 s[0:1], s[0:1]
	s_cbranch_execz .LBB562_39
; %bb.38:
	s_add_i32 s3, s3, s2
	s_add_u32 s0, s12, s4
	s_addc_u32 s1, s13, s3
	global_load_dwordx4 v[9:12], v17, s[0:1]
	s_waitcnt vmcnt(0)
	v_fma_f64 v[5:6], v[1:2], v[9:10], v[5:6]
	v_fma_f64 v[7:8], v[3:4], v[9:10], v[7:8]
	v_fma_f64 v[3:4], -v[3:4], v[11:12], v[5:6]
	v_fma_f64 v[5:6], v[1:2], v[11:12], v[7:8]
	global_store_dwordx4 v17, v[3:6], s[0:1]
.LBB562_39:
	s_endpgm
	.section	.rodata,"a",@progbits
	.p2align	6, 0x0
	.amdhsa_kernel _ZN9rocsparseL20bsrxmvn_17_32_kernelILj19E21rocsparse_complex_numIdEllS1_IfES2_S2_EEvT2_20rocsparse_direction_NS_24const_host_device_scalarIT0_EES4_PKS4_PKT1_SD_SA_PKT3_PKT4_S8_PT5_21rocsparse_index_base_b
		.amdhsa_group_segment_fixed_size 5776
		.amdhsa_private_segment_fixed_size 0
		.amdhsa_kernarg_size 120
		.amdhsa_user_sgpr_count 6
		.amdhsa_user_sgpr_private_segment_buffer 1
		.amdhsa_user_sgpr_dispatch_ptr 0
		.amdhsa_user_sgpr_queue_ptr 0
		.amdhsa_user_sgpr_kernarg_segment_ptr 1
		.amdhsa_user_sgpr_dispatch_id 0
		.amdhsa_user_sgpr_flat_scratch_init 0
		.amdhsa_user_sgpr_private_segment_size 0
		.amdhsa_uses_dynamic_stack 0
		.amdhsa_system_sgpr_private_segment_wavefront_offset 0
		.amdhsa_system_sgpr_workgroup_id_x 1
		.amdhsa_system_sgpr_workgroup_id_y 0
		.amdhsa_system_sgpr_workgroup_id_z 0
		.amdhsa_system_sgpr_workgroup_info 0
		.amdhsa_system_vgpr_workitem_id 0
		.amdhsa_next_free_vgpr 31
		.amdhsa_next_free_sgpr 61
		.amdhsa_reserve_vcc 1
		.amdhsa_reserve_flat_scratch 0
		.amdhsa_float_round_mode_32 0
		.amdhsa_float_round_mode_16_64 0
		.amdhsa_float_denorm_mode_32 3
		.amdhsa_float_denorm_mode_16_64 3
		.amdhsa_dx10_clamp 1
		.amdhsa_ieee_mode 1
		.amdhsa_fp16_overflow 0
		.amdhsa_exception_fp_ieee_invalid_op 0
		.amdhsa_exception_fp_denorm_src 0
		.amdhsa_exception_fp_ieee_div_zero 0
		.amdhsa_exception_fp_ieee_overflow 0
		.amdhsa_exception_fp_ieee_underflow 0
		.amdhsa_exception_fp_ieee_inexact 0
		.amdhsa_exception_int_div_zero 0
	.end_amdhsa_kernel
	.section	.text._ZN9rocsparseL20bsrxmvn_17_32_kernelILj19E21rocsparse_complex_numIdEllS1_IfES2_S2_EEvT2_20rocsparse_direction_NS_24const_host_device_scalarIT0_EES4_PKS4_PKT1_SD_SA_PKT3_PKT4_S8_PT5_21rocsparse_index_base_b,"axG",@progbits,_ZN9rocsparseL20bsrxmvn_17_32_kernelILj19E21rocsparse_complex_numIdEllS1_IfES2_S2_EEvT2_20rocsparse_direction_NS_24const_host_device_scalarIT0_EES4_PKS4_PKT1_SD_SA_PKT3_PKT4_S8_PT5_21rocsparse_index_base_b,comdat
.Lfunc_end562:
	.size	_ZN9rocsparseL20bsrxmvn_17_32_kernelILj19E21rocsparse_complex_numIdEllS1_IfES2_S2_EEvT2_20rocsparse_direction_NS_24const_host_device_scalarIT0_EES4_PKS4_PKT1_SD_SA_PKT3_PKT4_S8_PT5_21rocsparse_index_base_b, .Lfunc_end562-_ZN9rocsparseL20bsrxmvn_17_32_kernelILj19E21rocsparse_complex_numIdEllS1_IfES2_S2_EEvT2_20rocsparse_direction_NS_24const_host_device_scalarIT0_EES4_PKS4_PKT1_SD_SA_PKT3_PKT4_S8_PT5_21rocsparse_index_base_b
                                        ; -- End function
	.set _ZN9rocsparseL20bsrxmvn_17_32_kernelILj19E21rocsparse_complex_numIdEllS1_IfES2_S2_EEvT2_20rocsparse_direction_NS_24const_host_device_scalarIT0_EES4_PKS4_PKT1_SD_SA_PKT3_PKT4_S8_PT5_21rocsparse_index_base_b.num_vgpr, 31
	.set _ZN9rocsparseL20bsrxmvn_17_32_kernelILj19E21rocsparse_complex_numIdEllS1_IfES2_S2_EEvT2_20rocsparse_direction_NS_24const_host_device_scalarIT0_EES4_PKS4_PKT1_SD_SA_PKT3_PKT4_S8_PT5_21rocsparse_index_base_b.num_agpr, 0
	.set _ZN9rocsparseL20bsrxmvn_17_32_kernelILj19E21rocsparse_complex_numIdEllS1_IfES2_S2_EEvT2_20rocsparse_direction_NS_24const_host_device_scalarIT0_EES4_PKS4_PKT1_SD_SA_PKT3_PKT4_S8_PT5_21rocsparse_index_base_b.numbered_sgpr, 22
	.set _ZN9rocsparseL20bsrxmvn_17_32_kernelILj19E21rocsparse_complex_numIdEllS1_IfES2_S2_EEvT2_20rocsparse_direction_NS_24const_host_device_scalarIT0_EES4_PKS4_PKT1_SD_SA_PKT3_PKT4_S8_PT5_21rocsparse_index_base_b.num_named_barrier, 0
	.set _ZN9rocsparseL20bsrxmvn_17_32_kernelILj19E21rocsparse_complex_numIdEllS1_IfES2_S2_EEvT2_20rocsparse_direction_NS_24const_host_device_scalarIT0_EES4_PKS4_PKT1_SD_SA_PKT3_PKT4_S8_PT5_21rocsparse_index_base_b.private_seg_size, 0
	.set _ZN9rocsparseL20bsrxmvn_17_32_kernelILj19E21rocsparse_complex_numIdEllS1_IfES2_S2_EEvT2_20rocsparse_direction_NS_24const_host_device_scalarIT0_EES4_PKS4_PKT1_SD_SA_PKT3_PKT4_S8_PT5_21rocsparse_index_base_b.uses_vcc, 1
	.set _ZN9rocsparseL20bsrxmvn_17_32_kernelILj19E21rocsparse_complex_numIdEllS1_IfES2_S2_EEvT2_20rocsparse_direction_NS_24const_host_device_scalarIT0_EES4_PKS4_PKT1_SD_SA_PKT3_PKT4_S8_PT5_21rocsparse_index_base_b.uses_flat_scratch, 0
	.set _ZN9rocsparseL20bsrxmvn_17_32_kernelILj19E21rocsparse_complex_numIdEllS1_IfES2_S2_EEvT2_20rocsparse_direction_NS_24const_host_device_scalarIT0_EES4_PKS4_PKT1_SD_SA_PKT3_PKT4_S8_PT5_21rocsparse_index_base_b.has_dyn_sized_stack, 0
	.set _ZN9rocsparseL20bsrxmvn_17_32_kernelILj19E21rocsparse_complex_numIdEllS1_IfES2_S2_EEvT2_20rocsparse_direction_NS_24const_host_device_scalarIT0_EES4_PKS4_PKT1_SD_SA_PKT3_PKT4_S8_PT5_21rocsparse_index_base_b.has_recursion, 0
	.set _ZN9rocsparseL20bsrxmvn_17_32_kernelILj19E21rocsparse_complex_numIdEllS1_IfES2_S2_EEvT2_20rocsparse_direction_NS_24const_host_device_scalarIT0_EES4_PKS4_PKT1_SD_SA_PKT3_PKT4_S8_PT5_21rocsparse_index_base_b.has_indirect_call, 0
	.section	.AMDGPU.csdata,"",@progbits
; Kernel info:
; codeLenInByte = 1728
; TotalNumSgprs: 26
; NumVgprs: 31
; ScratchSize: 0
; MemoryBound: 0
; FloatMode: 240
; IeeeMode: 1
; LDSByteSize: 5776 bytes/workgroup (compile time only)
; SGPRBlocks: 8
; VGPRBlocks: 7
; NumSGPRsForWavesPerEU: 65
; NumVGPRsForWavesPerEU: 31
; Occupancy: 8
; WaveLimiterHint : 1
; COMPUTE_PGM_RSRC2:SCRATCH_EN: 0
; COMPUTE_PGM_RSRC2:USER_SGPR: 6
; COMPUTE_PGM_RSRC2:TRAP_HANDLER: 0
; COMPUTE_PGM_RSRC2:TGID_X_EN: 1
; COMPUTE_PGM_RSRC2:TGID_Y_EN: 0
; COMPUTE_PGM_RSRC2:TGID_Z_EN: 0
; COMPUTE_PGM_RSRC2:TIDIG_COMP_CNT: 0
	.section	.text._ZN9rocsparseL20bsrxmvn_17_32_kernelILj20E21rocsparse_complex_numIdEllS1_IfES2_S2_EEvT2_20rocsparse_direction_NS_24const_host_device_scalarIT0_EES4_PKS4_PKT1_SD_SA_PKT3_PKT4_S8_PT5_21rocsparse_index_base_b,"axG",@progbits,_ZN9rocsparseL20bsrxmvn_17_32_kernelILj20E21rocsparse_complex_numIdEllS1_IfES2_S2_EEvT2_20rocsparse_direction_NS_24const_host_device_scalarIT0_EES4_PKS4_PKT1_SD_SA_PKT3_PKT4_S8_PT5_21rocsparse_index_base_b,comdat
	.globl	_ZN9rocsparseL20bsrxmvn_17_32_kernelILj20E21rocsparse_complex_numIdEllS1_IfES2_S2_EEvT2_20rocsparse_direction_NS_24const_host_device_scalarIT0_EES4_PKS4_PKT1_SD_SA_PKT3_PKT4_S8_PT5_21rocsparse_index_base_b ; -- Begin function _ZN9rocsparseL20bsrxmvn_17_32_kernelILj20E21rocsparse_complex_numIdEllS1_IfES2_S2_EEvT2_20rocsparse_direction_NS_24const_host_device_scalarIT0_EES4_PKS4_PKT1_SD_SA_PKT3_PKT4_S8_PT5_21rocsparse_index_base_b
	.p2align	8
	.type	_ZN9rocsparseL20bsrxmvn_17_32_kernelILj20E21rocsparse_complex_numIdEllS1_IfES2_S2_EEvT2_20rocsparse_direction_NS_24const_host_device_scalarIT0_EES4_PKS4_PKT1_SD_SA_PKT3_PKT4_S8_PT5_21rocsparse_index_base_b,@function
_ZN9rocsparseL20bsrxmvn_17_32_kernelILj20E21rocsparse_complex_numIdEllS1_IfES2_S2_EEvT2_20rocsparse_direction_NS_24const_host_device_scalarIT0_EES4_PKS4_PKT1_SD_SA_PKT3_PKT4_S8_PT5_21rocsparse_index_base_b: ; @_ZN9rocsparseL20bsrxmvn_17_32_kernelILj20E21rocsparse_complex_numIdEllS1_IfES2_S2_EEvT2_20rocsparse_direction_NS_24const_host_device_scalarIT0_EES4_PKS4_PKT1_SD_SA_PKT3_PKT4_S8_PT5_21rocsparse_index_base_b
; %bb.0:
	s_load_dwordx2 s[0:1], s[4:5], 0x10
	s_load_dwordx2 s[14:15], s[4:5], 0x70
	s_add_u32 s7, s4, 16
	s_addc_u32 s8, s5, 0
	s_add_u32 s9, s4, 0x58
	s_addc_u32 s10, s5, 0
	s_waitcnt lgkmcnt(0)
	s_bitcmp1_b32 s15, 0
	s_cselect_b32 s1, s8, s1
	s_cselect_b32 s0, s7, s0
	v_mov_b32_e32 v1, s0
	v_mov_b32_e32 v2, s1
	flat_load_dwordx4 v[5:8], v[1:2]
	s_load_dwordx2 s[2:3], s[4:5], 0x58
	s_waitcnt lgkmcnt(0)
	s_cselect_b32 s0, s10, s3
	s_cselect_b32 s1, s9, s2
	v_mov_b32_e32 v1, s1
	v_mov_b32_e32 v2, s0
	flat_load_dwordx4 v[1:4], v[1:2]
	s_waitcnt vmcnt(0)
	v_cmp_eq_f64_e32 vcc, 0, v[5:6]
	v_cmp_eq_f64_e64 s[0:1], 0, v[7:8]
	s_and_b64 s[8:9], vcc, s[0:1]
	s_mov_b64 s[0:1], -1
	s_and_saveexec_b64 s[2:3], s[8:9]
	s_cbranch_execz .LBB563_2
; %bb.1:
	s_waitcnt lgkmcnt(0)
	v_cmp_neq_f64_e32 vcc, 1.0, v[1:2]
	v_cmp_neq_f64_e64 s[0:1], 0, v[3:4]
	s_or_b64 s[0:1], vcc, s[0:1]
	s_orn2_b64 s[0:1], s[0:1], exec
.LBB563_2:
	s_or_b64 exec, exec, s[2:3]
	s_and_saveexec_b64 s[2:3], s[0:1]
	s_cbranch_execz .LBB563_39
; %bb.3:
	s_load_dwordx4 s[0:3], s[4:5], 0x28
	s_load_dwordx2 s[8:9], s[4:5], 0x38
	s_mov_b32 s7, 0
	s_waitcnt lgkmcnt(0)
	s_cmp_eq_u64 s[0:1], 0
	s_cbranch_scc1 .LBB563_5
; %bb.4:
	s_lshl_b64 s[6:7], s[6:7], 3
	s_add_u32 s0, s0, s6
	s_addc_u32 s1, s1, s7
	s_load_dwordx2 s[0:1], s[0:1], 0x0
	s_waitcnt lgkmcnt(0)
	s_sub_u32 s6, s0, s14
	s_subb_u32 s7, s1, 0
.LBB563_5:
	s_load_dword s10, s[4:5], 0x8
	s_load_dwordx2 s[12:13], s[4:5], 0x68
	v_mul_u32_u24_e32 v13, 0xccd, v0
	v_mov_b32_e32 v14, 20
	v_mul_lo_u16_sdwa v9, v13, v14 dst_sel:DWORD dst_unused:UNUSED_PAD src0_sel:WORD_1 src1_sel:DWORD
	s_waitcnt lgkmcnt(0)
	s_cmp_eq_u32 s10, 1
	s_cselect_b64 s[0:1], -1, 0
	s_cmp_lg_u32 s10, 1
	s_cselect_b64 s[16:17], -1, 0
	s_lshl_b64 s[10:11], s[6:7], 3
	s_add_u32 s20, s2, s10
	s_addc_u32 s21, s3, s11
	s_add_u32 s2, s20, 8
	s_addc_u32 s3, s21, 0
	s_add_u32 s10, s8, s10
	s_addc_u32 s11, s9, s11
	s_cmp_eq_u64 s[8:9], 0
	s_cselect_b32 s9, s3, s11
	s_cselect_b32 s8, s2, s10
	s_load_dwordx2 s[2:3], s[8:9], 0x0
	s_load_dwordx2 s[18:19], s[20:21], 0x0
	v_sub_u16_e32 v21, v0, v9
	v_mov_b32_e32 v11, 0
	v_mov_b32_e32 v12, 0
	s_waitcnt lgkmcnt(0)
	v_mov_b32_e32 v10, s3
	v_mov_b32_e32 v9, s2
	v_cmp_ge_i64_e32 vcc, s[18:19], v[9:10]
	v_mov_b32_e32 v9, 0
	v_mov_b32_e32 v10, 0
	s_cbranch_vccnz .LBB563_10
; %bb.6:
	v_mov_b32_e32 v9, 13
	v_mul_lo_u16_sdwa v9, v13, v9 dst_sel:DWORD dst_unused:UNUSED_PAD src0_sel:WORD_1 src1_sel:DWORD
	v_mul_lo_u16_sdwa v9, v9, v14 dst_sel:DWORD dst_unused:UNUSED_PAD src0_sel:BYTE_1 src1_sel:DWORD
	s_sub_u32 s2, s2, s14
	s_load_dwordx2 s[20:21], s[4:5], 0x50
	s_load_dwordx4 s[8:11], s[4:5], 0x40
	v_sub_u16_sdwa v9, v13, v9 dst_sel:DWORD dst_unused:UNUSED_PAD src0_sel:WORD_1 src1_sel:DWORD
	s_subb_u32 s3, s3, 0
	v_and_b32_e32 v9, 0xff, v9
	s_sub_u32 s4, s18, s14
	v_cndmask_b32_e64 v9, v21, v9, s[0:1]
	s_subb_u32 s5, s19, 0
	v_lshlrev_b32_e32 v9, 4, v9
	s_mul_i32 s0, s5, 0xc80
	s_mul_hi_u32 s1, s4, 0xc80
	s_waitcnt lgkmcnt(0)
	v_mov_b32_e32 v10, s21
	v_add_co_u32_e32 v13, vcc, s20, v9
	s_add_i32 s1, s1, s0
	s_mul_i32 s0, s4, 0xc80
	v_addc_co_u32_e32 v14, vcc, 0, v10, vcc
	s_add_u32 s0, s10, s0
	v_lshlrev_b32_e32 v9, 3, v0
	s_addc_u32 s1, s11, s1
	v_add_co_u32_e32 v15, vcc, s0, v9
	s_movk_i32 s0, 0xa4
	v_mov_b32_e32 v10, s1
	v_mul_u32_u24_sdwa v9, v0, s0 dst_sel:DWORD dst_unused:UNUSED_PAD src0_sel:WORD_0 src1_sel:DWORD
	v_addc_co_u32_e32 v16, vcc, 0, v10, vcc
	v_lshrrev_b32_e32 v22, 16, v9
	v_mov_b32_e32 v9, s19
	v_add_co_u32_e32 v10, vcc, s18, v22
	v_addc_co_u32_e32 v11, vcc, 0, v9, vcc
	v_subrev_co_u32_e32 v9, vcc, s14, v10
	v_subbrev_co_u32_e32 v10, vcc, 0, v11, vcc
	v_lshlrev_b64 v[9:10], 3, v[9:10]
	v_mov_b32_e32 v11, s9
	v_add_co_u32_e32 v17, vcc, s8, v9
	v_addc_co_u32_e32 v18, vcc, v11, v10, vcc
	v_mov_b32_e32 v11, 0
	v_mov_b32_e32 v12, 0
	;; [unrolled: 1-line block ×4, first 2 shown]
	s_movk_i32 s8, 0x140
	v_mov_b32_e32 v19, s2
	v_mov_b32_e32 v10, v12
	s_branch .LBB563_8
.LBB563_7:                              ;   in Loop: Header=BB563_8 Depth=1
	s_or_b64 exec, exec, s[0:1]
	s_add_u32 s4, s4, 1
	s_addc_u32 s5, s5, 0
	v_cmp_lt_i64_e32 vcc, s[4:5], v[19:20]
	v_add_co_u32_e64 v17, s[0:1], 8, v17
	v_addc_co_u32_e64 v18, s[0:1], 0, v18, s[0:1]
	s_cbranch_vccz .LBB563_10
.LBB563_8:                              ; =>This Inner Loop Header: Depth=1
	v_mov_b32_e32 v24, s5
	v_add_co_u32_e32 v23, vcc, s4, v22
	v_addc_co_u32_e32 v24, vcc, 0, v24, vcc
	v_cmp_gt_i64_e32 vcc, s[2:3], v[23:24]
	s_and_saveexec_b64 s[0:1], vcc
	s_cbranch_execz .LBB563_7
; %bb.9:                                ;   in Loop: Header=BB563_8 Depth=1
	global_load_dwordx2 v[23:24], v[17:18], off
	s_waitcnt vmcnt(0)
	v_subrev_co_u32_e32 v23, vcc, s14, v23
	v_subbrev_co_u32_e32 v25, vcc, 0, v24, vcc
	v_mad_u64_u32 v[23:24], s[10:11], v23, s8, v[13:14]
	v_mad_u64_u32 v[24:25], s[10:11], v25, s8, v[24:25]
	global_load_dwordx2 v[27:28], v[15:16], off
	s_nop 0
	global_load_dwordx4 v[23:26], v[23:24], off
	v_add_co_u32_e32 v15, vcc, 0xc80, v15
	v_addc_co_u32_e32 v16, vcc, 0, v16, vcc
	s_waitcnt vmcnt(1)
	v_cvt_f64_f32_e32 v[29:30], v27
	v_cvt_f64_f32_e32 v[27:28], v28
	s_waitcnt vmcnt(0)
	v_fma_f64 v[9:10], v[29:30], v[23:24], v[9:10]
	v_fma_f64 v[11:12], v[27:28], v[23:24], v[11:12]
	v_fma_f64 v[9:10], -v[27:28], v[25:26], v[9:10]
	v_fma_f64 v[11:12], v[29:30], v[25:26], v[11:12]
	s_branch .LBB563_7
.LBB563_10:
	v_lshlrev_b32_e32 v17, 4, v0
	s_and_b64 vcc, exec, s[16:17]
	ds_write_b128 v17, v[9:12]
	s_waitcnt lgkmcnt(0)
	s_barrier
	s_cbranch_vccz .LBB563_22
; %bb.11:
	v_cmp_gt_u16_e32 vcc, 4, v21
	s_and_saveexec_b64 s[0:1], vcc
	s_cbranch_execz .LBB563_13
; %bb.12:
	ds_read_b128 v[13:16], v17 offset:256
	ds_read_b128 v[22:25], v17
	s_waitcnt lgkmcnt(0)
	v_add_f64 v[13:14], v[13:14], v[22:23]
	v_add_f64 v[15:16], v[15:16], v[24:25]
	ds_write_b128 v17, v[13:16]
.LBB563_13:
	s_or_b64 exec, exec, s[0:1]
	v_cmp_gt_u16_e64 s[0:1], 8, v21
	s_waitcnt lgkmcnt(0)
	s_barrier
	s_and_saveexec_b64 s[2:3], s[0:1]
	s_cbranch_execz .LBB563_15
; %bb.14:
	ds_read_b128 v[13:16], v17 offset:128
	ds_read_b128 v[22:25], v17
	s_waitcnt lgkmcnt(0)
	v_add_f64 v[13:14], v[13:14], v[22:23]
	v_add_f64 v[15:16], v[15:16], v[24:25]
	ds_write_b128 v17, v[13:16]
.LBB563_15:
	s_or_b64 exec, exec, s[2:3]
	s_waitcnt lgkmcnt(0)
	s_barrier
	s_and_saveexec_b64 s[0:1], vcc
	s_cbranch_execz .LBB563_17
; %bb.16:
	ds_read_b128 v[13:16], v17 offset:64
	ds_read_b128 v[22:25], v17
	s_waitcnt lgkmcnt(0)
	v_add_f64 v[13:14], v[13:14], v[22:23]
	v_add_f64 v[15:16], v[15:16], v[24:25]
	ds_write_b128 v17, v[13:16]
.LBB563_17:
	s_or_b64 exec, exec, s[0:1]
	v_cmp_gt_u16_e32 vcc, 2, v21
	s_waitcnt lgkmcnt(0)
	s_barrier
	s_and_saveexec_b64 s[0:1], vcc
	s_cbranch_execz .LBB563_19
; %bb.18:
	ds_read_b128 v[13:16], v17
	ds_read_b128 v[18:21], v17 offset:32
	s_waitcnt lgkmcnt(0)
	v_add_f64 v[13:14], v[18:19], v[13:14]
	v_add_f64 v[15:16], v[20:21], v[15:16]
	ds_write_b128 v17, v[13:16]
.LBB563_19:
	s_or_b64 exec, exec, s[0:1]
	v_mov_b32_e32 v16, v12
	v_mov_b32_e32 v14, v10
	v_cmp_gt_u32_e32 vcc, 20, v0
	v_mov_b32_e32 v15, v11
	v_mov_b32_e32 v13, v9
	s_waitcnt lgkmcnt(0)
	s_barrier
	s_and_saveexec_b64 s[0:1], vcc
	s_cbranch_execz .LBB563_21
; %bb.20:
	s_movk_i32 s2, 0x130
	v_mad_u32_u24 v18, v0, s2, v17
	ds_read_b128 v[13:16], v18
	ds_read_b128 v[18:21], v18 offset:16
	s_waitcnt lgkmcnt(0)
	v_add_f64 v[13:14], v[18:19], v[13:14]
	v_add_f64 v[15:16], v[20:21], v[15:16]
.LBB563_21:
	s_or_b64 exec, exec, s[0:1]
	s_branch .LBB563_34
.LBB563_22:
                                        ; implicit-def: $vgpr15_vgpr16
                                        ; implicit-def: $vgpr13_vgpr14
	s_cbranch_execz .LBB563_34
; %bb.23:
	s_movk_i32 s0, 0x50
	v_cmp_gt_u32_e32 vcc, s0, v0
	s_and_saveexec_b64 s[0:1], vcc
	s_cbranch_execz .LBB563_25
; %bb.24:
	ds_read_b128 v[13:16], v17 offset:5120
	ds_read_b128 v[18:21], v17
	s_waitcnt lgkmcnt(0)
	v_add_f64 v[13:14], v[13:14], v[18:19]
	v_add_f64 v[15:16], v[15:16], v[20:21]
	ds_write_b128 v17, v[13:16]
.LBB563_25:
	s_or_b64 exec, exec, s[0:1]
	s_movk_i32 s0, 0xa0
	v_cmp_gt_u32_e64 s[0:1], s0, v0
	s_waitcnt lgkmcnt(0)
	s_barrier
	s_and_saveexec_b64 s[2:3], s[0:1]
	s_cbranch_execz .LBB563_27
; %bb.26:
	ds_read_b128 v[13:16], v17 offset:2560
	ds_read_b128 v[18:21], v17
	s_waitcnt lgkmcnt(0)
	v_add_f64 v[13:14], v[13:14], v[18:19]
	v_add_f64 v[15:16], v[15:16], v[20:21]
	ds_write_b128 v17, v[13:16]
.LBB563_27:
	s_or_b64 exec, exec, s[2:3]
	s_waitcnt lgkmcnt(0)
	s_barrier
	s_and_saveexec_b64 s[0:1], vcc
	s_cbranch_execz .LBB563_29
; %bb.28:
	ds_read_b128 v[13:16], v17 offset:1280
	ds_read_b128 v[18:21], v17
	s_waitcnt lgkmcnt(0)
	v_add_f64 v[13:14], v[13:14], v[18:19]
	v_add_f64 v[15:16], v[15:16], v[20:21]
	ds_write_b128 v17, v[13:16]
.LBB563_29:
	s_or_b64 exec, exec, s[0:1]
	v_cmp_gt_u32_e32 vcc, 40, v0
	s_waitcnt lgkmcnt(0)
	s_barrier
	s_and_saveexec_b64 s[0:1], vcc
	s_cbranch_execz .LBB563_31
; %bb.30:
	ds_read_b128 v[13:16], v17 offset:640
	ds_read_b128 v[18:21], v17
	s_waitcnt lgkmcnt(0)
	v_add_f64 v[13:14], v[13:14], v[18:19]
	v_add_f64 v[15:16], v[15:16], v[20:21]
	ds_write_b128 v17, v[13:16]
.LBB563_31:
	s_or_b64 exec, exec, s[0:1]
	v_cmp_gt_u32_e32 vcc, 20, v0
	s_waitcnt lgkmcnt(0)
	s_and_saveexec_b64 s[0:1], vcc
	s_cbranch_execz .LBB563_33
; %bb.32:
	ds_read_b128 v[9:12], v17 offset:320
	ds_read_b128 v[13:16], v17
	s_waitcnt lgkmcnt(0)
	v_add_f64 v[9:10], v[9:10], v[13:14]
	v_add_f64 v[11:12], v[11:12], v[15:16]
.LBB563_33:
	s_or_b64 exec, exec, s[0:1]
	v_mov_b32_e32 v16, v12
	v_mov_b32_e32 v14, v10
	;; [unrolled: 1-line block ×4, first 2 shown]
.LBB563_34:
	v_cmp_gt_u32_e32 vcc, 20, v0
	s_and_b64 exec, exec, vcc
	s_cbranch_execz .LBB563_39
; %bb.35:
	v_mul_f64 v[9:10], v[15:16], -v[7:8]
	v_mul_f64 v[11:12], v[5:6], v[15:16]
	v_cmp_eq_f64_e32 vcc, 0, v[1:2]
	v_cmp_eq_f64_e64 s[0:1], 0, v[3:4]
	s_mul_i32 s2, s7, 0x140
	s_mul_hi_u32 s3, s6, 0x140
	s_mul_i32 s4, s6, 0x140
	v_fma_f64 v[5:6], v[5:6], v[13:14], v[9:10]
	v_fma_f64 v[7:8], v[7:8], v[13:14], v[11:12]
	s_and_b64 s[0:1], vcc, s[0:1]
	s_and_saveexec_b64 s[6:7], s[0:1]
	s_xor_b64 s[0:1], exec, s[6:7]
	s_cbranch_execz .LBB563_37
; %bb.36:
	s_add_i32 s5, s3, s2
	s_add_u32 s6, s12, s4
	s_addc_u32 s7, s13, s5
	global_store_dwordx4 v17, v[5:8], s[6:7]
                                        ; implicit-def: $vgpr17
                                        ; implicit-def: $vgpr1_vgpr2
                                        ; implicit-def: $vgpr5_vgpr6
.LBB563_37:
	s_andn2_saveexec_b64 s[0:1], s[0:1]
	s_cbranch_execz .LBB563_39
; %bb.38:
	s_add_i32 s3, s3, s2
	s_add_u32 s0, s12, s4
	s_addc_u32 s1, s13, s3
	global_load_dwordx4 v[9:12], v17, s[0:1]
	s_waitcnt vmcnt(0)
	v_fma_f64 v[5:6], v[1:2], v[9:10], v[5:6]
	v_fma_f64 v[7:8], v[3:4], v[9:10], v[7:8]
	v_fma_f64 v[3:4], -v[3:4], v[11:12], v[5:6]
	v_fma_f64 v[5:6], v[1:2], v[11:12], v[7:8]
	global_store_dwordx4 v17, v[3:6], s[0:1]
.LBB563_39:
	s_endpgm
	.section	.rodata,"a",@progbits
	.p2align	6, 0x0
	.amdhsa_kernel _ZN9rocsparseL20bsrxmvn_17_32_kernelILj20E21rocsparse_complex_numIdEllS1_IfES2_S2_EEvT2_20rocsparse_direction_NS_24const_host_device_scalarIT0_EES4_PKS4_PKT1_SD_SA_PKT3_PKT4_S8_PT5_21rocsparse_index_base_b
		.amdhsa_group_segment_fixed_size 6400
		.amdhsa_private_segment_fixed_size 0
		.amdhsa_kernarg_size 120
		.amdhsa_user_sgpr_count 6
		.amdhsa_user_sgpr_private_segment_buffer 1
		.amdhsa_user_sgpr_dispatch_ptr 0
		.amdhsa_user_sgpr_queue_ptr 0
		.amdhsa_user_sgpr_kernarg_segment_ptr 1
		.amdhsa_user_sgpr_dispatch_id 0
		.amdhsa_user_sgpr_flat_scratch_init 0
		.amdhsa_user_sgpr_private_segment_size 0
		.amdhsa_uses_dynamic_stack 0
		.amdhsa_system_sgpr_private_segment_wavefront_offset 0
		.amdhsa_system_sgpr_workgroup_id_x 1
		.amdhsa_system_sgpr_workgroup_id_y 0
		.amdhsa_system_sgpr_workgroup_id_z 0
		.amdhsa_system_sgpr_workgroup_info 0
		.amdhsa_system_vgpr_workitem_id 0
		.amdhsa_next_free_vgpr 31
		.amdhsa_next_free_sgpr 61
		.amdhsa_reserve_vcc 1
		.amdhsa_reserve_flat_scratch 0
		.amdhsa_float_round_mode_32 0
		.amdhsa_float_round_mode_16_64 0
		.amdhsa_float_denorm_mode_32 3
		.amdhsa_float_denorm_mode_16_64 3
		.amdhsa_dx10_clamp 1
		.amdhsa_ieee_mode 1
		.amdhsa_fp16_overflow 0
		.amdhsa_exception_fp_ieee_invalid_op 0
		.amdhsa_exception_fp_denorm_src 0
		.amdhsa_exception_fp_ieee_div_zero 0
		.amdhsa_exception_fp_ieee_overflow 0
		.amdhsa_exception_fp_ieee_underflow 0
		.amdhsa_exception_fp_ieee_inexact 0
		.amdhsa_exception_int_div_zero 0
	.end_amdhsa_kernel
	.section	.text._ZN9rocsparseL20bsrxmvn_17_32_kernelILj20E21rocsparse_complex_numIdEllS1_IfES2_S2_EEvT2_20rocsparse_direction_NS_24const_host_device_scalarIT0_EES4_PKS4_PKT1_SD_SA_PKT3_PKT4_S8_PT5_21rocsparse_index_base_b,"axG",@progbits,_ZN9rocsparseL20bsrxmvn_17_32_kernelILj20E21rocsparse_complex_numIdEllS1_IfES2_S2_EEvT2_20rocsparse_direction_NS_24const_host_device_scalarIT0_EES4_PKS4_PKT1_SD_SA_PKT3_PKT4_S8_PT5_21rocsparse_index_base_b,comdat
.Lfunc_end563:
	.size	_ZN9rocsparseL20bsrxmvn_17_32_kernelILj20E21rocsparse_complex_numIdEllS1_IfES2_S2_EEvT2_20rocsparse_direction_NS_24const_host_device_scalarIT0_EES4_PKS4_PKT1_SD_SA_PKT3_PKT4_S8_PT5_21rocsparse_index_base_b, .Lfunc_end563-_ZN9rocsparseL20bsrxmvn_17_32_kernelILj20E21rocsparse_complex_numIdEllS1_IfES2_S2_EEvT2_20rocsparse_direction_NS_24const_host_device_scalarIT0_EES4_PKS4_PKT1_SD_SA_PKT3_PKT4_S8_PT5_21rocsparse_index_base_b
                                        ; -- End function
	.set _ZN9rocsparseL20bsrxmvn_17_32_kernelILj20E21rocsparse_complex_numIdEllS1_IfES2_S2_EEvT2_20rocsparse_direction_NS_24const_host_device_scalarIT0_EES4_PKS4_PKT1_SD_SA_PKT3_PKT4_S8_PT5_21rocsparse_index_base_b.num_vgpr, 31
	.set _ZN9rocsparseL20bsrxmvn_17_32_kernelILj20E21rocsparse_complex_numIdEllS1_IfES2_S2_EEvT2_20rocsparse_direction_NS_24const_host_device_scalarIT0_EES4_PKS4_PKT1_SD_SA_PKT3_PKT4_S8_PT5_21rocsparse_index_base_b.num_agpr, 0
	.set _ZN9rocsparseL20bsrxmvn_17_32_kernelILj20E21rocsparse_complex_numIdEllS1_IfES2_S2_EEvT2_20rocsparse_direction_NS_24const_host_device_scalarIT0_EES4_PKS4_PKT1_SD_SA_PKT3_PKT4_S8_PT5_21rocsparse_index_base_b.numbered_sgpr, 22
	.set _ZN9rocsparseL20bsrxmvn_17_32_kernelILj20E21rocsparse_complex_numIdEllS1_IfES2_S2_EEvT2_20rocsparse_direction_NS_24const_host_device_scalarIT0_EES4_PKS4_PKT1_SD_SA_PKT3_PKT4_S8_PT5_21rocsparse_index_base_b.num_named_barrier, 0
	.set _ZN9rocsparseL20bsrxmvn_17_32_kernelILj20E21rocsparse_complex_numIdEllS1_IfES2_S2_EEvT2_20rocsparse_direction_NS_24const_host_device_scalarIT0_EES4_PKS4_PKT1_SD_SA_PKT3_PKT4_S8_PT5_21rocsparse_index_base_b.private_seg_size, 0
	.set _ZN9rocsparseL20bsrxmvn_17_32_kernelILj20E21rocsparse_complex_numIdEllS1_IfES2_S2_EEvT2_20rocsparse_direction_NS_24const_host_device_scalarIT0_EES4_PKS4_PKT1_SD_SA_PKT3_PKT4_S8_PT5_21rocsparse_index_base_b.uses_vcc, 1
	.set _ZN9rocsparseL20bsrxmvn_17_32_kernelILj20E21rocsparse_complex_numIdEllS1_IfES2_S2_EEvT2_20rocsparse_direction_NS_24const_host_device_scalarIT0_EES4_PKS4_PKT1_SD_SA_PKT3_PKT4_S8_PT5_21rocsparse_index_base_b.uses_flat_scratch, 0
	.set _ZN9rocsparseL20bsrxmvn_17_32_kernelILj20E21rocsparse_complex_numIdEllS1_IfES2_S2_EEvT2_20rocsparse_direction_NS_24const_host_device_scalarIT0_EES4_PKS4_PKT1_SD_SA_PKT3_PKT4_S8_PT5_21rocsparse_index_base_b.has_dyn_sized_stack, 0
	.set _ZN9rocsparseL20bsrxmvn_17_32_kernelILj20E21rocsparse_complex_numIdEllS1_IfES2_S2_EEvT2_20rocsparse_direction_NS_24const_host_device_scalarIT0_EES4_PKS4_PKT1_SD_SA_PKT3_PKT4_S8_PT5_21rocsparse_index_base_b.has_recursion, 0
	.set _ZN9rocsparseL20bsrxmvn_17_32_kernelILj20E21rocsparse_complex_numIdEllS1_IfES2_S2_EEvT2_20rocsparse_direction_NS_24const_host_device_scalarIT0_EES4_PKS4_PKT1_SD_SA_PKT3_PKT4_S8_PT5_21rocsparse_index_base_b.has_indirect_call, 0
	.section	.AMDGPU.csdata,"",@progbits
; Kernel info:
; codeLenInByte = 1728
; TotalNumSgprs: 26
; NumVgprs: 31
; ScratchSize: 0
; MemoryBound: 0
; FloatMode: 240
; IeeeMode: 1
; LDSByteSize: 6400 bytes/workgroup (compile time only)
; SGPRBlocks: 8
; VGPRBlocks: 7
; NumSGPRsForWavesPerEU: 65
; NumVGPRsForWavesPerEU: 31
; Occupancy: 8
; WaveLimiterHint : 1
; COMPUTE_PGM_RSRC2:SCRATCH_EN: 0
; COMPUTE_PGM_RSRC2:USER_SGPR: 6
; COMPUTE_PGM_RSRC2:TRAP_HANDLER: 0
; COMPUTE_PGM_RSRC2:TGID_X_EN: 1
; COMPUTE_PGM_RSRC2:TGID_Y_EN: 0
; COMPUTE_PGM_RSRC2:TGID_Z_EN: 0
; COMPUTE_PGM_RSRC2:TIDIG_COMP_CNT: 0
	.section	.text._ZN9rocsparseL20bsrxmvn_17_32_kernelILj21E21rocsparse_complex_numIdEllS1_IfES2_S2_EEvT2_20rocsparse_direction_NS_24const_host_device_scalarIT0_EES4_PKS4_PKT1_SD_SA_PKT3_PKT4_S8_PT5_21rocsparse_index_base_b,"axG",@progbits,_ZN9rocsparseL20bsrxmvn_17_32_kernelILj21E21rocsparse_complex_numIdEllS1_IfES2_S2_EEvT2_20rocsparse_direction_NS_24const_host_device_scalarIT0_EES4_PKS4_PKT1_SD_SA_PKT3_PKT4_S8_PT5_21rocsparse_index_base_b,comdat
	.globl	_ZN9rocsparseL20bsrxmvn_17_32_kernelILj21E21rocsparse_complex_numIdEllS1_IfES2_S2_EEvT2_20rocsparse_direction_NS_24const_host_device_scalarIT0_EES4_PKS4_PKT1_SD_SA_PKT3_PKT4_S8_PT5_21rocsparse_index_base_b ; -- Begin function _ZN9rocsparseL20bsrxmvn_17_32_kernelILj21E21rocsparse_complex_numIdEllS1_IfES2_S2_EEvT2_20rocsparse_direction_NS_24const_host_device_scalarIT0_EES4_PKS4_PKT1_SD_SA_PKT3_PKT4_S8_PT5_21rocsparse_index_base_b
	.p2align	8
	.type	_ZN9rocsparseL20bsrxmvn_17_32_kernelILj21E21rocsparse_complex_numIdEllS1_IfES2_S2_EEvT2_20rocsparse_direction_NS_24const_host_device_scalarIT0_EES4_PKS4_PKT1_SD_SA_PKT3_PKT4_S8_PT5_21rocsparse_index_base_b,@function
_ZN9rocsparseL20bsrxmvn_17_32_kernelILj21E21rocsparse_complex_numIdEllS1_IfES2_S2_EEvT2_20rocsparse_direction_NS_24const_host_device_scalarIT0_EES4_PKS4_PKT1_SD_SA_PKT3_PKT4_S8_PT5_21rocsparse_index_base_b: ; @_ZN9rocsparseL20bsrxmvn_17_32_kernelILj21E21rocsparse_complex_numIdEllS1_IfES2_S2_EEvT2_20rocsparse_direction_NS_24const_host_device_scalarIT0_EES4_PKS4_PKT1_SD_SA_PKT3_PKT4_S8_PT5_21rocsparse_index_base_b
; %bb.0:
	s_load_dwordx2 s[0:1], s[4:5], 0x10
	s_load_dwordx2 s[14:15], s[4:5], 0x70
	s_add_u32 s7, s4, 16
	s_addc_u32 s8, s5, 0
	s_add_u32 s9, s4, 0x58
	s_addc_u32 s10, s5, 0
	s_waitcnt lgkmcnt(0)
	s_bitcmp1_b32 s15, 0
	s_cselect_b32 s1, s8, s1
	s_cselect_b32 s0, s7, s0
	v_mov_b32_e32 v1, s0
	v_mov_b32_e32 v2, s1
	flat_load_dwordx4 v[5:8], v[1:2]
	s_load_dwordx2 s[2:3], s[4:5], 0x58
	s_waitcnt lgkmcnt(0)
	s_cselect_b32 s0, s10, s3
	s_cselect_b32 s1, s9, s2
	v_mov_b32_e32 v1, s1
	v_mov_b32_e32 v2, s0
	flat_load_dwordx4 v[1:4], v[1:2]
	s_waitcnt vmcnt(0)
	v_cmp_eq_f64_e32 vcc, 0, v[5:6]
	v_cmp_eq_f64_e64 s[0:1], 0, v[7:8]
	s_and_b64 s[8:9], vcc, s[0:1]
	s_mov_b64 s[0:1], -1
	s_and_saveexec_b64 s[2:3], s[8:9]
	s_cbranch_execz .LBB564_2
; %bb.1:
	s_waitcnt lgkmcnt(0)
	v_cmp_neq_f64_e32 vcc, 1.0, v[1:2]
	v_cmp_neq_f64_e64 s[0:1], 0, v[3:4]
	s_or_b64 s[0:1], vcc, s[0:1]
	s_orn2_b64 s[0:1], s[0:1], exec
.LBB564_2:
	s_or_b64 exec, exec, s[2:3]
	s_and_saveexec_b64 s[2:3], s[0:1]
	s_cbranch_execz .LBB564_39
; %bb.3:
	s_load_dwordx4 s[0:3], s[4:5], 0x28
	s_load_dwordx2 s[8:9], s[4:5], 0x38
	s_mov_b32 s7, 0
	s_waitcnt lgkmcnt(0)
	s_cmp_eq_u64 s[0:1], 0
	s_cbranch_scc1 .LBB564_5
; %bb.4:
	s_lshl_b64 s[6:7], s[6:7], 3
	s_add_u32 s0, s0, s6
	s_addc_u32 s1, s1, s7
	s_load_dwordx2 s[0:1], s[0:1], 0x0
	s_waitcnt lgkmcnt(0)
	s_sub_u32 s6, s0, s14
	s_subb_u32 s7, s1, 0
.LBB564_5:
	s_load_dword s10, s[4:5], 0x8
	s_load_dwordx2 s[12:13], s[4:5], 0x68
	v_mul_u32_u24_e32 v13, 0xc31, v0
	v_mov_b32_e32 v9, 21
	v_mul_lo_u16_sdwa v9, v13, v9 dst_sel:DWORD dst_unused:UNUSED_PAD src0_sel:WORD_1 src1_sel:DWORD
	s_waitcnt lgkmcnt(0)
	s_cmp_eq_u32 s10, 1
	s_cselect_b64 s[0:1], -1, 0
	s_cmp_lg_u32 s10, 1
	s_cselect_b64 s[16:17], -1, 0
	s_lshl_b64 s[10:11], s[6:7], 3
	s_add_u32 s20, s2, s10
	s_addc_u32 s21, s3, s11
	s_add_u32 s2, s20, 8
	s_addc_u32 s3, s21, 0
	;; [unrolled: 2-line block ×3, first 2 shown]
	s_cmp_eq_u64 s[8:9], 0
	s_cselect_b32 s9, s3, s11
	s_cselect_b32 s8, s2, s10
	s_load_dwordx2 s[2:3], s[8:9], 0x0
	s_load_dwordx2 s[18:19], s[20:21], 0x0
	v_sub_u16_e32 v21, v0, v9
	v_mov_b32_e32 v11, 0
	v_mov_b32_e32 v12, 0
	s_waitcnt lgkmcnt(0)
	v_mov_b32_e32 v10, s3
	v_mov_b32_e32 v9, s2
	v_cmp_ge_i64_e32 vcc, s[18:19], v[9:10]
	v_mov_b32_e32 v9, 0
	v_mov_b32_e32 v10, 0
	s_cbranch_vccnz .LBB564_10
; %bb.6:
	v_mov_b32_e32 v9, 25
	v_mul_lo_u16_sdwa v9, v13, v9 dst_sel:DWORD dst_unused:UNUSED_PAD src0_sel:WORD_1 src1_sel:DWORD
	v_lshrrev_b16_e32 v9, 9, v9
	v_mul_lo_u16_e32 v9, 21, v9
	s_sub_u32 s2, s2, s14
	s_load_dwordx2 s[20:21], s[4:5], 0x50
	s_load_dwordx4 s[8:11], s[4:5], 0x40
	v_sub_u16_sdwa v9, v13, v9 dst_sel:DWORD dst_unused:UNUSED_PAD src0_sel:WORD_1 src1_sel:DWORD
	s_subb_u32 s3, s3, 0
	v_and_b32_e32 v9, 0xff, v9
	s_sub_u32 s4, s18, s14
	v_cndmask_b32_e64 v9, v21, v9, s[0:1]
	s_subb_u32 s5, s19, 0
	v_lshlrev_b32_e32 v9, 4, v9
	s_mul_i32 s0, s5, 0xdc8
	s_mul_hi_u32 s1, s4, 0xdc8
	s_waitcnt lgkmcnt(0)
	v_mov_b32_e32 v10, s21
	v_add_co_u32_e32 v13, vcc, s20, v9
	s_add_i32 s1, s1, s0
	s_mul_i32 s0, s4, 0xdc8
	v_addc_co_u32_e32 v14, vcc, 0, v10, vcc
	s_add_u32 s0, s10, s0
	v_lshlrev_b32_e32 v9, 3, v0
	s_addc_u32 s1, s11, s1
	v_add_co_u32_e32 v15, vcc, s0, v9
	s_movk_i32 s0, 0x253
	v_mov_b32_e32 v10, s1
	v_mul_u32_u24_sdwa v9, v0, s0 dst_sel:DWORD dst_unused:UNUSED_PAD src0_sel:WORD_0 src1_sel:DWORD
	v_addc_co_u32_e32 v16, vcc, 0, v10, vcc
	v_lshrrev_b32_e32 v22, 18, v9
	v_mov_b32_e32 v9, s19
	v_add_co_u32_e32 v10, vcc, s18, v22
	v_addc_co_u32_e32 v11, vcc, 0, v9, vcc
	v_subrev_co_u32_e32 v9, vcc, s14, v10
	v_subbrev_co_u32_e32 v10, vcc, 0, v11, vcc
	v_lshlrev_b64 v[9:10], 3, v[9:10]
	v_mov_b32_e32 v11, s9
	v_add_co_u32_e32 v17, vcc, s8, v9
	v_addc_co_u32_e32 v18, vcc, v11, v10, vcc
	v_mov_b32_e32 v11, 0
	v_mov_b32_e32 v12, 0
	;; [unrolled: 1-line block ×4, first 2 shown]
	s_movk_i32 s8, 0x150
	v_mov_b32_e32 v19, s2
	v_mov_b32_e32 v10, v12
	s_branch .LBB564_8
.LBB564_7:                              ;   in Loop: Header=BB564_8 Depth=1
	s_or_b64 exec, exec, s[0:1]
	s_add_u32 s4, s4, 1
	s_addc_u32 s5, s5, 0
	v_cmp_lt_i64_e32 vcc, s[4:5], v[19:20]
	v_add_co_u32_e64 v17, s[0:1], 8, v17
	v_addc_co_u32_e64 v18, s[0:1], 0, v18, s[0:1]
	s_cbranch_vccz .LBB564_10
.LBB564_8:                              ; =>This Inner Loop Header: Depth=1
	v_mov_b32_e32 v24, s5
	v_add_co_u32_e32 v23, vcc, s4, v22
	v_addc_co_u32_e32 v24, vcc, 0, v24, vcc
	v_cmp_gt_i64_e32 vcc, s[2:3], v[23:24]
	s_and_saveexec_b64 s[0:1], vcc
	s_cbranch_execz .LBB564_7
; %bb.9:                                ;   in Loop: Header=BB564_8 Depth=1
	global_load_dwordx2 v[23:24], v[17:18], off
	s_waitcnt vmcnt(0)
	v_subrev_co_u32_e32 v23, vcc, s14, v23
	v_subbrev_co_u32_e32 v25, vcc, 0, v24, vcc
	v_mad_u64_u32 v[23:24], s[10:11], v23, s8, v[13:14]
	v_mad_u64_u32 v[24:25], s[10:11], v25, s8, v[24:25]
	global_load_dwordx2 v[27:28], v[15:16], off
	s_nop 0
	global_load_dwordx4 v[23:26], v[23:24], off
	v_add_co_u32_e32 v15, vcc, 0xdc8, v15
	v_addc_co_u32_e32 v16, vcc, 0, v16, vcc
	s_waitcnt vmcnt(1)
	v_cvt_f64_f32_e32 v[29:30], v27
	v_cvt_f64_f32_e32 v[27:28], v28
	s_waitcnt vmcnt(0)
	v_fma_f64 v[9:10], v[29:30], v[23:24], v[9:10]
	v_fma_f64 v[11:12], v[27:28], v[23:24], v[11:12]
	v_fma_f64 v[9:10], -v[27:28], v[25:26], v[9:10]
	v_fma_f64 v[11:12], v[29:30], v[25:26], v[11:12]
	s_branch .LBB564_7
.LBB564_10:
	v_lshlrev_b32_e32 v17, 4, v0
	s_and_b64 vcc, exec, s[16:17]
	ds_write_b128 v17, v[9:12]
	s_waitcnt lgkmcnt(0)
	s_barrier
	s_cbranch_vccz .LBB564_22
; %bb.11:
	v_cmp_gt_u16_e32 vcc, 5, v21
	s_and_saveexec_b64 s[0:1], vcc
	s_cbranch_execz .LBB564_13
; %bb.12:
	ds_read_b128 v[13:16], v17 offset:256
	ds_read_b128 v[22:25], v17
	s_waitcnt lgkmcnt(0)
	v_add_f64 v[13:14], v[13:14], v[22:23]
	v_add_f64 v[15:16], v[15:16], v[24:25]
	ds_write_b128 v17, v[13:16]
.LBB564_13:
	s_or_b64 exec, exec, s[0:1]
	v_cmp_gt_u16_e32 vcc, 8, v21
	s_waitcnt lgkmcnt(0)
	s_barrier
	s_and_saveexec_b64 s[0:1], vcc
	s_cbranch_execz .LBB564_15
; %bb.14:
	ds_read_b128 v[13:16], v17 offset:128
	ds_read_b128 v[22:25], v17
	s_waitcnt lgkmcnt(0)
	v_add_f64 v[13:14], v[13:14], v[22:23]
	v_add_f64 v[15:16], v[15:16], v[24:25]
	ds_write_b128 v17, v[13:16]
.LBB564_15:
	s_or_b64 exec, exec, s[0:1]
	v_cmp_gt_u16_e32 vcc, 4, v21
	s_waitcnt lgkmcnt(0)
	s_barrier
	s_and_saveexec_b64 s[0:1], vcc
	s_cbranch_execz .LBB564_17
; %bb.16:
	ds_read_b128 v[13:16], v17 offset:64
	ds_read_b128 v[22:25], v17
	s_waitcnt lgkmcnt(0)
	v_add_f64 v[13:14], v[13:14], v[22:23]
	v_add_f64 v[15:16], v[15:16], v[24:25]
	ds_write_b128 v17, v[13:16]
.LBB564_17:
	s_or_b64 exec, exec, s[0:1]
	v_cmp_gt_u16_e32 vcc, 2, v21
	s_waitcnt lgkmcnt(0)
	s_barrier
	s_and_saveexec_b64 s[0:1], vcc
	s_cbranch_execz .LBB564_19
; %bb.18:
	ds_read_b128 v[13:16], v17
	ds_read_b128 v[18:21], v17 offset:32
	s_waitcnt lgkmcnt(0)
	v_add_f64 v[13:14], v[18:19], v[13:14]
	v_add_f64 v[15:16], v[20:21], v[15:16]
	ds_write_b128 v17, v[13:16]
.LBB564_19:
	s_or_b64 exec, exec, s[0:1]
	v_mov_b32_e32 v16, v12
	v_mov_b32_e32 v14, v10
	v_cmp_gt_u32_e32 vcc, 21, v0
	v_mov_b32_e32 v15, v11
	v_mov_b32_e32 v13, v9
	s_waitcnt lgkmcnt(0)
	s_barrier
	s_and_saveexec_b64 s[0:1], vcc
	s_cbranch_execz .LBB564_21
; %bb.20:
	s_movk_i32 s2, 0x140
	v_mad_u32_u24 v18, v0, s2, v17
	ds_read_b128 v[13:16], v18
	ds_read_b128 v[18:21], v18 offset:16
	s_waitcnt lgkmcnt(0)
	v_add_f64 v[13:14], v[18:19], v[13:14]
	v_add_f64 v[15:16], v[20:21], v[15:16]
.LBB564_21:
	s_or_b64 exec, exec, s[0:1]
	s_branch .LBB564_34
.LBB564_22:
                                        ; implicit-def: $vgpr15_vgpr16
                                        ; implicit-def: $vgpr13_vgpr14
	s_cbranch_execz .LBB564_34
; %bb.23:
	s_movk_i32 s0, 0x69
	v_cmp_gt_u32_e32 vcc, s0, v0
	s_and_saveexec_b64 s[0:1], vcc
	s_cbranch_execz .LBB564_25
; %bb.24:
	ds_read_b128 v[13:16], v17 offset:5376
	ds_read_b128 v[18:21], v17
	s_waitcnt lgkmcnt(0)
	v_add_f64 v[13:14], v[13:14], v[18:19]
	v_add_f64 v[15:16], v[15:16], v[20:21]
	ds_write_b128 v17, v[13:16]
.LBB564_25:
	s_or_b64 exec, exec, s[0:1]
	s_movk_i32 s0, 0xa8
	v_cmp_gt_u32_e32 vcc, s0, v0
	s_waitcnt lgkmcnt(0)
	s_barrier
	s_and_saveexec_b64 s[0:1], vcc
	s_cbranch_execz .LBB564_27
; %bb.26:
	ds_read_b128 v[13:16], v17 offset:2688
	ds_read_b128 v[18:21], v17
	s_waitcnt lgkmcnt(0)
	v_add_f64 v[13:14], v[13:14], v[18:19]
	v_add_f64 v[15:16], v[15:16], v[20:21]
	ds_write_b128 v17, v[13:16]
.LBB564_27:
	s_or_b64 exec, exec, s[0:1]
	s_movk_i32 s0, 0x54
	v_cmp_gt_u32_e32 vcc, s0, v0
	s_waitcnt lgkmcnt(0)
	s_barrier
	s_and_saveexec_b64 s[0:1], vcc
	s_cbranch_execz .LBB564_29
; %bb.28:
	ds_read_b128 v[13:16], v17 offset:1344
	ds_read_b128 v[18:21], v17
	s_waitcnt lgkmcnt(0)
	v_add_f64 v[13:14], v[13:14], v[18:19]
	v_add_f64 v[15:16], v[15:16], v[20:21]
	ds_write_b128 v17, v[13:16]
.LBB564_29:
	s_or_b64 exec, exec, s[0:1]
	v_cmp_gt_u32_e32 vcc, 42, v0
	s_waitcnt lgkmcnt(0)
	s_barrier
	s_and_saveexec_b64 s[0:1], vcc
	s_cbranch_execz .LBB564_31
; %bb.30:
	ds_read_b128 v[13:16], v17 offset:672
	ds_read_b128 v[18:21], v17
	s_waitcnt lgkmcnt(0)
	v_add_f64 v[13:14], v[13:14], v[18:19]
	v_add_f64 v[15:16], v[15:16], v[20:21]
	ds_write_b128 v17, v[13:16]
.LBB564_31:
	s_or_b64 exec, exec, s[0:1]
	v_cmp_gt_u32_e32 vcc, 21, v0
	s_waitcnt lgkmcnt(0)
	s_and_saveexec_b64 s[0:1], vcc
	s_cbranch_execz .LBB564_33
; %bb.32:
	ds_read_b128 v[9:12], v17 offset:336
	ds_read_b128 v[13:16], v17
	s_waitcnt lgkmcnt(0)
	v_add_f64 v[9:10], v[9:10], v[13:14]
	v_add_f64 v[11:12], v[11:12], v[15:16]
.LBB564_33:
	s_or_b64 exec, exec, s[0:1]
	v_mov_b32_e32 v16, v12
	v_mov_b32_e32 v14, v10
	;; [unrolled: 1-line block ×4, first 2 shown]
.LBB564_34:
	v_cmp_gt_u32_e32 vcc, 21, v0
	s_and_b64 exec, exec, vcc
	s_cbranch_execz .LBB564_39
; %bb.35:
	v_mul_f64 v[9:10], v[15:16], -v[7:8]
	v_mul_f64 v[11:12], v[5:6], v[15:16]
	v_cmp_eq_f64_e32 vcc, 0, v[1:2]
	v_cmp_eq_f64_e64 s[0:1], 0, v[3:4]
	s_mul_i32 s2, s7, 0x150
	s_mul_hi_u32 s3, s6, 0x150
	s_mul_i32 s4, s6, 0x150
	v_fma_f64 v[5:6], v[5:6], v[13:14], v[9:10]
	v_fma_f64 v[7:8], v[7:8], v[13:14], v[11:12]
	s_and_b64 s[0:1], vcc, s[0:1]
	s_and_saveexec_b64 s[6:7], s[0:1]
	s_xor_b64 s[0:1], exec, s[6:7]
	s_cbranch_execz .LBB564_37
; %bb.36:
	s_add_i32 s5, s3, s2
	s_add_u32 s6, s12, s4
	s_addc_u32 s7, s13, s5
	global_store_dwordx4 v17, v[5:8], s[6:7]
                                        ; implicit-def: $vgpr17
                                        ; implicit-def: $vgpr1_vgpr2
                                        ; implicit-def: $vgpr5_vgpr6
.LBB564_37:
	s_andn2_saveexec_b64 s[0:1], s[0:1]
	s_cbranch_execz .LBB564_39
; %bb.38:
	s_add_i32 s3, s3, s2
	s_add_u32 s0, s12, s4
	s_addc_u32 s1, s13, s3
	global_load_dwordx4 v[9:12], v17, s[0:1]
	s_waitcnt vmcnt(0)
	v_fma_f64 v[5:6], v[1:2], v[9:10], v[5:6]
	v_fma_f64 v[7:8], v[3:4], v[9:10], v[7:8]
	v_fma_f64 v[3:4], -v[3:4], v[11:12], v[5:6]
	v_fma_f64 v[5:6], v[1:2], v[11:12], v[7:8]
	global_store_dwordx4 v17, v[3:6], s[0:1]
.LBB564_39:
	s_endpgm
	.section	.rodata,"a",@progbits
	.p2align	6, 0x0
	.amdhsa_kernel _ZN9rocsparseL20bsrxmvn_17_32_kernelILj21E21rocsparse_complex_numIdEllS1_IfES2_S2_EEvT2_20rocsparse_direction_NS_24const_host_device_scalarIT0_EES4_PKS4_PKT1_SD_SA_PKT3_PKT4_S8_PT5_21rocsparse_index_base_b
		.amdhsa_group_segment_fixed_size 7056
		.amdhsa_private_segment_fixed_size 0
		.amdhsa_kernarg_size 120
		.amdhsa_user_sgpr_count 6
		.amdhsa_user_sgpr_private_segment_buffer 1
		.amdhsa_user_sgpr_dispatch_ptr 0
		.amdhsa_user_sgpr_queue_ptr 0
		.amdhsa_user_sgpr_kernarg_segment_ptr 1
		.amdhsa_user_sgpr_dispatch_id 0
		.amdhsa_user_sgpr_flat_scratch_init 0
		.amdhsa_user_sgpr_private_segment_size 0
		.amdhsa_uses_dynamic_stack 0
		.amdhsa_system_sgpr_private_segment_wavefront_offset 0
		.amdhsa_system_sgpr_workgroup_id_x 1
		.amdhsa_system_sgpr_workgroup_id_y 0
		.amdhsa_system_sgpr_workgroup_id_z 0
		.amdhsa_system_sgpr_workgroup_info 0
		.amdhsa_system_vgpr_workitem_id 0
		.amdhsa_next_free_vgpr 31
		.amdhsa_next_free_sgpr 61
		.amdhsa_reserve_vcc 1
		.amdhsa_reserve_flat_scratch 0
		.amdhsa_float_round_mode_32 0
		.amdhsa_float_round_mode_16_64 0
		.amdhsa_float_denorm_mode_32 3
		.amdhsa_float_denorm_mode_16_64 3
		.amdhsa_dx10_clamp 1
		.amdhsa_ieee_mode 1
		.amdhsa_fp16_overflow 0
		.amdhsa_exception_fp_ieee_invalid_op 0
		.amdhsa_exception_fp_denorm_src 0
		.amdhsa_exception_fp_ieee_div_zero 0
		.amdhsa_exception_fp_ieee_overflow 0
		.amdhsa_exception_fp_ieee_underflow 0
		.amdhsa_exception_fp_ieee_inexact 0
		.amdhsa_exception_int_div_zero 0
	.end_amdhsa_kernel
	.section	.text._ZN9rocsparseL20bsrxmvn_17_32_kernelILj21E21rocsparse_complex_numIdEllS1_IfES2_S2_EEvT2_20rocsparse_direction_NS_24const_host_device_scalarIT0_EES4_PKS4_PKT1_SD_SA_PKT3_PKT4_S8_PT5_21rocsparse_index_base_b,"axG",@progbits,_ZN9rocsparseL20bsrxmvn_17_32_kernelILj21E21rocsparse_complex_numIdEllS1_IfES2_S2_EEvT2_20rocsparse_direction_NS_24const_host_device_scalarIT0_EES4_PKS4_PKT1_SD_SA_PKT3_PKT4_S8_PT5_21rocsparse_index_base_b,comdat
.Lfunc_end564:
	.size	_ZN9rocsparseL20bsrxmvn_17_32_kernelILj21E21rocsparse_complex_numIdEllS1_IfES2_S2_EEvT2_20rocsparse_direction_NS_24const_host_device_scalarIT0_EES4_PKS4_PKT1_SD_SA_PKT3_PKT4_S8_PT5_21rocsparse_index_base_b, .Lfunc_end564-_ZN9rocsparseL20bsrxmvn_17_32_kernelILj21E21rocsparse_complex_numIdEllS1_IfES2_S2_EEvT2_20rocsparse_direction_NS_24const_host_device_scalarIT0_EES4_PKS4_PKT1_SD_SA_PKT3_PKT4_S8_PT5_21rocsparse_index_base_b
                                        ; -- End function
	.set _ZN9rocsparseL20bsrxmvn_17_32_kernelILj21E21rocsparse_complex_numIdEllS1_IfES2_S2_EEvT2_20rocsparse_direction_NS_24const_host_device_scalarIT0_EES4_PKS4_PKT1_SD_SA_PKT3_PKT4_S8_PT5_21rocsparse_index_base_b.num_vgpr, 31
	.set _ZN9rocsparseL20bsrxmvn_17_32_kernelILj21E21rocsparse_complex_numIdEllS1_IfES2_S2_EEvT2_20rocsparse_direction_NS_24const_host_device_scalarIT0_EES4_PKS4_PKT1_SD_SA_PKT3_PKT4_S8_PT5_21rocsparse_index_base_b.num_agpr, 0
	.set _ZN9rocsparseL20bsrxmvn_17_32_kernelILj21E21rocsparse_complex_numIdEllS1_IfES2_S2_EEvT2_20rocsparse_direction_NS_24const_host_device_scalarIT0_EES4_PKS4_PKT1_SD_SA_PKT3_PKT4_S8_PT5_21rocsparse_index_base_b.numbered_sgpr, 22
	.set _ZN9rocsparseL20bsrxmvn_17_32_kernelILj21E21rocsparse_complex_numIdEllS1_IfES2_S2_EEvT2_20rocsparse_direction_NS_24const_host_device_scalarIT0_EES4_PKS4_PKT1_SD_SA_PKT3_PKT4_S8_PT5_21rocsparse_index_base_b.num_named_barrier, 0
	.set _ZN9rocsparseL20bsrxmvn_17_32_kernelILj21E21rocsparse_complex_numIdEllS1_IfES2_S2_EEvT2_20rocsparse_direction_NS_24const_host_device_scalarIT0_EES4_PKS4_PKT1_SD_SA_PKT3_PKT4_S8_PT5_21rocsparse_index_base_b.private_seg_size, 0
	.set _ZN9rocsparseL20bsrxmvn_17_32_kernelILj21E21rocsparse_complex_numIdEllS1_IfES2_S2_EEvT2_20rocsparse_direction_NS_24const_host_device_scalarIT0_EES4_PKS4_PKT1_SD_SA_PKT3_PKT4_S8_PT5_21rocsparse_index_base_b.uses_vcc, 1
	.set _ZN9rocsparseL20bsrxmvn_17_32_kernelILj21E21rocsparse_complex_numIdEllS1_IfES2_S2_EEvT2_20rocsparse_direction_NS_24const_host_device_scalarIT0_EES4_PKS4_PKT1_SD_SA_PKT3_PKT4_S8_PT5_21rocsparse_index_base_b.uses_flat_scratch, 0
	.set _ZN9rocsparseL20bsrxmvn_17_32_kernelILj21E21rocsparse_complex_numIdEllS1_IfES2_S2_EEvT2_20rocsparse_direction_NS_24const_host_device_scalarIT0_EES4_PKS4_PKT1_SD_SA_PKT3_PKT4_S8_PT5_21rocsparse_index_base_b.has_dyn_sized_stack, 0
	.set _ZN9rocsparseL20bsrxmvn_17_32_kernelILj21E21rocsparse_complex_numIdEllS1_IfES2_S2_EEvT2_20rocsparse_direction_NS_24const_host_device_scalarIT0_EES4_PKS4_PKT1_SD_SA_PKT3_PKT4_S8_PT5_21rocsparse_index_base_b.has_recursion, 0
	.set _ZN9rocsparseL20bsrxmvn_17_32_kernelILj21E21rocsparse_complex_numIdEllS1_IfES2_S2_EEvT2_20rocsparse_direction_NS_24const_host_device_scalarIT0_EES4_PKS4_PKT1_SD_SA_PKT3_PKT4_S8_PT5_21rocsparse_index_base_b.has_indirect_call, 0
	.section	.AMDGPU.csdata,"",@progbits
; Kernel info:
; codeLenInByte = 1732
; TotalNumSgprs: 26
; NumVgprs: 31
; ScratchSize: 0
; MemoryBound: 0
; FloatMode: 240
; IeeeMode: 1
; LDSByteSize: 7056 bytes/workgroup (compile time only)
; SGPRBlocks: 8
; VGPRBlocks: 7
; NumSGPRsForWavesPerEU: 65
; NumVGPRsForWavesPerEU: 31
; Occupancy: 8
; WaveLimiterHint : 1
; COMPUTE_PGM_RSRC2:SCRATCH_EN: 0
; COMPUTE_PGM_RSRC2:USER_SGPR: 6
; COMPUTE_PGM_RSRC2:TRAP_HANDLER: 0
; COMPUTE_PGM_RSRC2:TGID_X_EN: 1
; COMPUTE_PGM_RSRC2:TGID_Y_EN: 0
; COMPUTE_PGM_RSRC2:TGID_Z_EN: 0
; COMPUTE_PGM_RSRC2:TIDIG_COMP_CNT: 0
	.section	.text._ZN9rocsparseL20bsrxmvn_17_32_kernelILj22E21rocsparse_complex_numIdEllS1_IfES2_S2_EEvT2_20rocsparse_direction_NS_24const_host_device_scalarIT0_EES4_PKS4_PKT1_SD_SA_PKT3_PKT4_S8_PT5_21rocsparse_index_base_b,"axG",@progbits,_ZN9rocsparseL20bsrxmvn_17_32_kernelILj22E21rocsparse_complex_numIdEllS1_IfES2_S2_EEvT2_20rocsparse_direction_NS_24const_host_device_scalarIT0_EES4_PKS4_PKT1_SD_SA_PKT3_PKT4_S8_PT5_21rocsparse_index_base_b,comdat
	.globl	_ZN9rocsparseL20bsrxmvn_17_32_kernelILj22E21rocsparse_complex_numIdEllS1_IfES2_S2_EEvT2_20rocsparse_direction_NS_24const_host_device_scalarIT0_EES4_PKS4_PKT1_SD_SA_PKT3_PKT4_S8_PT5_21rocsparse_index_base_b ; -- Begin function _ZN9rocsparseL20bsrxmvn_17_32_kernelILj22E21rocsparse_complex_numIdEllS1_IfES2_S2_EEvT2_20rocsparse_direction_NS_24const_host_device_scalarIT0_EES4_PKS4_PKT1_SD_SA_PKT3_PKT4_S8_PT5_21rocsparse_index_base_b
	.p2align	8
	.type	_ZN9rocsparseL20bsrxmvn_17_32_kernelILj22E21rocsparse_complex_numIdEllS1_IfES2_S2_EEvT2_20rocsparse_direction_NS_24const_host_device_scalarIT0_EES4_PKS4_PKT1_SD_SA_PKT3_PKT4_S8_PT5_21rocsparse_index_base_b,@function
_ZN9rocsparseL20bsrxmvn_17_32_kernelILj22E21rocsparse_complex_numIdEllS1_IfES2_S2_EEvT2_20rocsparse_direction_NS_24const_host_device_scalarIT0_EES4_PKS4_PKT1_SD_SA_PKT3_PKT4_S8_PT5_21rocsparse_index_base_b: ; @_ZN9rocsparseL20bsrxmvn_17_32_kernelILj22E21rocsparse_complex_numIdEllS1_IfES2_S2_EEvT2_20rocsparse_direction_NS_24const_host_device_scalarIT0_EES4_PKS4_PKT1_SD_SA_PKT3_PKT4_S8_PT5_21rocsparse_index_base_b
; %bb.0:
	s_load_dwordx2 s[0:1], s[4:5], 0x10
	s_load_dwordx2 s[14:15], s[4:5], 0x70
	s_add_u32 s7, s4, 16
	s_addc_u32 s8, s5, 0
	s_add_u32 s9, s4, 0x58
	s_addc_u32 s10, s5, 0
	s_waitcnt lgkmcnt(0)
	s_bitcmp1_b32 s15, 0
	s_cselect_b32 s1, s8, s1
	s_cselect_b32 s0, s7, s0
	v_mov_b32_e32 v1, s0
	v_mov_b32_e32 v2, s1
	flat_load_dwordx4 v[5:8], v[1:2]
	s_load_dwordx2 s[2:3], s[4:5], 0x58
	s_waitcnt lgkmcnt(0)
	s_cselect_b32 s0, s10, s3
	s_cselect_b32 s1, s9, s2
	v_mov_b32_e32 v1, s1
	v_mov_b32_e32 v2, s0
	flat_load_dwordx4 v[1:4], v[1:2]
	s_waitcnt vmcnt(0)
	v_cmp_eq_f64_e32 vcc, 0, v[5:6]
	v_cmp_eq_f64_e64 s[0:1], 0, v[7:8]
	s_and_b64 s[8:9], vcc, s[0:1]
	s_mov_b64 s[0:1], -1
	s_and_saveexec_b64 s[2:3], s[8:9]
	s_cbranch_execz .LBB565_2
; %bb.1:
	s_waitcnt lgkmcnt(0)
	v_cmp_neq_f64_e32 vcc, 1.0, v[1:2]
	v_cmp_neq_f64_e64 s[0:1], 0, v[3:4]
	s_or_b64 s[0:1], vcc, s[0:1]
	s_orn2_b64 s[0:1], s[0:1], exec
.LBB565_2:
	s_or_b64 exec, exec, s[2:3]
	s_and_saveexec_b64 s[2:3], s[0:1]
	s_cbranch_execz .LBB565_39
; %bb.3:
	s_load_dwordx4 s[0:3], s[4:5], 0x28
	s_load_dwordx2 s[8:9], s[4:5], 0x38
	s_mov_b32 s7, 0
	s_waitcnt lgkmcnt(0)
	s_cmp_eq_u64 s[0:1], 0
	s_cbranch_scc1 .LBB565_5
; %bb.4:
	s_lshl_b64 s[6:7], s[6:7], 3
	s_add_u32 s0, s0, s6
	s_addc_u32 s1, s1, s7
	s_load_dwordx2 s[0:1], s[0:1], 0x0
	s_waitcnt lgkmcnt(0)
	s_sub_u32 s6, s0, s14
	s_subb_u32 s7, s1, 0
.LBB565_5:
	s_load_dword s10, s[4:5], 0x8
	s_load_dwordx2 s[12:13], s[4:5], 0x68
	v_mul_u32_u24_e32 v13, 0xba3, v0
	v_mov_b32_e32 v14, 22
	v_mul_lo_u16_sdwa v9, v13, v14 dst_sel:DWORD dst_unused:UNUSED_PAD src0_sel:WORD_1 src1_sel:DWORD
	s_waitcnt lgkmcnt(0)
	s_cmp_eq_u32 s10, 1
	s_cselect_b64 s[0:1], -1, 0
	s_cmp_lg_u32 s10, 1
	s_cselect_b64 s[16:17], -1, 0
	s_lshl_b64 s[10:11], s[6:7], 3
	s_add_u32 s20, s2, s10
	s_addc_u32 s21, s3, s11
	s_add_u32 s2, s20, 8
	s_addc_u32 s3, s21, 0
	;; [unrolled: 2-line block ×3, first 2 shown]
	s_cmp_eq_u64 s[8:9], 0
	s_cselect_b32 s9, s3, s11
	s_cselect_b32 s8, s2, s10
	s_load_dwordx2 s[2:3], s[8:9], 0x0
	s_load_dwordx2 s[18:19], s[20:21], 0x0
	v_sub_u16_e32 v21, v0, v9
	v_mov_b32_e32 v11, 0
	v_mov_b32_e32 v12, 0
	s_waitcnt lgkmcnt(0)
	v_mov_b32_e32 v10, s3
	v_mov_b32_e32 v9, s2
	v_cmp_ge_i64_e32 vcc, s[18:19], v[9:10]
	v_mov_b32_e32 v9, 0
	v_mov_b32_e32 v10, 0
	s_cbranch_vccnz .LBB565_10
; %bb.6:
	v_mov_b32_e32 v9, 12
	v_mul_lo_u16_sdwa v9, v13, v9 dst_sel:DWORD dst_unused:UNUSED_PAD src0_sel:WORD_1 src1_sel:DWORD
	v_mul_lo_u16_sdwa v9, v9, v14 dst_sel:DWORD dst_unused:UNUSED_PAD src0_sel:BYTE_1 src1_sel:DWORD
	s_sub_u32 s2, s2, s14
	s_load_dwordx2 s[20:21], s[4:5], 0x50
	s_load_dwordx4 s[8:11], s[4:5], 0x40
	v_sub_u16_sdwa v9, v13, v9 dst_sel:DWORD dst_unused:UNUSED_PAD src0_sel:WORD_1 src1_sel:DWORD
	s_subb_u32 s3, s3, 0
	v_and_b32_e32 v9, 0xff, v9
	s_sub_u32 s4, s18, s14
	v_cndmask_b32_e64 v9, v21, v9, s[0:1]
	s_subb_u32 s5, s19, 0
	v_lshlrev_b32_e32 v9, 4, v9
	s_mul_i32 s0, s5, 0xf20
	s_mul_hi_u32 s1, s4, 0xf20
	s_waitcnt lgkmcnt(0)
	v_mov_b32_e32 v10, s21
	v_add_co_u32_e32 v13, vcc, s20, v9
	s_add_i32 s1, s1, s0
	s_mul_i32 s0, s4, 0xf20
	v_addc_co_u32_e32 v14, vcc, 0, v10, vcc
	s_add_u32 s0, s10, s0
	v_lshlrev_b32_e32 v9, 3, v0
	s_addc_u32 s1, s11, s1
	v_add_co_u32_e32 v15, vcc, s0, v9
	s_movk_i32 s0, 0x10f
	v_mov_b32_e32 v10, s1
	v_mul_u32_u24_sdwa v9, v0, s0 dst_sel:DWORD dst_unused:UNUSED_PAD src0_sel:WORD_0 src1_sel:DWORD
	v_addc_co_u32_e32 v16, vcc, 0, v10, vcc
	v_lshrrev_b32_e32 v22, 17, v9
	v_mov_b32_e32 v9, s19
	v_add_co_u32_e32 v10, vcc, s18, v22
	v_addc_co_u32_e32 v11, vcc, 0, v9, vcc
	v_subrev_co_u32_e32 v9, vcc, s14, v10
	v_subbrev_co_u32_e32 v10, vcc, 0, v11, vcc
	v_lshlrev_b64 v[9:10], 3, v[9:10]
	v_mov_b32_e32 v11, s9
	v_add_co_u32_e32 v17, vcc, s8, v9
	v_addc_co_u32_e32 v18, vcc, v11, v10, vcc
	v_mov_b32_e32 v11, 0
	v_mov_b32_e32 v12, 0
	;; [unrolled: 1-line block ×4, first 2 shown]
	s_movk_i32 s8, 0x160
	v_mov_b32_e32 v19, s2
	v_mov_b32_e32 v10, v12
	s_branch .LBB565_8
.LBB565_7:                              ;   in Loop: Header=BB565_8 Depth=1
	s_or_b64 exec, exec, s[0:1]
	s_add_u32 s4, s4, 1
	s_addc_u32 s5, s5, 0
	v_cmp_lt_i64_e32 vcc, s[4:5], v[19:20]
	v_add_co_u32_e64 v17, s[0:1], 8, v17
	v_addc_co_u32_e64 v18, s[0:1], 0, v18, s[0:1]
	s_cbranch_vccz .LBB565_10
.LBB565_8:                              ; =>This Inner Loop Header: Depth=1
	v_mov_b32_e32 v24, s5
	v_add_co_u32_e32 v23, vcc, s4, v22
	v_addc_co_u32_e32 v24, vcc, 0, v24, vcc
	v_cmp_gt_i64_e32 vcc, s[2:3], v[23:24]
	s_and_saveexec_b64 s[0:1], vcc
	s_cbranch_execz .LBB565_7
; %bb.9:                                ;   in Loop: Header=BB565_8 Depth=1
	global_load_dwordx2 v[23:24], v[17:18], off
	s_waitcnt vmcnt(0)
	v_subrev_co_u32_e32 v23, vcc, s14, v23
	v_subbrev_co_u32_e32 v25, vcc, 0, v24, vcc
	v_mad_u64_u32 v[23:24], s[10:11], v23, s8, v[13:14]
	v_mad_u64_u32 v[24:25], s[10:11], v25, s8, v[24:25]
	global_load_dwordx2 v[27:28], v[15:16], off
	s_nop 0
	global_load_dwordx4 v[23:26], v[23:24], off
	v_add_co_u32_e32 v15, vcc, 0xf20, v15
	v_addc_co_u32_e32 v16, vcc, 0, v16, vcc
	s_waitcnt vmcnt(1)
	v_cvt_f64_f32_e32 v[29:30], v27
	v_cvt_f64_f32_e32 v[27:28], v28
	s_waitcnt vmcnt(0)
	v_fma_f64 v[9:10], v[29:30], v[23:24], v[9:10]
	v_fma_f64 v[11:12], v[27:28], v[23:24], v[11:12]
	v_fma_f64 v[9:10], -v[27:28], v[25:26], v[9:10]
	v_fma_f64 v[11:12], v[29:30], v[25:26], v[11:12]
	s_branch .LBB565_7
.LBB565_10:
	v_lshlrev_b32_e32 v17, 4, v0
	s_and_b64 vcc, exec, s[16:17]
	ds_write_b128 v17, v[9:12]
	s_waitcnt lgkmcnt(0)
	s_barrier
	s_cbranch_vccz .LBB565_22
; %bb.11:
	v_cmp_gt_u16_e32 vcc, 6, v21
	s_and_saveexec_b64 s[0:1], vcc
	s_cbranch_execz .LBB565_13
; %bb.12:
	ds_read_b128 v[13:16], v17 offset:256
	ds_read_b128 v[22:25], v17
	s_waitcnt lgkmcnt(0)
	v_add_f64 v[13:14], v[13:14], v[22:23]
	v_add_f64 v[15:16], v[15:16], v[24:25]
	ds_write_b128 v17, v[13:16]
.LBB565_13:
	s_or_b64 exec, exec, s[0:1]
	v_cmp_gt_u16_e32 vcc, 8, v21
	s_waitcnt lgkmcnt(0)
	s_barrier
	s_and_saveexec_b64 s[0:1], vcc
	s_cbranch_execz .LBB565_15
; %bb.14:
	ds_read_b128 v[13:16], v17 offset:128
	ds_read_b128 v[22:25], v17
	s_waitcnt lgkmcnt(0)
	v_add_f64 v[13:14], v[13:14], v[22:23]
	v_add_f64 v[15:16], v[15:16], v[24:25]
	ds_write_b128 v17, v[13:16]
.LBB565_15:
	s_or_b64 exec, exec, s[0:1]
	v_cmp_gt_u16_e32 vcc, 4, v21
	s_waitcnt lgkmcnt(0)
	s_barrier
	;; [unrolled: 14-line block ×3, first 2 shown]
	s_and_saveexec_b64 s[0:1], vcc
	s_cbranch_execz .LBB565_19
; %bb.18:
	ds_read_b128 v[13:16], v17
	ds_read_b128 v[18:21], v17 offset:32
	s_waitcnt lgkmcnt(0)
	v_add_f64 v[13:14], v[18:19], v[13:14]
	v_add_f64 v[15:16], v[20:21], v[15:16]
	ds_write_b128 v17, v[13:16]
.LBB565_19:
	s_or_b64 exec, exec, s[0:1]
	v_mov_b32_e32 v16, v12
	v_mov_b32_e32 v14, v10
	v_cmp_gt_u32_e32 vcc, 22, v0
	v_mov_b32_e32 v15, v11
	v_mov_b32_e32 v13, v9
	s_waitcnt lgkmcnt(0)
	s_barrier
	s_and_saveexec_b64 s[0:1], vcc
	s_cbranch_execz .LBB565_21
; %bb.20:
	s_movk_i32 s2, 0x150
	v_mad_u32_u24 v18, v0, s2, v17
	ds_read_b128 v[13:16], v18
	ds_read_b128 v[18:21], v18 offset:16
	s_waitcnt lgkmcnt(0)
	v_add_f64 v[13:14], v[18:19], v[13:14]
	v_add_f64 v[15:16], v[20:21], v[15:16]
.LBB565_21:
	s_or_b64 exec, exec, s[0:1]
	s_branch .LBB565_34
.LBB565_22:
                                        ; implicit-def: $vgpr15_vgpr16
                                        ; implicit-def: $vgpr13_vgpr14
	s_cbranch_execz .LBB565_34
; %bb.23:
	s_movk_i32 s0, 0x84
	v_cmp_gt_u32_e32 vcc, s0, v0
	s_and_saveexec_b64 s[0:1], vcc
	s_cbranch_execz .LBB565_25
; %bb.24:
	ds_read_b128 v[13:16], v17 offset:5632
	ds_read_b128 v[18:21], v17
	s_waitcnt lgkmcnt(0)
	v_add_f64 v[13:14], v[13:14], v[18:19]
	v_add_f64 v[15:16], v[15:16], v[20:21]
	ds_write_b128 v17, v[13:16]
.LBB565_25:
	s_or_b64 exec, exec, s[0:1]
	s_movk_i32 s0, 0xb0
	v_cmp_gt_u32_e32 vcc, s0, v0
	s_waitcnt lgkmcnt(0)
	s_barrier
	s_and_saveexec_b64 s[0:1], vcc
	s_cbranch_execz .LBB565_27
; %bb.26:
	ds_read_b128 v[13:16], v17 offset:2816
	ds_read_b128 v[18:21], v17
	s_waitcnt lgkmcnt(0)
	v_add_f64 v[13:14], v[13:14], v[18:19]
	v_add_f64 v[15:16], v[15:16], v[20:21]
	ds_write_b128 v17, v[13:16]
.LBB565_27:
	s_or_b64 exec, exec, s[0:1]
	s_movk_i32 s0, 0x58
	v_cmp_gt_u32_e32 vcc, s0, v0
	s_waitcnt lgkmcnt(0)
	s_barrier
	s_and_saveexec_b64 s[0:1], vcc
	s_cbranch_execz .LBB565_29
; %bb.28:
	ds_read_b128 v[13:16], v17 offset:1408
	ds_read_b128 v[18:21], v17
	s_waitcnt lgkmcnt(0)
	v_add_f64 v[13:14], v[13:14], v[18:19]
	v_add_f64 v[15:16], v[15:16], v[20:21]
	ds_write_b128 v17, v[13:16]
.LBB565_29:
	s_or_b64 exec, exec, s[0:1]
	v_cmp_gt_u32_e32 vcc, 44, v0
	s_waitcnt lgkmcnt(0)
	s_barrier
	s_and_saveexec_b64 s[0:1], vcc
	s_cbranch_execz .LBB565_31
; %bb.30:
	ds_read_b128 v[13:16], v17 offset:704
	ds_read_b128 v[18:21], v17
	s_waitcnt lgkmcnt(0)
	v_add_f64 v[13:14], v[13:14], v[18:19]
	v_add_f64 v[15:16], v[15:16], v[20:21]
	ds_write_b128 v17, v[13:16]
.LBB565_31:
	s_or_b64 exec, exec, s[0:1]
	v_cmp_gt_u32_e32 vcc, 22, v0
	s_waitcnt lgkmcnt(0)
	s_and_saveexec_b64 s[0:1], vcc
	s_cbranch_execz .LBB565_33
; %bb.32:
	ds_read_b128 v[9:12], v17 offset:352
	ds_read_b128 v[13:16], v17
	s_waitcnt lgkmcnt(0)
	v_add_f64 v[9:10], v[9:10], v[13:14]
	v_add_f64 v[11:12], v[11:12], v[15:16]
.LBB565_33:
	s_or_b64 exec, exec, s[0:1]
	v_mov_b32_e32 v16, v12
	v_mov_b32_e32 v14, v10
	;; [unrolled: 1-line block ×4, first 2 shown]
.LBB565_34:
	v_cmp_gt_u32_e32 vcc, 22, v0
	s_and_b64 exec, exec, vcc
	s_cbranch_execz .LBB565_39
; %bb.35:
	v_mul_f64 v[9:10], v[15:16], -v[7:8]
	v_mul_f64 v[11:12], v[5:6], v[15:16]
	v_cmp_eq_f64_e32 vcc, 0, v[1:2]
	v_cmp_eq_f64_e64 s[0:1], 0, v[3:4]
	s_mul_i32 s2, s7, 0x160
	s_mul_hi_u32 s3, s6, 0x160
	s_mul_i32 s4, s6, 0x160
	v_fma_f64 v[5:6], v[5:6], v[13:14], v[9:10]
	v_fma_f64 v[7:8], v[7:8], v[13:14], v[11:12]
	s_and_b64 s[0:1], vcc, s[0:1]
	s_and_saveexec_b64 s[6:7], s[0:1]
	s_xor_b64 s[0:1], exec, s[6:7]
	s_cbranch_execz .LBB565_37
; %bb.36:
	s_add_i32 s5, s3, s2
	s_add_u32 s6, s12, s4
	s_addc_u32 s7, s13, s5
	global_store_dwordx4 v17, v[5:8], s[6:7]
                                        ; implicit-def: $vgpr17
                                        ; implicit-def: $vgpr1_vgpr2
                                        ; implicit-def: $vgpr5_vgpr6
.LBB565_37:
	s_andn2_saveexec_b64 s[0:1], s[0:1]
	s_cbranch_execz .LBB565_39
; %bb.38:
	s_add_i32 s3, s3, s2
	s_add_u32 s0, s12, s4
	s_addc_u32 s1, s13, s3
	global_load_dwordx4 v[9:12], v17, s[0:1]
	s_waitcnt vmcnt(0)
	v_fma_f64 v[5:6], v[1:2], v[9:10], v[5:6]
	v_fma_f64 v[7:8], v[3:4], v[9:10], v[7:8]
	v_fma_f64 v[3:4], -v[3:4], v[11:12], v[5:6]
	v_fma_f64 v[5:6], v[1:2], v[11:12], v[7:8]
	global_store_dwordx4 v17, v[3:6], s[0:1]
.LBB565_39:
	s_endpgm
	.section	.rodata,"a",@progbits
	.p2align	6, 0x0
	.amdhsa_kernel _ZN9rocsparseL20bsrxmvn_17_32_kernelILj22E21rocsparse_complex_numIdEllS1_IfES2_S2_EEvT2_20rocsparse_direction_NS_24const_host_device_scalarIT0_EES4_PKS4_PKT1_SD_SA_PKT3_PKT4_S8_PT5_21rocsparse_index_base_b
		.amdhsa_group_segment_fixed_size 7744
		.amdhsa_private_segment_fixed_size 0
		.amdhsa_kernarg_size 120
		.amdhsa_user_sgpr_count 6
		.amdhsa_user_sgpr_private_segment_buffer 1
		.amdhsa_user_sgpr_dispatch_ptr 0
		.amdhsa_user_sgpr_queue_ptr 0
		.amdhsa_user_sgpr_kernarg_segment_ptr 1
		.amdhsa_user_sgpr_dispatch_id 0
		.amdhsa_user_sgpr_flat_scratch_init 0
		.amdhsa_user_sgpr_private_segment_size 0
		.amdhsa_uses_dynamic_stack 0
		.amdhsa_system_sgpr_private_segment_wavefront_offset 0
		.amdhsa_system_sgpr_workgroup_id_x 1
		.amdhsa_system_sgpr_workgroup_id_y 0
		.amdhsa_system_sgpr_workgroup_id_z 0
		.amdhsa_system_sgpr_workgroup_info 0
		.amdhsa_system_vgpr_workitem_id 0
		.amdhsa_next_free_vgpr 31
		.amdhsa_next_free_sgpr 22
		.amdhsa_reserve_vcc 1
		.amdhsa_reserve_flat_scratch 0
		.amdhsa_float_round_mode_32 0
		.amdhsa_float_round_mode_16_64 0
		.amdhsa_float_denorm_mode_32 3
		.amdhsa_float_denorm_mode_16_64 3
		.amdhsa_dx10_clamp 1
		.amdhsa_ieee_mode 1
		.amdhsa_fp16_overflow 0
		.amdhsa_exception_fp_ieee_invalid_op 0
		.amdhsa_exception_fp_denorm_src 0
		.amdhsa_exception_fp_ieee_div_zero 0
		.amdhsa_exception_fp_ieee_overflow 0
		.amdhsa_exception_fp_ieee_underflow 0
		.amdhsa_exception_fp_ieee_inexact 0
		.amdhsa_exception_int_div_zero 0
	.end_amdhsa_kernel
	.section	.text._ZN9rocsparseL20bsrxmvn_17_32_kernelILj22E21rocsparse_complex_numIdEllS1_IfES2_S2_EEvT2_20rocsparse_direction_NS_24const_host_device_scalarIT0_EES4_PKS4_PKT1_SD_SA_PKT3_PKT4_S8_PT5_21rocsparse_index_base_b,"axG",@progbits,_ZN9rocsparseL20bsrxmvn_17_32_kernelILj22E21rocsparse_complex_numIdEllS1_IfES2_S2_EEvT2_20rocsparse_direction_NS_24const_host_device_scalarIT0_EES4_PKS4_PKT1_SD_SA_PKT3_PKT4_S8_PT5_21rocsparse_index_base_b,comdat
.Lfunc_end565:
	.size	_ZN9rocsparseL20bsrxmvn_17_32_kernelILj22E21rocsparse_complex_numIdEllS1_IfES2_S2_EEvT2_20rocsparse_direction_NS_24const_host_device_scalarIT0_EES4_PKS4_PKT1_SD_SA_PKT3_PKT4_S8_PT5_21rocsparse_index_base_b, .Lfunc_end565-_ZN9rocsparseL20bsrxmvn_17_32_kernelILj22E21rocsparse_complex_numIdEllS1_IfES2_S2_EEvT2_20rocsparse_direction_NS_24const_host_device_scalarIT0_EES4_PKS4_PKT1_SD_SA_PKT3_PKT4_S8_PT5_21rocsparse_index_base_b
                                        ; -- End function
	.set _ZN9rocsparseL20bsrxmvn_17_32_kernelILj22E21rocsparse_complex_numIdEllS1_IfES2_S2_EEvT2_20rocsparse_direction_NS_24const_host_device_scalarIT0_EES4_PKS4_PKT1_SD_SA_PKT3_PKT4_S8_PT5_21rocsparse_index_base_b.num_vgpr, 31
	.set _ZN9rocsparseL20bsrxmvn_17_32_kernelILj22E21rocsparse_complex_numIdEllS1_IfES2_S2_EEvT2_20rocsparse_direction_NS_24const_host_device_scalarIT0_EES4_PKS4_PKT1_SD_SA_PKT3_PKT4_S8_PT5_21rocsparse_index_base_b.num_agpr, 0
	.set _ZN9rocsparseL20bsrxmvn_17_32_kernelILj22E21rocsparse_complex_numIdEllS1_IfES2_S2_EEvT2_20rocsparse_direction_NS_24const_host_device_scalarIT0_EES4_PKS4_PKT1_SD_SA_PKT3_PKT4_S8_PT5_21rocsparse_index_base_b.numbered_sgpr, 22
	.set _ZN9rocsparseL20bsrxmvn_17_32_kernelILj22E21rocsparse_complex_numIdEllS1_IfES2_S2_EEvT2_20rocsparse_direction_NS_24const_host_device_scalarIT0_EES4_PKS4_PKT1_SD_SA_PKT3_PKT4_S8_PT5_21rocsparse_index_base_b.num_named_barrier, 0
	.set _ZN9rocsparseL20bsrxmvn_17_32_kernelILj22E21rocsparse_complex_numIdEllS1_IfES2_S2_EEvT2_20rocsparse_direction_NS_24const_host_device_scalarIT0_EES4_PKS4_PKT1_SD_SA_PKT3_PKT4_S8_PT5_21rocsparse_index_base_b.private_seg_size, 0
	.set _ZN9rocsparseL20bsrxmvn_17_32_kernelILj22E21rocsparse_complex_numIdEllS1_IfES2_S2_EEvT2_20rocsparse_direction_NS_24const_host_device_scalarIT0_EES4_PKS4_PKT1_SD_SA_PKT3_PKT4_S8_PT5_21rocsparse_index_base_b.uses_vcc, 1
	.set _ZN9rocsparseL20bsrxmvn_17_32_kernelILj22E21rocsparse_complex_numIdEllS1_IfES2_S2_EEvT2_20rocsparse_direction_NS_24const_host_device_scalarIT0_EES4_PKS4_PKT1_SD_SA_PKT3_PKT4_S8_PT5_21rocsparse_index_base_b.uses_flat_scratch, 0
	.set _ZN9rocsparseL20bsrxmvn_17_32_kernelILj22E21rocsparse_complex_numIdEllS1_IfES2_S2_EEvT2_20rocsparse_direction_NS_24const_host_device_scalarIT0_EES4_PKS4_PKT1_SD_SA_PKT3_PKT4_S8_PT5_21rocsparse_index_base_b.has_dyn_sized_stack, 0
	.set _ZN9rocsparseL20bsrxmvn_17_32_kernelILj22E21rocsparse_complex_numIdEllS1_IfES2_S2_EEvT2_20rocsparse_direction_NS_24const_host_device_scalarIT0_EES4_PKS4_PKT1_SD_SA_PKT3_PKT4_S8_PT5_21rocsparse_index_base_b.has_recursion, 0
	.set _ZN9rocsparseL20bsrxmvn_17_32_kernelILj22E21rocsparse_complex_numIdEllS1_IfES2_S2_EEvT2_20rocsparse_direction_NS_24const_host_device_scalarIT0_EES4_PKS4_PKT1_SD_SA_PKT3_PKT4_S8_PT5_21rocsparse_index_base_b.has_indirect_call, 0
	.section	.AMDGPU.csdata,"",@progbits
; Kernel info:
; codeLenInByte = 1732
; TotalNumSgprs: 26
; NumVgprs: 31
; ScratchSize: 0
; MemoryBound: 0
; FloatMode: 240
; IeeeMode: 1
; LDSByteSize: 7744 bytes/workgroup (compile time only)
; SGPRBlocks: 3
; VGPRBlocks: 7
; NumSGPRsForWavesPerEU: 26
; NumVGPRsForWavesPerEU: 31
; Occupancy: 8
; WaveLimiterHint : 1
; COMPUTE_PGM_RSRC2:SCRATCH_EN: 0
; COMPUTE_PGM_RSRC2:USER_SGPR: 6
; COMPUTE_PGM_RSRC2:TRAP_HANDLER: 0
; COMPUTE_PGM_RSRC2:TGID_X_EN: 1
; COMPUTE_PGM_RSRC2:TGID_Y_EN: 0
; COMPUTE_PGM_RSRC2:TGID_Z_EN: 0
; COMPUTE_PGM_RSRC2:TIDIG_COMP_CNT: 0
	.section	.text._ZN9rocsparseL20bsrxmvn_17_32_kernelILj23E21rocsparse_complex_numIdEllS1_IfES2_S2_EEvT2_20rocsparse_direction_NS_24const_host_device_scalarIT0_EES4_PKS4_PKT1_SD_SA_PKT3_PKT4_S8_PT5_21rocsparse_index_base_b,"axG",@progbits,_ZN9rocsparseL20bsrxmvn_17_32_kernelILj23E21rocsparse_complex_numIdEllS1_IfES2_S2_EEvT2_20rocsparse_direction_NS_24const_host_device_scalarIT0_EES4_PKS4_PKT1_SD_SA_PKT3_PKT4_S8_PT5_21rocsparse_index_base_b,comdat
	.globl	_ZN9rocsparseL20bsrxmvn_17_32_kernelILj23E21rocsparse_complex_numIdEllS1_IfES2_S2_EEvT2_20rocsparse_direction_NS_24const_host_device_scalarIT0_EES4_PKS4_PKT1_SD_SA_PKT3_PKT4_S8_PT5_21rocsparse_index_base_b ; -- Begin function _ZN9rocsparseL20bsrxmvn_17_32_kernelILj23E21rocsparse_complex_numIdEllS1_IfES2_S2_EEvT2_20rocsparse_direction_NS_24const_host_device_scalarIT0_EES4_PKS4_PKT1_SD_SA_PKT3_PKT4_S8_PT5_21rocsparse_index_base_b
	.p2align	8
	.type	_ZN9rocsparseL20bsrxmvn_17_32_kernelILj23E21rocsparse_complex_numIdEllS1_IfES2_S2_EEvT2_20rocsparse_direction_NS_24const_host_device_scalarIT0_EES4_PKS4_PKT1_SD_SA_PKT3_PKT4_S8_PT5_21rocsparse_index_base_b,@function
_ZN9rocsparseL20bsrxmvn_17_32_kernelILj23E21rocsparse_complex_numIdEllS1_IfES2_S2_EEvT2_20rocsparse_direction_NS_24const_host_device_scalarIT0_EES4_PKS4_PKT1_SD_SA_PKT3_PKT4_S8_PT5_21rocsparse_index_base_b: ; @_ZN9rocsparseL20bsrxmvn_17_32_kernelILj23E21rocsparse_complex_numIdEllS1_IfES2_S2_EEvT2_20rocsparse_direction_NS_24const_host_device_scalarIT0_EES4_PKS4_PKT1_SD_SA_PKT3_PKT4_S8_PT5_21rocsparse_index_base_b
; %bb.0:
	s_load_dwordx2 s[0:1], s[4:5], 0x10
	s_load_dwordx2 s[14:15], s[4:5], 0x70
	s_add_u32 s7, s4, 16
	s_addc_u32 s8, s5, 0
	s_add_u32 s9, s4, 0x58
	s_addc_u32 s10, s5, 0
	s_waitcnt lgkmcnt(0)
	s_bitcmp1_b32 s15, 0
	s_cselect_b32 s1, s8, s1
	s_cselect_b32 s0, s7, s0
	v_mov_b32_e32 v1, s0
	v_mov_b32_e32 v2, s1
	flat_load_dwordx4 v[5:8], v[1:2]
	s_load_dwordx2 s[2:3], s[4:5], 0x58
	s_waitcnt lgkmcnt(0)
	s_cselect_b32 s0, s10, s3
	s_cselect_b32 s1, s9, s2
	v_mov_b32_e32 v1, s1
	v_mov_b32_e32 v2, s0
	flat_load_dwordx4 v[1:4], v[1:2]
	s_waitcnt vmcnt(0)
	v_cmp_eq_f64_e32 vcc, 0, v[5:6]
	v_cmp_eq_f64_e64 s[0:1], 0, v[7:8]
	s_and_b64 s[8:9], vcc, s[0:1]
	s_mov_b64 s[0:1], -1
	s_and_saveexec_b64 s[2:3], s[8:9]
	s_cbranch_execz .LBB566_2
; %bb.1:
	s_waitcnt lgkmcnt(0)
	v_cmp_neq_f64_e32 vcc, 1.0, v[1:2]
	v_cmp_neq_f64_e64 s[0:1], 0, v[3:4]
	s_or_b64 s[0:1], vcc, s[0:1]
	s_orn2_b64 s[0:1], s[0:1], exec
.LBB566_2:
	s_or_b64 exec, exec, s[2:3]
	s_and_saveexec_b64 s[2:3], s[0:1]
	s_cbranch_execz .LBB566_39
; %bb.3:
	s_load_dwordx4 s[0:3], s[4:5], 0x28
	s_load_dwordx2 s[8:9], s[4:5], 0x38
	s_mov_b32 s7, 0
	s_waitcnt lgkmcnt(0)
	s_cmp_eq_u64 s[0:1], 0
	s_cbranch_scc1 .LBB566_5
; %bb.4:
	s_lshl_b64 s[6:7], s[6:7], 3
	s_add_u32 s0, s0, s6
	s_addc_u32 s1, s1, s7
	s_load_dwordx2 s[0:1], s[0:1], 0x0
	s_waitcnt lgkmcnt(0)
	s_sub_u32 s6, s0, s14
	s_subb_u32 s7, s1, 0
.LBB566_5:
	s_load_dword s10, s[4:5], 0x8
	s_load_dwordx2 s[12:13], s[4:5], 0x68
	v_mul_u32_u24_e32 v14, 0xb22, v0
	v_mov_b32_e32 v9, 23
	v_mul_lo_u16_sdwa v9, v14, v9 dst_sel:DWORD dst_unused:UNUSED_PAD src0_sel:WORD_1 src1_sel:DWORD
	s_waitcnt lgkmcnt(0)
	s_cmp_eq_u32 s10, 1
	s_cselect_b64 s[0:1], -1, 0
	s_cmp_lg_u32 s10, 1
	s_cselect_b64 s[16:17], -1, 0
	s_lshl_b64 s[10:11], s[6:7], 3
	s_add_u32 s20, s2, s10
	s_addc_u32 s21, s3, s11
	s_add_u32 s2, s20, 8
	s_addc_u32 s3, s21, 0
	;; [unrolled: 2-line block ×3, first 2 shown]
	s_cmp_eq_u64 s[8:9], 0
	s_cselect_b32 s9, s3, s11
	s_cselect_b32 s8, s2, s10
	s_load_dwordx2 s[2:3], s[8:9], 0x0
	s_load_dwordx2 s[18:19], s[20:21], 0x0
	v_sub_u16_e32 v21, v0, v9
	v_mov_b32_e32 v11, 0
	v_mov_b32_e32 v13, 0
	s_waitcnt lgkmcnt(0)
	v_mov_b32_e32 v10, s3
	v_mov_b32_e32 v9, s2
	v_cmp_ge_i64_e32 vcc, s[18:19], v[9:10]
	v_mov_b32_e32 v9, 0
	v_mov_b32_e32 v12, 0
	;; [unrolled: 1-line block ×3, first 2 shown]
	s_cbranch_vccnz .LBB566_10
; %bb.6:
	s_load_dwordx2 s[20:21], s[4:5], 0x50
	s_load_dwordx4 s[8:11], s[4:5], 0x40
	s_mov_b32 s4, 0xffff
	s_movk_i32 s5, 0x211
	v_and_b32_sdwa v9, s4, v14 dst_sel:DWORD dst_unused:UNUSED_PAD src0_sel:DWORD src1_sel:WORD_1
	s_sub_u32 s2, s2, s14
	v_subrev_u32_e32 v10, 23, v9
	v_cmp_gt_u32_e32 vcc, s5, v0
	s_subb_u32 s3, s3, 0
	v_cndmask_b32_e32 v9, v10, v9, vcc
	s_sub_u32 s4, s18, s14
	v_cndmask_b32_e64 v12, v21, v9, s[0:1]
	s_subb_u32 s5, s19, 0
	v_lshlrev_b64 v[9:10], 4, v[12:13]
	s_mul_i32 s0, s5, 0x1088
	s_mul_hi_u32 s1, s4, 0x1088
	s_add_i32 s1, s1, s0
	s_mul_i32 s0, s4, 0x1088
	s_waitcnt lgkmcnt(0)
	v_mov_b32_e32 v11, s21
	v_add_co_u32_e32 v13, vcc, s20, v9
	s_add_u32 s0, s10, s0
	v_addc_co_u32_e32 v14, vcc, v11, v10, vcc
	s_addc_u32 s1, s11, s1
	v_lshlrev_b32_e32 v9, 3, v0
	v_mov_b32_e32 v10, s1
	v_add_co_u32_e32 v15, vcc, s0, v9
	v_addc_co_u32_e32 v16, vcc, 0, v10, vcc
	s_movk_i32 s0, 0x210
	v_cmp_lt_u32_e32 vcc, s0, v0
	v_cndmask_b32_e64 v22, 0, 1, vcc
	v_mov_b32_e32 v9, s19
	v_add_co_u32_e32 v10, vcc, s18, v22
	v_addc_co_u32_e32 v11, vcc, 0, v9, vcc
	v_subrev_co_u32_e32 v9, vcc, s14, v10
	v_subbrev_co_u32_e32 v10, vcc, 0, v11, vcc
	v_lshlrev_b64 v[9:10], 3, v[9:10]
	v_mov_b32_e32 v11, s9
	v_add_co_u32_e32 v17, vcc, s8, v9
	v_addc_co_u32_e32 v18, vcc, v11, v10, vcc
	v_mov_b32_e32 v11, 0
	v_mov_b32_e32 v12, 0
	;; [unrolled: 1-line block ×4, first 2 shown]
	s_movk_i32 s8, 0x170
	v_mov_b32_e32 v19, s2
	v_mov_b32_e32 v10, v12
	s_branch .LBB566_8
.LBB566_7:                              ;   in Loop: Header=BB566_8 Depth=1
	s_or_b64 exec, exec, s[0:1]
	s_add_u32 s4, s4, 1
	s_addc_u32 s5, s5, 0
	v_cmp_lt_i64_e32 vcc, s[4:5], v[19:20]
	v_add_co_u32_e64 v17, s[0:1], 8, v17
	v_addc_co_u32_e64 v18, s[0:1], 0, v18, s[0:1]
	s_cbranch_vccz .LBB566_10
.LBB566_8:                              ; =>This Inner Loop Header: Depth=1
	v_mov_b32_e32 v24, s5
	v_add_co_u32_e32 v23, vcc, s4, v22
	v_addc_co_u32_e32 v24, vcc, 0, v24, vcc
	v_cmp_gt_i64_e32 vcc, s[2:3], v[23:24]
	s_and_saveexec_b64 s[0:1], vcc
	s_cbranch_execz .LBB566_7
; %bb.9:                                ;   in Loop: Header=BB566_8 Depth=1
	global_load_dwordx2 v[23:24], v[17:18], off
	s_waitcnt vmcnt(0)
	v_subrev_co_u32_e32 v23, vcc, s14, v23
	v_subbrev_co_u32_e32 v25, vcc, 0, v24, vcc
	v_mad_u64_u32 v[23:24], s[10:11], v23, s8, v[13:14]
	v_mad_u64_u32 v[24:25], s[10:11], v25, s8, v[24:25]
	global_load_dwordx2 v[27:28], v[15:16], off
	s_nop 0
	global_load_dwordx4 v[23:26], v[23:24], off
	v_add_co_u32_e32 v15, vcc, 0x1088, v15
	v_addc_co_u32_e32 v16, vcc, 0, v16, vcc
	s_waitcnt vmcnt(1)
	v_cvt_f64_f32_e32 v[29:30], v27
	v_cvt_f64_f32_e32 v[27:28], v28
	s_waitcnt vmcnt(0)
	v_fma_f64 v[9:10], v[29:30], v[23:24], v[9:10]
	v_fma_f64 v[11:12], v[27:28], v[23:24], v[11:12]
	v_fma_f64 v[9:10], -v[27:28], v[25:26], v[9:10]
	v_fma_f64 v[11:12], v[29:30], v[25:26], v[11:12]
	s_branch .LBB566_7
.LBB566_10:
	v_lshlrev_b32_e32 v17, 4, v0
	s_and_b64 vcc, exec, s[16:17]
	ds_write_b128 v17, v[9:12]
	s_waitcnt lgkmcnt(0)
	s_barrier
	s_cbranch_vccz .LBB566_22
; %bb.11:
	v_cmp_gt_u16_e32 vcc, 7, v21
	s_and_saveexec_b64 s[0:1], vcc
	s_cbranch_execz .LBB566_13
; %bb.12:
	ds_read_b128 v[13:16], v17 offset:256
	ds_read_b128 v[22:25], v17
	s_waitcnt lgkmcnt(0)
	v_add_f64 v[13:14], v[13:14], v[22:23]
	v_add_f64 v[15:16], v[15:16], v[24:25]
	ds_write_b128 v17, v[13:16]
.LBB566_13:
	s_or_b64 exec, exec, s[0:1]
	v_cmp_gt_u16_e32 vcc, 8, v21
	s_waitcnt lgkmcnt(0)
	s_barrier
	s_and_saveexec_b64 s[0:1], vcc
	s_cbranch_execz .LBB566_15
; %bb.14:
	ds_read_b128 v[13:16], v17 offset:128
	ds_read_b128 v[22:25], v17
	s_waitcnt lgkmcnt(0)
	v_add_f64 v[13:14], v[13:14], v[22:23]
	v_add_f64 v[15:16], v[15:16], v[24:25]
	ds_write_b128 v17, v[13:16]
.LBB566_15:
	s_or_b64 exec, exec, s[0:1]
	v_cmp_gt_u16_e32 vcc, 4, v21
	s_waitcnt lgkmcnt(0)
	s_barrier
	;; [unrolled: 14-line block ×3, first 2 shown]
	s_and_saveexec_b64 s[0:1], vcc
	s_cbranch_execz .LBB566_19
; %bb.18:
	ds_read_b128 v[13:16], v17
	ds_read_b128 v[18:21], v17 offset:32
	s_waitcnt lgkmcnt(0)
	v_add_f64 v[13:14], v[18:19], v[13:14]
	v_add_f64 v[15:16], v[20:21], v[15:16]
	ds_write_b128 v17, v[13:16]
.LBB566_19:
	s_or_b64 exec, exec, s[0:1]
	v_mov_b32_e32 v16, v12
	v_mov_b32_e32 v14, v10
	v_cmp_gt_u32_e32 vcc, 23, v0
	v_mov_b32_e32 v15, v11
	v_mov_b32_e32 v13, v9
	s_waitcnt lgkmcnt(0)
	s_barrier
	s_and_saveexec_b64 s[0:1], vcc
	s_cbranch_execz .LBB566_21
; %bb.20:
	s_movk_i32 s2, 0x160
	v_mad_u32_u24 v18, v0, s2, v17
	ds_read_b128 v[13:16], v18
	ds_read_b128 v[18:21], v18 offset:16
	s_waitcnt lgkmcnt(0)
	v_add_f64 v[13:14], v[18:19], v[13:14]
	v_add_f64 v[15:16], v[20:21], v[15:16]
.LBB566_21:
	s_or_b64 exec, exec, s[0:1]
	s_branch .LBB566_34
.LBB566_22:
                                        ; implicit-def: $vgpr15_vgpr16
                                        ; implicit-def: $vgpr13_vgpr14
	s_cbranch_execz .LBB566_34
; %bb.23:
	s_movk_i32 s0, 0xa1
	v_cmp_gt_u32_e32 vcc, s0, v0
	s_and_saveexec_b64 s[0:1], vcc
	s_cbranch_execz .LBB566_25
; %bb.24:
	ds_read_b128 v[13:16], v17 offset:5888
	ds_read_b128 v[18:21], v17
	s_waitcnt lgkmcnt(0)
	v_add_f64 v[13:14], v[13:14], v[18:19]
	v_add_f64 v[15:16], v[15:16], v[20:21]
	ds_write_b128 v17, v[13:16]
.LBB566_25:
	s_or_b64 exec, exec, s[0:1]
	s_movk_i32 s0, 0xb8
	v_cmp_gt_u32_e32 vcc, s0, v0
	s_waitcnt lgkmcnt(0)
	s_barrier
	s_and_saveexec_b64 s[0:1], vcc
	s_cbranch_execz .LBB566_27
; %bb.26:
	ds_read_b128 v[13:16], v17 offset:2944
	ds_read_b128 v[18:21], v17
	s_waitcnt lgkmcnt(0)
	v_add_f64 v[13:14], v[13:14], v[18:19]
	v_add_f64 v[15:16], v[15:16], v[20:21]
	ds_write_b128 v17, v[13:16]
.LBB566_27:
	s_or_b64 exec, exec, s[0:1]
	s_movk_i32 s0, 0x5c
	v_cmp_gt_u32_e32 vcc, s0, v0
	s_waitcnt lgkmcnt(0)
	s_barrier
	s_and_saveexec_b64 s[0:1], vcc
	s_cbranch_execz .LBB566_29
; %bb.28:
	ds_read_b128 v[13:16], v17 offset:1472
	ds_read_b128 v[18:21], v17
	s_waitcnt lgkmcnt(0)
	v_add_f64 v[13:14], v[13:14], v[18:19]
	v_add_f64 v[15:16], v[15:16], v[20:21]
	ds_write_b128 v17, v[13:16]
.LBB566_29:
	s_or_b64 exec, exec, s[0:1]
	v_cmp_gt_u32_e32 vcc, 46, v0
	s_waitcnt lgkmcnt(0)
	s_barrier
	s_and_saveexec_b64 s[0:1], vcc
	s_cbranch_execz .LBB566_31
; %bb.30:
	ds_read_b128 v[13:16], v17 offset:736
	ds_read_b128 v[18:21], v17
	s_waitcnt lgkmcnt(0)
	v_add_f64 v[13:14], v[13:14], v[18:19]
	v_add_f64 v[15:16], v[15:16], v[20:21]
	ds_write_b128 v17, v[13:16]
.LBB566_31:
	s_or_b64 exec, exec, s[0:1]
	v_cmp_gt_u32_e32 vcc, 23, v0
	s_waitcnt lgkmcnt(0)
	s_and_saveexec_b64 s[0:1], vcc
	s_cbranch_execz .LBB566_33
; %bb.32:
	ds_read_b128 v[9:12], v17 offset:368
	ds_read_b128 v[13:16], v17
	s_waitcnt lgkmcnt(0)
	v_add_f64 v[9:10], v[9:10], v[13:14]
	v_add_f64 v[11:12], v[11:12], v[15:16]
.LBB566_33:
	s_or_b64 exec, exec, s[0:1]
	v_mov_b32_e32 v16, v12
	v_mov_b32_e32 v14, v10
	;; [unrolled: 1-line block ×4, first 2 shown]
.LBB566_34:
	v_cmp_gt_u32_e32 vcc, 23, v0
	s_and_b64 exec, exec, vcc
	s_cbranch_execz .LBB566_39
; %bb.35:
	v_mul_f64 v[9:10], v[15:16], -v[7:8]
	v_mul_f64 v[11:12], v[5:6], v[15:16]
	v_cmp_eq_f64_e32 vcc, 0, v[1:2]
	v_cmp_eq_f64_e64 s[0:1], 0, v[3:4]
	s_mul_i32 s2, s7, 0x170
	s_mul_hi_u32 s3, s6, 0x170
	s_mul_i32 s4, s6, 0x170
	v_fma_f64 v[5:6], v[5:6], v[13:14], v[9:10]
	v_fma_f64 v[7:8], v[7:8], v[13:14], v[11:12]
	s_and_b64 s[0:1], vcc, s[0:1]
	s_and_saveexec_b64 s[6:7], s[0:1]
	s_xor_b64 s[0:1], exec, s[6:7]
	s_cbranch_execz .LBB566_37
; %bb.36:
	s_add_i32 s5, s3, s2
	s_add_u32 s6, s12, s4
	s_addc_u32 s7, s13, s5
	global_store_dwordx4 v17, v[5:8], s[6:7]
                                        ; implicit-def: $vgpr17
                                        ; implicit-def: $vgpr1_vgpr2
                                        ; implicit-def: $vgpr5_vgpr6
.LBB566_37:
	s_andn2_saveexec_b64 s[0:1], s[0:1]
	s_cbranch_execz .LBB566_39
; %bb.38:
	s_add_i32 s3, s3, s2
	s_add_u32 s0, s12, s4
	s_addc_u32 s1, s13, s3
	global_load_dwordx4 v[9:12], v17, s[0:1]
	s_waitcnt vmcnt(0)
	v_fma_f64 v[5:6], v[1:2], v[9:10], v[5:6]
	v_fma_f64 v[7:8], v[3:4], v[9:10], v[7:8]
	v_fma_f64 v[3:4], -v[3:4], v[11:12], v[5:6]
	v_fma_f64 v[5:6], v[1:2], v[11:12], v[7:8]
	global_store_dwordx4 v17, v[3:6], s[0:1]
.LBB566_39:
	s_endpgm
	.section	.rodata,"a",@progbits
	.p2align	6, 0x0
	.amdhsa_kernel _ZN9rocsparseL20bsrxmvn_17_32_kernelILj23E21rocsparse_complex_numIdEllS1_IfES2_S2_EEvT2_20rocsparse_direction_NS_24const_host_device_scalarIT0_EES4_PKS4_PKT1_SD_SA_PKT3_PKT4_S8_PT5_21rocsparse_index_base_b
		.amdhsa_group_segment_fixed_size 8464
		.amdhsa_private_segment_fixed_size 0
		.amdhsa_kernarg_size 120
		.amdhsa_user_sgpr_count 6
		.amdhsa_user_sgpr_private_segment_buffer 1
		.amdhsa_user_sgpr_dispatch_ptr 0
		.amdhsa_user_sgpr_queue_ptr 0
		.amdhsa_user_sgpr_kernarg_segment_ptr 1
		.amdhsa_user_sgpr_dispatch_id 0
		.amdhsa_user_sgpr_flat_scratch_init 0
		.amdhsa_user_sgpr_private_segment_size 0
		.amdhsa_uses_dynamic_stack 0
		.amdhsa_system_sgpr_private_segment_wavefront_offset 0
		.amdhsa_system_sgpr_workgroup_id_x 1
		.amdhsa_system_sgpr_workgroup_id_y 0
		.amdhsa_system_sgpr_workgroup_id_z 0
		.amdhsa_system_sgpr_workgroup_info 0
		.amdhsa_system_vgpr_workitem_id 0
		.amdhsa_next_free_vgpr 31
		.amdhsa_next_free_sgpr 61
		.amdhsa_reserve_vcc 1
		.amdhsa_reserve_flat_scratch 0
		.amdhsa_float_round_mode_32 0
		.amdhsa_float_round_mode_16_64 0
		.amdhsa_float_denorm_mode_32 3
		.amdhsa_float_denorm_mode_16_64 3
		.amdhsa_dx10_clamp 1
		.amdhsa_ieee_mode 1
		.amdhsa_fp16_overflow 0
		.amdhsa_exception_fp_ieee_invalid_op 0
		.amdhsa_exception_fp_denorm_src 0
		.amdhsa_exception_fp_ieee_div_zero 0
		.amdhsa_exception_fp_ieee_overflow 0
		.amdhsa_exception_fp_ieee_underflow 0
		.amdhsa_exception_fp_ieee_inexact 0
		.amdhsa_exception_int_div_zero 0
	.end_amdhsa_kernel
	.section	.text._ZN9rocsparseL20bsrxmvn_17_32_kernelILj23E21rocsparse_complex_numIdEllS1_IfES2_S2_EEvT2_20rocsparse_direction_NS_24const_host_device_scalarIT0_EES4_PKS4_PKT1_SD_SA_PKT3_PKT4_S8_PT5_21rocsparse_index_base_b,"axG",@progbits,_ZN9rocsparseL20bsrxmvn_17_32_kernelILj23E21rocsparse_complex_numIdEllS1_IfES2_S2_EEvT2_20rocsparse_direction_NS_24const_host_device_scalarIT0_EES4_PKS4_PKT1_SD_SA_PKT3_PKT4_S8_PT5_21rocsparse_index_base_b,comdat
.Lfunc_end566:
	.size	_ZN9rocsparseL20bsrxmvn_17_32_kernelILj23E21rocsparse_complex_numIdEllS1_IfES2_S2_EEvT2_20rocsparse_direction_NS_24const_host_device_scalarIT0_EES4_PKS4_PKT1_SD_SA_PKT3_PKT4_S8_PT5_21rocsparse_index_base_b, .Lfunc_end566-_ZN9rocsparseL20bsrxmvn_17_32_kernelILj23E21rocsparse_complex_numIdEllS1_IfES2_S2_EEvT2_20rocsparse_direction_NS_24const_host_device_scalarIT0_EES4_PKS4_PKT1_SD_SA_PKT3_PKT4_S8_PT5_21rocsparse_index_base_b
                                        ; -- End function
	.set _ZN9rocsparseL20bsrxmvn_17_32_kernelILj23E21rocsparse_complex_numIdEllS1_IfES2_S2_EEvT2_20rocsparse_direction_NS_24const_host_device_scalarIT0_EES4_PKS4_PKT1_SD_SA_PKT3_PKT4_S8_PT5_21rocsparse_index_base_b.num_vgpr, 31
	.set _ZN9rocsparseL20bsrxmvn_17_32_kernelILj23E21rocsparse_complex_numIdEllS1_IfES2_S2_EEvT2_20rocsparse_direction_NS_24const_host_device_scalarIT0_EES4_PKS4_PKT1_SD_SA_PKT3_PKT4_S8_PT5_21rocsparse_index_base_b.num_agpr, 0
	.set _ZN9rocsparseL20bsrxmvn_17_32_kernelILj23E21rocsparse_complex_numIdEllS1_IfES2_S2_EEvT2_20rocsparse_direction_NS_24const_host_device_scalarIT0_EES4_PKS4_PKT1_SD_SA_PKT3_PKT4_S8_PT5_21rocsparse_index_base_b.numbered_sgpr, 22
	.set _ZN9rocsparseL20bsrxmvn_17_32_kernelILj23E21rocsparse_complex_numIdEllS1_IfES2_S2_EEvT2_20rocsparse_direction_NS_24const_host_device_scalarIT0_EES4_PKS4_PKT1_SD_SA_PKT3_PKT4_S8_PT5_21rocsparse_index_base_b.num_named_barrier, 0
	.set _ZN9rocsparseL20bsrxmvn_17_32_kernelILj23E21rocsparse_complex_numIdEllS1_IfES2_S2_EEvT2_20rocsparse_direction_NS_24const_host_device_scalarIT0_EES4_PKS4_PKT1_SD_SA_PKT3_PKT4_S8_PT5_21rocsparse_index_base_b.private_seg_size, 0
	.set _ZN9rocsparseL20bsrxmvn_17_32_kernelILj23E21rocsparse_complex_numIdEllS1_IfES2_S2_EEvT2_20rocsparse_direction_NS_24const_host_device_scalarIT0_EES4_PKS4_PKT1_SD_SA_PKT3_PKT4_S8_PT5_21rocsparse_index_base_b.uses_vcc, 1
	.set _ZN9rocsparseL20bsrxmvn_17_32_kernelILj23E21rocsparse_complex_numIdEllS1_IfES2_S2_EEvT2_20rocsparse_direction_NS_24const_host_device_scalarIT0_EES4_PKS4_PKT1_SD_SA_PKT3_PKT4_S8_PT5_21rocsparse_index_base_b.uses_flat_scratch, 0
	.set _ZN9rocsparseL20bsrxmvn_17_32_kernelILj23E21rocsparse_complex_numIdEllS1_IfES2_S2_EEvT2_20rocsparse_direction_NS_24const_host_device_scalarIT0_EES4_PKS4_PKT1_SD_SA_PKT3_PKT4_S8_PT5_21rocsparse_index_base_b.has_dyn_sized_stack, 0
	.set _ZN9rocsparseL20bsrxmvn_17_32_kernelILj23E21rocsparse_complex_numIdEllS1_IfES2_S2_EEvT2_20rocsparse_direction_NS_24const_host_device_scalarIT0_EES4_PKS4_PKT1_SD_SA_PKT3_PKT4_S8_PT5_21rocsparse_index_base_b.has_recursion, 0
	.set _ZN9rocsparseL20bsrxmvn_17_32_kernelILj23E21rocsparse_complex_numIdEllS1_IfES2_S2_EEvT2_20rocsparse_direction_NS_24const_host_device_scalarIT0_EES4_PKS4_PKT1_SD_SA_PKT3_PKT4_S8_PT5_21rocsparse_index_base_b.has_indirect_call, 0
	.section	.AMDGPU.csdata,"",@progbits
; Kernel info:
; codeLenInByte = 1736
; TotalNumSgprs: 26
; NumVgprs: 31
; ScratchSize: 0
; MemoryBound: 0
; FloatMode: 240
; IeeeMode: 1
; LDSByteSize: 8464 bytes/workgroup (compile time only)
; SGPRBlocks: 8
; VGPRBlocks: 7
; NumSGPRsForWavesPerEU: 65
; NumVGPRsForWavesPerEU: 31
; Occupancy: 8
; WaveLimiterHint : 1
; COMPUTE_PGM_RSRC2:SCRATCH_EN: 0
; COMPUTE_PGM_RSRC2:USER_SGPR: 6
; COMPUTE_PGM_RSRC2:TRAP_HANDLER: 0
; COMPUTE_PGM_RSRC2:TGID_X_EN: 1
; COMPUTE_PGM_RSRC2:TGID_Y_EN: 0
; COMPUTE_PGM_RSRC2:TGID_Z_EN: 0
; COMPUTE_PGM_RSRC2:TIDIG_COMP_CNT: 0
	.section	.text._ZN9rocsparseL20bsrxmvn_17_32_kernelILj24E21rocsparse_complex_numIdEllS1_IfES2_S2_EEvT2_20rocsparse_direction_NS_24const_host_device_scalarIT0_EES4_PKS4_PKT1_SD_SA_PKT3_PKT4_S8_PT5_21rocsparse_index_base_b,"axG",@progbits,_ZN9rocsparseL20bsrxmvn_17_32_kernelILj24E21rocsparse_complex_numIdEllS1_IfES2_S2_EEvT2_20rocsparse_direction_NS_24const_host_device_scalarIT0_EES4_PKS4_PKT1_SD_SA_PKT3_PKT4_S8_PT5_21rocsparse_index_base_b,comdat
	.globl	_ZN9rocsparseL20bsrxmvn_17_32_kernelILj24E21rocsparse_complex_numIdEllS1_IfES2_S2_EEvT2_20rocsparse_direction_NS_24const_host_device_scalarIT0_EES4_PKS4_PKT1_SD_SA_PKT3_PKT4_S8_PT5_21rocsparse_index_base_b ; -- Begin function _ZN9rocsparseL20bsrxmvn_17_32_kernelILj24E21rocsparse_complex_numIdEllS1_IfES2_S2_EEvT2_20rocsparse_direction_NS_24const_host_device_scalarIT0_EES4_PKS4_PKT1_SD_SA_PKT3_PKT4_S8_PT5_21rocsparse_index_base_b
	.p2align	8
	.type	_ZN9rocsparseL20bsrxmvn_17_32_kernelILj24E21rocsparse_complex_numIdEllS1_IfES2_S2_EEvT2_20rocsparse_direction_NS_24const_host_device_scalarIT0_EES4_PKS4_PKT1_SD_SA_PKT3_PKT4_S8_PT5_21rocsparse_index_base_b,@function
_ZN9rocsparseL20bsrxmvn_17_32_kernelILj24E21rocsparse_complex_numIdEllS1_IfES2_S2_EEvT2_20rocsparse_direction_NS_24const_host_device_scalarIT0_EES4_PKS4_PKT1_SD_SA_PKT3_PKT4_S8_PT5_21rocsparse_index_base_b: ; @_ZN9rocsparseL20bsrxmvn_17_32_kernelILj24E21rocsparse_complex_numIdEllS1_IfES2_S2_EEvT2_20rocsparse_direction_NS_24const_host_device_scalarIT0_EES4_PKS4_PKT1_SD_SA_PKT3_PKT4_S8_PT5_21rocsparse_index_base_b
; %bb.0:
	s_load_dwordx2 s[0:1], s[4:5], 0x10
	s_load_dwordx2 s[14:15], s[4:5], 0x70
	s_add_u32 s7, s4, 16
	s_addc_u32 s8, s5, 0
	s_add_u32 s9, s4, 0x58
	s_addc_u32 s10, s5, 0
	s_waitcnt lgkmcnt(0)
	s_bitcmp1_b32 s15, 0
	s_cselect_b32 s1, s8, s1
	s_cselect_b32 s0, s7, s0
	v_mov_b32_e32 v1, s0
	v_mov_b32_e32 v2, s1
	flat_load_dwordx4 v[5:8], v[1:2]
	s_load_dwordx2 s[2:3], s[4:5], 0x58
	s_waitcnt lgkmcnt(0)
	s_cselect_b32 s0, s10, s3
	s_cselect_b32 s1, s9, s2
	v_mov_b32_e32 v1, s1
	v_mov_b32_e32 v2, s0
	flat_load_dwordx4 v[1:4], v[1:2]
	s_waitcnt vmcnt(0)
	v_cmp_eq_f64_e32 vcc, 0, v[5:6]
	v_cmp_eq_f64_e64 s[0:1], 0, v[7:8]
	s_and_b64 s[8:9], vcc, s[0:1]
	s_mov_b64 s[0:1], -1
	s_and_saveexec_b64 s[2:3], s[8:9]
	s_cbranch_execz .LBB567_2
; %bb.1:
	s_waitcnt lgkmcnt(0)
	v_cmp_neq_f64_e32 vcc, 1.0, v[1:2]
	v_cmp_neq_f64_e64 s[0:1], 0, v[3:4]
	s_or_b64 s[0:1], vcc, s[0:1]
	s_orn2_b64 s[0:1], s[0:1], exec
.LBB567_2:
	s_or_b64 exec, exec, s[2:3]
	s_and_saveexec_b64 s[2:3], s[0:1]
	s_cbranch_execz .LBB567_39
; %bb.3:
	s_load_dwordx4 s[0:3], s[4:5], 0x28
	s_load_dwordx2 s[8:9], s[4:5], 0x38
	s_mov_b32 s7, 0
	s_waitcnt lgkmcnt(0)
	s_cmp_eq_u64 s[0:1], 0
	s_cbranch_scc1 .LBB567_5
; %bb.4:
	s_lshl_b64 s[6:7], s[6:7], 3
	s_add_u32 s0, s0, s6
	s_addc_u32 s1, s1, s7
	s_load_dwordx2 s[0:1], s[0:1], 0x0
	s_waitcnt lgkmcnt(0)
	s_sub_u32 s6, s0, s14
	s_subb_u32 s7, s1, 0
.LBB567_5:
	s_load_dword s10, s[4:5], 0x8
	s_load_dwordx2 s[12:13], s[4:5], 0x68
	v_mul_u32_u24_e32 v14, 0xaab, v0
	v_mov_b32_e32 v9, 24
	v_mul_lo_u16_sdwa v9, v14, v9 dst_sel:DWORD dst_unused:UNUSED_PAD src0_sel:WORD_1 src1_sel:DWORD
	s_waitcnt lgkmcnt(0)
	s_cmp_eq_u32 s10, 1
	s_cselect_b64 s[0:1], -1, 0
	s_cmp_lg_u32 s10, 1
	s_cselect_b64 s[16:17], -1, 0
	s_lshl_b64 s[10:11], s[6:7], 3
	s_add_u32 s20, s2, s10
	s_addc_u32 s21, s3, s11
	s_add_u32 s2, s20, 8
	s_addc_u32 s3, s21, 0
	;; [unrolled: 2-line block ×3, first 2 shown]
	s_cmp_eq_u64 s[8:9], 0
	s_cselect_b32 s9, s3, s11
	s_cselect_b32 s8, s2, s10
	s_load_dwordx2 s[2:3], s[8:9], 0x0
	s_load_dwordx2 s[18:19], s[20:21], 0x0
	v_sub_u16_e32 v21, v0, v9
	v_mov_b32_e32 v11, 0
	v_mov_b32_e32 v13, 0
	s_waitcnt lgkmcnt(0)
	v_mov_b32_e32 v10, s3
	v_mov_b32_e32 v9, s2
	v_cmp_ge_i64_e32 vcc, s[18:19], v[9:10]
	v_mov_b32_e32 v9, 0
	v_mov_b32_e32 v12, 0
	;; [unrolled: 1-line block ×3, first 2 shown]
	s_cbranch_vccnz .LBB567_10
; %bb.6:
	s_load_dwordx2 s[20:21], s[4:5], 0x50
	s_load_dwordx4 s[8:11], s[4:5], 0x40
	s_mov_b32 s4, 0xffff
	s_movk_i32 s5, 0x240
	v_and_b32_sdwa v9, s4, v14 dst_sel:DWORD dst_unused:UNUSED_PAD src0_sel:DWORD src1_sel:WORD_1
	s_sub_u32 s2, s2, s14
	v_subrev_u32_e32 v10, 24, v9
	v_cmp_gt_u32_e32 vcc, s5, v0
	s_subb_u32 s3, s3, 0
	v_cndmask_b32_e32 v9, v10, v9, vcc
	s_sub_u32 s4, s18, s14
	v_cndmask_b32_e64 v12, v21, v9, s[0:1]
	s_subb_u32 s5, s19, 0
	v_lshlrev_b64 v[9:10], 4, v[12:13]
	s_mul_i32 s0, s5, 0x1200
	s_mul_hi_u32 s1, s4, 0x1200
	s_add_i32 s1, s1, s0
	s_mul_i32 s0, s4, 0x1200
	s_waitcnt lgkmcnt(0)
	v_mov_b32_e32 v11, s21
	v_add_co_u32_e32 v13, vcc, s20, v9
	s_add_u32 s0, s10, s0
	v_addc_co_u32_e32 v14, vcc, v11, v10, vcc
	s_addc_u32 s1, s11, s1
	v_lshlrev_b32_e32 v9, 3, v0
	v_mov_b32_e32 v10, s1
	v_add_co_u32_e32 v15, vcc, s0, v9
	v_addc_co_u32_e32 v16, vcc, 0, v10, vcc
	s_movk_i32 s0, 0x23f
	v_cmp_lt_u32_e32 vcc, s0, v0
	v_cndmask_b32_e64 v22, 0, 1, vcc
	v_mov_b32_e32 v9, s19
	v_add_co_u32_e32 v10, vcc, s18, v22
	v_addc_co_u32_e32 v11, vcc, 0, v9, vcc
	v_subrev_co_u32_e32 v9, vcc, s14, v10
	v_subbrev_co_u32_e32 v10, vcc, 0, v11, vcc
	v_lshlrev_b64 v[9:10], 3, v[9:10]
	v_mov_b32_e32 v11, s9
	v_add_co_u32_e32 v17, vcc, s8, v9
	v_addc_co_u32_e32 v18, vcc, v11, v10, vcc
	v_mov_b32_e32 v11, 0
	v_mov_b32_e32 v12, 0
	;; [unrolled: 1-line block ×4, first 2 shown]
	s_movk_i32 s8, 0x180
	v_mov_b32_e32 v19, s2
	v_mov_b32_e32 v10, v12
	s_branch .LBB567_8
.LBB567_7:                              ;   in Loop: Header=BB567_8 Depth=1
	s_or_b64 exec, exec, s[0:1]
	s_add_u32 s4, s4, 1
	s_addc_u32 s5, s5, 0
	v_cmp_lt_i64_e32 vcc, s[4:5], v[19:20]
	v_add_co_u32_e64 v17, s[0:1], 8, v17
	v_addc_co_u32_e64 v18, s[0:1], 0, v18, s[0:1]
	s_cbranch_vccz .LBB567_10
.LBB567_8:                              ; =>This Inner Loop Header: Depth=1
	v_mov_b32_e32 v24, s5
	v_add_co_u32_e32 v23, vcc, s4, v22
	v_addc_co_u32_e32 v24, vcc, 0, v24, vcc
	v_cmp_gt_i64_e32 vcc, s[2:3], v[23:24]
	s_and_saveexec_b64 s[0:1], vcc
	s_cbranch_execz .LBB567_7
; %bb.9:                                ;   in Loop: Header=BB567_8 Depth=1
	global_load_dwordx2 v[23:24], v[17:18], off
	s_waitcnt vmcnt(0)
	v_subrev_co_u32_e32 v23, vcc, s14, v23
	v_subbrev_co_u32_e32 v25, vcc, 0, v24, vcc
	v_mad_u64_u32 v[23:24], s[10:11], v23, s8, v[13:14]
	v_mad_u64_u32 v[24:25], s[10:11], v25, s8, v[24:25]
	global_load_dwordx2 v[27:28], v[15:16], off
	s_nop 0
	global_load_dwordx4 v[23:26], v[23:24], off
	v_add_co_u32_e32 v15, vcc, 0x1200, v15
	v_addc_co_u32_e32 v16, vcc, 0, v16, vcc
	s_waitcnt vmcnt(1)
	v_cvt_f64_f32_e32 v[29:30], v27
	v_cvt_f64_f32_e32 v[27:28], v28
	s_waitcnt vmcnt(0)
	v_fma_f64 v[9:10], v[29:30], v[23:24], v[9:10]
	v_fma_f64 v[11:12], v[27:28], v[23:24], v[11:12]
	v_fma_f64 v[9:10], -v[27:28], v[25:26], v[9:10]
	v_fma_f64 v[11:12], v[29:30], v[25:26], v[11:12]
	s_branch .LBB567_7
.LBB567_10:
	v_lshlrev_b32_e32 v17, 4, v0
	s_and_b64 vcc, exec, s[16:17]
	ds_write_b128 v17, v[9:12]
	s_waitcnt lgkmcnt(0)
	s_barrier
	s_cbranch_vccz .LBB567_22
; %bb.11:
	v_cmp_gt_u16_e32 vcc, 8, v21
	s_and_saveexec_b64 s[0:1], vcc
	s_cbranch_execz .LBB567_13
; %bb.12:
	ds_read_b128 v[13:16], v17 offset:256
	ds_read_b128 v[22:25], v17
	s_waitcnt lgkmcnt(0)
	v_add_f64 v[13:14], v[13:14], v[22:23]
	v_add_f64 v[15:16], v[15:16], v[24:25]
	ds_write_b128 v17, v[13:16]
.LBB567_13:
	s_or_b64 exec, exec, s[0:1]
	s_waitcnt lgkmcnt(0)
	s_barrier
	s_and_saveexec_b64 s[0:1], vcc
	s_cbranch_execz .LBB567_15
; %bb.14:
	ds_read_b128 v[13:16], v17 offset:128
	ds_read_b128 v[22:25], v17
	s_waitcnt lgkmcnt(0)
	v_add_f64 v[13:14], v[13:14], v[22:23]
	v_add_f64 v[15:16], v[15:16], v[24:25]
	ds_write_b128 v17, v[13:16]
.LBB567_15:
	s_or_b64 exec, exec, s[0:1]
	v_cmp_gt_u16_e32 vcc, 4, v21
	s_waitcnt lgkmcnt(0)
	s_barrier
	s_and_saveexec_b64 s[0:1], vcc
	s_cbranch_execz .LBB567_17
; %bb.16:
	ds_read_b128 v[13:16], v17 offset:64
	ds_read_b128 v[22:25], v17
	s_waitcnt lgkmcnt(0)
	v_add_f64 v[13:14], v[13:14], v[22:23]
	v_add_f64 v[15:16], v[15:16], v[24:25]
	ds_write_b128 v17, v[13:16]
.LBB567_17:
	s_or_b64 exec, exec, s[0:1]
	v_cmp_gt_u16_e32 vcc, 2, v21
	s_waitcnt lgkmcnt(0)
	s_barrier
	s_and_saveexec_b64 s[0:1], vcc
	s_cbranch_execz .LBB567_19
; %bb.18:
	ds_read_b128 v[13:16], v17
	ds_read_b128 v[18:21], v17 offset:32
	s_waitcnt lgkmcnt(0)
	v_add_f64 v[13:14], v[18:19], v[13:14]
	v_add_f64 v[15:16], v[20:21], v[15:16]
	ds_write_b128 v17, v[13:16]
.LBB567_19:
	s_or_b64 exec, exec, s[0:1]
	v_mov_b32_e32 v16, v12
	v_mov_b32_e32 v14, v10
	v_cmp_gt_u32_e32 vcc, 24, v0
	v_mov_b32_e32 v15, v11
	v_mov_b32_e32 v13, v9
	s_waitcnt lgkmcnt(0)
	s_barrier
	s_and_saveexec_b64 s[0:1], vcc
	s_cbranch_execz .LBB567_21
; %bb.20:
	s_movk_i32 s2, 0x170
	v_mad_u32_u24 v18, v0, s2, v17
	ds_read_b128 v[13:16], v18
	ds_read_b128 v[18:21], v18 offset:16
	s_waitcnt lgkmcnt(0)
	v_add_f64 v[13:14], v[18:19], v[13:14]
	v_add_f64 v[15:16], v[20:21], v[15:16]
.LBB567_21:
	s_or_b64 exec, exec, s[0:1]
	s_branch .LBB567_34
.LBB567_22:
                                        ; implicit-def: $vgpr15_vgpr16
                                        ; implicit-def: $vgpr13_vgpr14
	s_cbranch_execz .LBB567_34
; %bb.23:
	s_movk_i32 s0, 0xc0
	v_cmp_gt_u32_e32 vcc, s0, v0
	s_and_saveexec_b64 s[0:1], vcc
	s_cbranch_execz .LBB567_25
; %bb.24:
	ds_read_b128 v[13:16], v17 offset:6144
	ds_read_b128 v[18:21], v17
	s_waitcnt lgkmcnt(0)
	v_add_f64 v[13:14], v[13:14], v[18:19]
	v_add_f64 v[15:16], v[15:16], v[20:21]
	ds_write_b128 v17, v[13:16]
.LBB567_25:
	s_or_b64 exec, exec, s[0:1]
	s_waitcnt lgkmcnt(0)
	s_barrier
	s_and_saveexec_b64 s[0:1], vcc
	s_cbranch_execz .LBB567_27
; %bb.26:
	ds_read_b128 v[13:16], v17 offset:3072
	ds_read_b128 v[18:21], v17
	s_waitcnt lgkmcnt(0)
	v_add_f64 v[13:14], v[13:14], v[18:19]
	v_add_f64 v[15:16], v[15:16], v[20:21]
	ds_write_b128 v17, v[13:16]
.LBB567_27:
	s_or_b64 exec, exec, s[0:1]
	s_movk_i32 s0, 0x60
	v_cmp_gt_u32_e32 vcc, s0, v0
	s_waitcnt lgkmcnt(0)
	s_barrier
	s_and_saveexec_b64 s[0:1], vcc
	s_cbranch_execz .LBB567_29
; %bb.28:
	ds_read_b128 v[13:16], v17 offset:1536
	ds_read_b128 v[18:21], v17
	s_waitcnt lgkmcnt(0)
	v_add_f64 v[13:14], v[13:14], v[18:19]
	v_add_f64 v[15:16], v[15:16], v[20:21]
	ds_write_b128 v17, v[13:16]
.LBB567_29:
	s_or_b64 exec, exec, s[0:1]
	v_cmp_gt_u32_e32 vcc, 48, v0
	s_waitcnt lgkmcnt(0)
	s_barrier
	s_and_saveexec_b64 s[0:1], vcc
	s_cbranch_execz .LBB567_31
; %bb.30:
	ds_read_b128 v[13:16], v17 offset:768
	ds_read_b128 v[18:21], v17
	s_waitcnt lgkmcnt(0)
	v_add_f64 v[13:14], v[13:14], v[18:19]
	v_add_f64 v[15:16], v[15:16], v[20:21]
	ds_write_b128 v17, v[13:16]
.LBB567_31:
	s_or_b64 exec, exec, s[0:1]
	v_cmp_gt_u32_e32 vcc, 24, v0
	s_waitcnt lgkmcnt(0)
	s_and_saveexec_b64 s[0:1], vcc
	s_cbranch_execz .LBB567_33
; %bb.32:
	ds_read_b128 v[9:12], v17 offset:384
	ds_read_b128 v[13:16], v17
	s_waitcnt lgkmcnt(0)
	v_add_f64 v[9:10], v[9:10], v[13:14]
	v_add_f64 v[11:12], v[11:12], v[15:16]
.LBB567_33:
	s_or_b64 exec, exec, s[0:1]
	v_mov_b32_e32 v16, v12
	v_mov_b32_e32 v14, v10
	;; [unrolled: 1-line block ×4, first 2 shown]
.LBB567_34:
	v_cmp_gt_u32_e32 vcc, 24, v0
	s_and_b64 exec, exec, vcc
	s_cbranch_execz .LBB567_39
; %bb.35:
	v_mul_f64 v[9:10], v[15:16], -v[7:8]
	v_mul_f64 v[11:12], v[5:6], v[15:16]
	v_cmp_eq_f64_e32 vcc, 0, v[1:2]
	v_cmp_eq_f64_e64 s[0:1], 0, v[3:4]
	s_mul_i32 s2, s7, 0x180
	s_mul_hi_u32 s3, s6, 0x180
	s_mul_i32 s4, s6, 0x180
	v_fma_f64 v[5:6], v[5:6], v[13:14], v[9:10]
	v_fma_f64 v[7:8], v[7:8], v[13:14], v[11:12]
	s_and_b64 s[0:1], vcc, s[0:1]
	s_and_saveexec_b64 s[6:7], s[0:1]
	s_xor_b64 s[0:1], exec, s[6:7]
	s_cbranch_execz .LBB567_37
; %bb.36:
	s_add_i32 s5, s3, s2
	s_add_u32 s6, s12, s4
	s_addc_u32 s7, s13, s5
	global_store_dwordx4 v17, v[5:8], s[6:7]
                                        ; implicit-def: $vgpr17
                                        ; implicit-def: $vgpr1_vgpr2
                                        ; implicit-def: $vgpr5_vgpr6
.LBB567_37:
	s_andn2_saveexec_b64 s[0:1], s[0:1]
	s_cbranch_execz .LBB567_39
; %bb.38:
	s_add_i32 s3, s3, s2
	s_add_u32 s0, s12, s4
	s_addc_u32 s1, s13, s3
	global_load_dwordx4 v[9:12], v17, s[0:1]
	s_waitcnt vmcnt(0)
	v_fma_f64 v[5:6], v[1:2], v[9:10], v[5:6]
	v_fma_f64 v[7:8], v[3:4], v[9:10], v[7:8]
	v_fma_f64 v[3:4], -v[3:4], v[11:12], v[5:6]
	v_fma_f64 v[5:6], v[1:2], v[11:12], v[7:8]
	global_store_dwordx4 v17, v[3:6], s[0:1]
.LBB567_39:
	s_endpgm
	.section	.rodata,"a",@progbits
	.p2align	6, 0x0
	.amdhsa_kernel _ZN9rocsparseL20bsrxmvn_17_32_kernelILj24E21rocsparse_complex_numIdEllS1_IfES2_S2_EEvT2_20rocsparse_direction_NS_24const_host_device_scalarIT0_EES4_PKS4_PKT1_SD_SA_PKT3_PKT4_S8_PT5_21rocsparse_index_base_b
		.amdhsa_group_segment_fixed_size 9216
		.amdhsa_private_segment_fixed_size 0
		.amdhsa_kernarg_size 120
		.amdhsa_user_sgpr_count 6
		.amdhsa_user_sgpr_private_segment_buffer 1
		.amdhsa_user_sgpr_dispatch_ptr 0
		.amdhsa_user_sgpr_queue_ptr 0
		.amdhsa_user_sgpr_kernarg_segment_ptr 1
		.amdhsa_user_sgpr_dispatch_id 0
		.amdhsa_user_sgpr_flat_scratch_init 0
		.amdhsa_user_sgpr_private_segment_size 0
		.amdhsa_uses_dynamic_stack 0
		.amdhsa_system_sgpr_private_segment_wavefront_offset 0
		.amdhsa_system_sgpr_workgroup_id_x 1
		.amdhsa_system_sgpr_workgroup_id_y 0
		.amdhsa_system_sgpr_workgroup_id_z 0
		.amdhsa_system_sgpr_workgroup_info 0
		.amdhsa_system_vgpr_workitem_id 0
		.amdhsa_next_free_vgpr 31
		.amdhsa_next_free_sgpr 61
		.amdhsa_reserve_vcc 1
		.amdhsa_reserve_flat_scratch 0
		.amdhsa_float_round_mode_32 0
		.amdhsa_float_round_mode_16_64 0
		.amdhsa_float_denorm_mode_32 3
		.amdhsa_float_denorm_mode_16_64 3
		.amdhsa_dx10_clamp 1
		.amdhsa_ieee_mode 1
		.amdhsa_fp16_overflow 0
		.amdhsa_exception_fp_ieee_invalid_op 0
		.amdhsa_exception_fp_denorm_src 0
		.amdhsa_exception_fp_ieee_div_zero 0
		.amdhsa_exception_fp_ieee_overflow 0
		.amdhsa_exception_fp_ieee_underflow 0
		.amdhsa_exception_fp_ieee_inexact 0
		.amdhsa_exception_int_div_zero 0
	.end_amdhsa_kernel
	.section	.text._ZN9rocsparseL20bsrxmvn_17_32_kernelILj24E21rocsparse_complex_numIdEllS1_IfES2_S2_EEvT2_20rocsparse_direction_NS_24const_host_device_scalarIT0_EES4_PKS4_PKT1_SD_SA_PKT3_PKT4_S8_PT5_21rocsparse_index_base_b,"axG",@progbits,_ZN9rocsparseL20bsrxmvn_17_32_kernelILj24E21rocsparse_complex_numIdEllS1_IfES2_S2_EEvT2_20rocsparse_direction_NS_24const_host_device_scalarIT0_EES4_PKS4_PKT1_SD_SA_PKT3_PKT4_S8_PT5_21rocsparse_index_base_b,comdat
.Lfunc_end567:
	.size	_ZN9rocsparseL20bsrxmvn_17_32_kernelILj24E21rocsparse_complex_numIdEllS1_IfES2_S2_EEvT2_20rocsparse_direction_NS_24const_host_device_scalarIT0_EES4_PKS4_PKT1_SD_SA_PKT3_PKT4_S8_PT5_21rocsparse_index_base_b, .Lfunc_end567-_ZN9rocsparseL20bsrxmvn_17_32_kernelILj24E21rocsparse_complex_numIdEllS1_IfES2_S2_EEvT2_20rocsparse_direction_NS_24const_host_device_scalarIT0_EES4_PKS4_PKT1_SD_SA_PKT3_PKT4_S8_PT5_21rocsparse_index_base_b
                                        ; -- End function
	.set _ZN9rocsparseL20bsrxmvn_17_32_kernelILj24E21rocsparse_complex_numIdEllS1_IfES2_S2_EEvT2_20rocsparse_direction_NS_24const_host_device_scalarIT0_EES4_PKS4_PKT1_SD_SA_PKT3_PKT4_S8_PT5_21rocsparse_index_base_b.num_vgpr, 31
	.set _ZN9rocsparseL20bsrxmvn_17_32_kernelILj24E21rocsparse_complex_numIdEllS1_IfES2_S2_EEvT2_20rocsparse_direction_NS_24const_host_device_scalarIT0_EES4_PKS4_PKT1_SD_SA_PKT3_PKT4_S8_PT5_21rocsparse_index_base_b.num_agpr, 0
	.set _ZN9rocsparseL20bsrxmvn_17_32_kernelILj24E21rocsparse_complex_numIdEllS1_IfES2_S2_EEvT2_20rocsparse_direction_NS_24const_host_device_scalarIT0_EES4_PKS4_PKT1_SD_SA_PKT3_PKT4_S8_PT5_21rocsparse_index_base_b.numbered_sgpr, 22
	.set _ZN9rocsparseL20bsrxmvn_17_32_kernelILj24E21rocsparse_complex_numIdEllS1_IfES2_S2_EEvT2_20rocsparse_direction_NS_24const_host_device_scalarIT0_EES4_PKS4_PKT1_SD_SA_PKT3_PKT4_S8_PT5_21rocsparse_index_base_b.num_named_barrier, 0
	.set _ZN9rocsparseL20bsrxmvn_17_32_kernelILj24E21rocsparse_complex_numIdEllS1_IfES2_S2_EEvT2_20rocsparse_direction_NS_24const_host_device_scalarIT0_EES4_PKS4_PKT1_SD_SA_PKT3_PKT4_S8_PT5_21rocsparse_index_base_b.private_seg_size, 0
	.set _ZN9rocsparseL20bsrxmvn_17_32_kernelILj24E21rocsparse_complex_numIdEllS1_IfES2_S2_EEvT2_20rocsparse_direction_NS_24const_host_device_scalarIT0_EES4_PKS4_PKT1_SD_SA_PKT3_PKT4_S8_PT5_21rocsparse_index_base_b.uses_vcc, 1
	.set _ZN9rocsparseL20bsrxmvn_17_32_kernelILj24E21rocsparse_complex_numIdEllS1_IfES2_S2_EEvT2_20rocsparse_direction_NS_24const_host_device_scalarIT0_EES4_PKS4_PKT1_SD_SA_PKT3_PKT4_S8_PT5_21rocsparse_index_base_b.uses_flat_scratch, 0
	.set _ZN9rocsparseL20bsrxmvn_17_32_kernelILj24E21rocsparse_complex_numIdEllS1_IfES2_S2_EEvT2_20rocsparse_direction_NS_24const_host_device_scalarIT0_EES4_PKS4_PKT1_SD_SA_PKT3_PKT4_S8_PT5_21rocsparse_index_base_b.has_dyn_sized_stack, 0
	.set _ZN9rocsparseL20bsrxmvn_17_32_kernelILj24E21rocsparse_complex_numIdEllS1_IfES2_S2_EEvT2_20rocsparse_direction_NS_24const_host_device_scalarIT0_EES4_PKS4_PKT1_SD_SA_PKT3_PKT4_S8_PT5_21rocsparse_index_base_b.has_recursion, 0
	.set _ZN9rocsparseL20bsrxmvn_17_32_kernelILj24E21rocsparse_complex_numIdEllS1_IfES2_S2_EEvT2_20rocsparse_direction_NS_24const_host_device_scalarIT0_EES4_PKS4_PKT1_SD_SA_PKT3_PKT4_S8_PT5_21rocsparse_index_base_b.has_indirect_call, 0
	.section	.AMDGPU.csdata,"",@progbits
; Kernel info:
; codeLenInByte = 1724
; TotalNumSgprs: 26
; NumVgprs: 31
; ScratchSize: 0
; MemoryBound: 0
; FloatMode: 240
; IeeeMode: 1
; LDSByteSize: 9216 bytes/workgroup (compile time only)
; SGPRBlocks: 8
; VGPRBlocks: 7
; NumSGPRsForWavesPerEU: 65
; NumVGPRsForWavesPerEU: 31
; Occupancy: 8
; WaveLimiterHint : 1
; COMPUTE_PGM_RSRC2:SCRATCH_EN: 0
; COMPUTE_PGM_RSRC2:USER_SGPR: 6
; COMPUTE_PGM_RSRC2:TRAP_HANDLER: 0
; COMPUTE_PGM_RSRC2:TGID_X_EN: 1
; COMPUTE_PGM_RSRC2:TGID_Y_EN: 0
; COMPUTE_PGM_RSRC2:TGID_Z_EN: 0
; COMPUTE_PGM_RSRC2:TIDIG_COMP_CNT: 0
	.section	.text._ZN9rocsparseL20bsrxmvn_17_32_kernelILj25E21rocsparse_complex_numIdEllS1_IfES2_S2_EEvT2_20rocsparse_direction_NS_24const_host_device_scalarIT0_EES4_PKS4_PKT1_SD_SA_PKT3_PKT4_S8_PT5_21rocsparse_index_base_b,"axG",@progbits,_ZN9rocsparseL20bsrxmvn_17_32_kernelILj25E21rocsparse_complex_numIdEllS1_IfES2_S2_EEvT2_20rocsparse_direction_NS_24const_host_device_scalarIT0_EES4_PKS4_PKT1_SD_SA_PKT3_PKT4_S8_PT5_21rocsparse_index_base_b,comdat
	.globl	_ZN9rocsparseL20bsrxmvn_17_32_kernelILj25E21rocsparse_complex_numIdEllS1_IfES2_S2_EEvT2_20rocsparse_direction_NS_24const_host_device_scalarIT0_EES4_PKS4_PKT1_SD_SA_PKT3_PKT4_S8_PT5_21rocsparse_index_base_b ; -- Begin function _ZN9rocsparseL20bsrxmvn_17_32_kernelILj25E21rocsparse_complex_numIdEllS1_IfES2_S2_EEvT2_20rocsparse_direction_NS_24const_host_device_scalarIT0_EES4_PKS4_PKT1_SD_SA_PKT3_PKT4_S8_PT5_21rocsparse_index_base_b
	.p2align	8
	.type	_ZN9rocsparseL20bsrxmvn_17_32_kernelILj25E21rocsparse_complex_numIdEllS1_IfES2_S2_EEvT2_20rocsparse_direction_NS_24const_host_device_scalarIT0_EES4_PKS4_PKT1_SD_SA_PKT3_PKT4_S8_PT5_21rocsparse_index_base_b,@function
_ZN9rocsparseL20bsrxmvn_17_32_kernelILj25E21rocsparse_complex_numIdEllS1_IfES2_S2_EEvT2_20rocsparse_direction_NS_24const_host_device_scalarIT0_EES4_PKS4_PKT1_SD_SA_PKT3_PKT4_S8_PT5_21rocsparse_index_base_b: ; @_ZN9rocsparseL20bsrxmvn_17_32_kernelILj25E21rocsparse_complex_numIdEllS1_IfES2_S2_EEvT2_20rocsparse_direction_NS_24const_host_device_scalarIT0_EES4_PKS4_PKT1_SD_SA_PKT3_PKT4_S8_PT5_21rocsparse_index_base_b
; %bb.0:
	s_load_dwordx2 s[0:1], s[4:5], 0x10
	s_load_dwordx2 s[14:15], s[4:5], 0x70
	s_add_u32 s7, s4, 16
	s_addc_u32 s8, s5, 0
	s_add_u32 s9, s4, 0x58
	s_addc_u32 s10, s5, 0
	s_waitcnt lgkmcnt(0)
	s_bitcmp1_b32 s15, 0
	s_cselect_b32 s1, s8, s1
	s_cselect_b32 s0, s7, s0
	v_mov_b32_e32 v1, s0
	v_mov_b32_e32 v2, s1
	flat_load_dwordx4 v[5:8], v[1:2]
	s_load_dwordx2 s[2:3], s[4:5], 0x58
	s_waitcnt lgkmcnt(0)
	s_cselect_b32 s0, s10, s3
	s_cselect_b32 s1, s9, s2
	v_mov_b32_e32 v1, s1
	v_mov_b32_e32 v2, s0
	flat_load_dwordx4 v[1:4], v[1:2]
	s_waitcnt vmcnt(0)
	v_cmp_eq_f64_e32 vcc, 0, v[5:6]
	v_cmp_eq_f64_e64 s[0:1], 0, v[7:8]
	s_and_b64 s[8:9], vcc, s[0:1]
	s_mov_b64 s[0:1], -1
	s_and_saveexec_b64 s[2:3], s[8:9]
	s_cbranch_execz .LBB568_2
; %bb.1:
	s_waitcnt lgkmcnt(0)
	v_cmp_neq_f64_e32 vcc, 1.0, v[1:2]
	v_cmp_neq_f64_e64 s[0:1], 0, v[3:4]
	s_or_b64 s[0:1], vcc, s[0:1]
	s_orn2_b64 s[0:1], s[0:1], exec
.LBB568_2:
	s_or_b64 exec, exec, s[2:3]
	s_and_saveexec_b64 s[2:3], s[0:1]
	s_cbranch_execz .LBB568_39
; %bb.3:
	s_load_dwordx4 s[0:3], s[4:5], 0x28
	s_load_dwordx2 s[8:9], s[4:5], 0x38
	s_mov_b32 s7, 0
	s_waitcnt lgkmcnt(0)
	s_cmp_eq_u64 s[0:1], 0
	s_cbranch_scc1 .LBB568_5
; %bb.4:
	s_lshl_b64 s[6:7], s[6:7], 3
	s_add_u32 s0, s0, s6
	s_addc_u32 s1, s1, s7
	s_load_dwordx2 s[0:1], s[0:1], 0x0
	s_waitcnt lgkmcnt(0)
	s_sub_u32 s6, s0, s14
	s_subb_u32 s7, s1, 0
.LBB568_5:
	s_load_dword s10, s[4:5], 0x8
	s_load_dwordx2 s[12:13], s[4:5], 0x68
	v_mul_u32_u24_e32 v14, 0xa3e, v0
	v_mov_b32_e32 v9, 25
	v_mul_lo_u16_sdwa v9, v14, v9 dst_sel:DWORD dst_unused:UNUSED_PAD src0_sel:WORD_1 src1_sel:DWORD
	s_waitcnt lgkmcnt(0)
	s_cmp_eq_u32 s10, 1
	s_cselect_b64 s[0:1], -1, 0
	s_cmp_lg_u32 s10, 1
	s_cselect_b64 s[16:17], -1, 0
	s_lshl_b64 s[10:11], s[6:7], 3
	s_add_u32 s20, s2, s10
	s_addc_u32 s21, s3, s11
	s_add_u32 s2, s20, 8
	s_addc_u32 s3, s21, 0
	;; [unrolled: 2-line block ×3, first 2 shown]
	s_cmp_eq_u64 s[8:9], 0
	s_cselect_b32 s9, s3, s11
	s_cselect_b32 s8, s2, s10
	s_load_dwordx2 s[2:3], s[8:9], 0x0
	s_load_dwordx2 s[18:19], s[20:21], 0x0
	v_sub_u16_e32 v21, v0, v9
	v_mov_b32_e32 v11, 0
	v_mov_b32_e32 v13, 0
	s_waitcnt lgkmcnt(0)
	v_mov_b32_e32 v10, s3
	v_mov_b32_e32 v9, s2
	v_cmp_ge_i64_e32 vcc, s[18:19], v[9:10]
	v_mov_b32_e32 v9, 0
	v_mov_b32_e32 v12, 0
	;; [unrolled: 1-line block ×3, first 2 shown]
	s_cbranch_vccnz .LBB568_10
; %bb.6:
	s_load_dwordx2 s[20:21], s[4:5], 0x50
	s_load_dwordx4 s[8:11], s[4:5], 0x40
	s_mov_b32 s4, 0xffff
	s_movk_i32 s5, 0x271
	v_and_b32_sdwa v9, s4, v14 dst_sel:DWORD dst_unused:UNUSED_PAD src0_sel:DWORD src1_sel:WORD_1
	s_sub_u32 s2, s2, s14
	v_subrev_u32_e32 v10, 25, v9
	v_cmp_gt_u32_e32 vcc, s5, v0
	s_subb_u32 s3, s3, 0
	v_cndmask_b32_e32 v9, v10, v9, vcc
	s_sub_u32 s4, s18, s14
	v_cndmask_b32_e64 v12, v21, v9, s[0:1]
	s_subb_u32 s5, s19, 0
	v_lshlrev_b64 v[9:10], 4, v[12:13]
	s_mul_i32 s0, s5, 0x1388
	s_mul_hi_u32 s1, s4, 0x1388
	s_add_i32 s1, s1, s0
	s_mul_i32 s0, s4, 0x1388
	s_waitcnt lgkmcnt(0)
	v_mov_b32_e32 v11, s21
	v_add_co_u32_e32 v13, vcc, s20, v9
	s_add_u32 s0, s10, s0
	v_addc_co_u32_e32 v14, vcc, v11, v10, vcc
	s_addc_u32 s1, s11, s1
	v_lshlrev_b32_e32 v9, 3, v0
	v_mov_b32_e32 v10, s1
	v_add_co_u32_e32 v15, vcc, s0, v9
	v_addc_co_u32_e32 v16, vcc, 0, v10, vcc
	s_movk_i32 s0, 0x270
	v_cmp_lt_u32_e32 vcc, s0, v0
	v_cndmask_b32_e64 v22, 0, 1, vcc
	v_mov_b32_e32 v9, s19
	v_add_co_u32_e32 v10, vcc, s18, v22
	v_addc_co_u32_e32 v11, vcc, 0, v9, vcc
	v_subrev_co_u32_e32 v9, vcc, s14, v10
	v_subbrev_co_u32_e32 v10, vcc, 0, v11, vcc
	v_lshlrev_b64 v[9:10], 3, v[9:10]
	v_mov_b32_e32 v11, s9
	v_add_co_u32_e32 v17, vcc, s8, v9
	v_addc_co_u32_e32 v18, vcc, v11, v10, vcc
	v_mov_b32_e32 v11, 0
	v_mov_b32_e32 v12, 0
	;; [unrolled: 1-line block ×4, first 2 shown]
	s_movk_i32 s8, 0x190
	v_mov_b32_e32 v19, s2
	v_mov_b32_e32 v10, v12
	s_branch .LBB568_8
.LBB568_7:                              ;   in Loop: Header=BB568_8 Depth=1
	s_or_b64 exec, exec, s[0:1]
	s_add_u32 s4, s4, 1
	s_addc_u32 s5, s5, 0
	v_cmp_lt_i64_e32 vcc, s[4:5], v[19:20]
	v_add_co_u32_e64 v17, s[0:1], 8, v17
	v_addc_co_u32_e64 v18, s[0:1], 0, v18, s[0:1]
	s_cbranch_vccz .LBB568_10
.LBB568_8:                              ; =>This Inner Loop Header: Depth=1
	v_mov_b32_e32 v24, s5
	v_add_co_u32_e32 v23, vcc, s4, v22
	v_addc_co_u32_e32 v24, vcc, 0, v24, vcc
	v_cmp_gt_i64_e32 vcc, s[2:3], v[23:24]
	s_and_saveexec_b64 s[0:1], vcc
	s_cbranch_execz .LBB568_7
; %bb.9:                                ;   in Loop: Header=BB568_8 Depth=1
	global_load_dwordx2 v[23:24], v[17:18], off
	s_waitcnt vmcnt(0)
	v_subrev_co_u32_e32 v23, vcc, s14, v23
	v_subbrev_co_u32_e32 v25, vcc, 0, v24, vcc
	v_mad_u64_u32 v[23:24], s[10:11], v23, s8, v[13:14]
	v_mad_u64_u32 v[24:25], s[10:11], v25, s8, v[24:25]
	global_load_dwordx2 v[27:28], v[15:16], off
	s_nop 0
	global_load_dwordx4 v[23:26], v[23:24], off
	v_add_co_u32_e32 v15, vcc, 0x1388, v15
	v_addc_co_u32_e32 v16, vcc, 0, v16, vcc
	s_waitcnt vmcnt(1)
	v_cvt_f64_f32_e32 v[29:30], v27
	v_cvt_f64_f32_e32 v[27:28], v28
	s_waitcnt vmcnt(0)
	v_fma_f64 v[9:10], v[29:30], v[23:24], v[9:10]
	v_fma_f64 v[11:12], v[27:28], v[23:24], v[11:12]
	v_fma_f64 v[9:10], -v[27:28], v[25:26], v[9:10]
	v_fma_f64 v[11:12], v[29:30], v[25:26], v[11:12]
	s_branch .LBB568_7
.LBB568_10:
	v_lshlrev_b32_e32 v17, 4, v0
	s_and_b64 vcc, exec, s[16:17]
	ds_write_b128 v17, v[9:12]
	s_waitcnt lgkmcnt(0)
	s_barrier
	s_cbranch_vccz .LBB568_22
; %bb.11:
	v_cmp_gt_u16_e32 vcc, 9, v21
	s_and_saveexec_b64 s[0:1], vcc
	s_cbranch_execz .LBB568_13
; %bb.12:
	ds_read_b128 v[13:16], v17 offset:256
	ds_read_b128 v[22:25], v17
	s_waitcnt lgkmcnt(0)
	v_add_f64 v[13:14], v[13:14], v[22:23]
	v_add_f64 v[15:16], v[15:16], v[24:25]
	ds_write_b128 v17, v[13:16]
.LBB568_13:
	s_or_b64 exec, exec, s[0:1]
	v_cmp_gt_u16_e32 vcc, 8, v21
	s_waitcnt lgkmcnt(0)
	s_barrier
	s_and_saveexec_b64 s[0:1], vcc
	s_cbranch_execz .LBB568_15
; %bb.14:
	ds_read_b128 v[13:16], v17 offset:128
	ds_read_b128 v[22:25], v17
	s_waitcnt lgkmcnt(0)
	v_add_f64 v[13:14], v[13:14], v[22:23]
	v_add_f64 v[15:16], v[15:16], v[24:25]
	ds_write_b128 v17, v[13:16]
.LBB568_15:
	s_or_b64 exec, exec, s[0:1]
	v_cmp_gt_u16_e32 vcc, 4, v21
	s_waitcnt lgkmcnt(0)
	s_barrier
	;; [unrolled: 14-line block ×3, first 2 shown]
	s_and_saveexec_b64 s[0:1], vcc
	s_cbranch_execz .LBB568_19
; %bb.18:
	ds_read_b128 v[13:16], v17
	ds_read_b128 v[18:21], v17 offset:32
	s_waitcnt lgkmcnt(0)
	v_add_f64 v[13:14], v[18:19], v[13:14]
	v_add_f64 v[15:16], v[20:21], v[15:16]
	ds_write_b128 v17, v[13:16]
.LBB568_19:
	s_or_b64 exec, exec, s[0:1]
	v_mov_b32_e32 v16, v12
	v_mov_b32_e32 v14, v10
	v_cmp_gt_u32_e32 vcc, 25, v0
	v_mov_b32_e32 v15, v11
	v_mov_b32_e32 v13, v9
	s_waitcnt lgkmcnt(0)
	s_barrier
	s_and_saveexec_b64 s[0:1], vcc
	s_cbranch_execz .LBB568_21
; %bb.20:
	s_movk_i32 s2, 0x180
	v_mad_u32_u24 v18, v0, s2, v17
	ds_read_b128 v[13:16], v18
	ds_read_b128 v[18:21], v18 offset:16
	s_waitcnt lgkmcnt(0)
	v_add_f64 v[13:14], v[18:19], v[13:14]
	v_add_f64 v[15:16], v[20:21], v[15:16]
.LBB568_21:
	s_or_b64 exec, exec, s[0:1]
	s_branch .LBB568_34
.LBB568_22:
                                        ; implicit-def: $vgpr15_vgpr16
                                        ; implicit-def: $vgpr13_vgpr14
	s_cbranch_execz .LBB568_34
; %bb.23:
	s_movk_i32 s0, 0xe1
	v_cmp_gt_u32_e32 vcc, s0, v0
	s_and_saveexec_b64 s[0:1], vcc
	s_cbranch_execz .LBB568_25
; %bb.24:
	ds_read_b128 v[13:16], v17 offset:6400
	ds_read_b128 v[18:21], v17
	s_waitcnt lgkmcnt(0)
	v_add_f64 v[13:14], v[13:14], v[18:19]
	v_add_f64 v[15:16], v[15:16], v[20:21]
	ds_write_b128 v17, v[13:16]
.LBB568_25:
	s_or_b64 exec, exec, s[0:1]
	s_movk_i32 s0, 0xc8
	v_cmp_gt_u32_e32 vcc, s0, v0
	s_waitcnt lgkmcnt(0)
	s_barrier
	s_and_saveexec_b64 s[0:1], vcc
	s_cbranch_execz .LBB568_27
; %bb.26:
	ds_read_b128 v[13:16], v17 offset:3200
	ds_read_b128 v[18:21], v17
	s_waitcnt lgkmcnt(0)
	v_add_f64 v[13:14], v[13:14], v[18:19]
	v_add_f64 v[15:16], v[15:16], v[20:21]
	ds_write_b128 v17, v[13:16]
.LBB568_27:
	s_or_b64 exec, exec, s[0:1]
	s_movk_i32 s0, 0x64
	v_cmp_gt_u32_e32 vcc, s0, v0
	s_waitcnt lgkmcnt(0)
	s_barrier
	s_and_saveexec_b64 s[0:1], vcc
	s_cbranch_execz .LBB568_29
; %bb.28:
	ds_read_b128 v[13:16], v17 offset:1600
	ds_read_b128 v[18:21], v17
	s_waitcnt lgkmcnt(0)
	v_add_f64 v[13:14], v[13:14], v[18:19]
	v_add_f64 v[15:16], v[15:16], v[20:21]
	ds_write_b128 v17, v[13:16]
.LBB568_29:
	s_or_b64 exec, exec, s[0:1]
	v_cmp_gt_u32_e32 vcc, 50, v0
	s_waitcnt lgkmcnt(0)
	s_barrier
	s_and_saveexec_b64 s[0:1], vcc
	s_cbranch_execz .LBB568_31
; %bb.30:
	ds_read_b128 v[13:16], v17 offset:800
	ds_read_b128 v[18:21], v17
	s_waitcnt lgkmcnt(0)
	v_add_f64 v[13:14], v[13:14], v[18:19]
	v_add_f64 v[15:16], v[15:16], v[20:21]
	ds_write_b128 v17, v[13:16]
.LBB568_31:
	s_or_b64 exec, exec, s[0:1]
	v_cmp_gt_u32_e32 vcc, 25, v0
	s_waitcnt lgkmcnt(0)
	s_and_saveexec_b64 s[0:1], vcc
	s_cbranch_execz .LBB568_33
; %bb.32:
	ds_read_b128 v[9:12], v17 offset:400
	ds_read_b128 v[13:16], v17
	s_waitcnt lgkmcnt(0)
	v_add_f64 v[9:10], v[9:10], v[13:14]
	v_add_f64 v[11:12], v[11:12], v[15:16]
.LBB568_33:
	s_or_b64 exec, exec, s[0:1]
	v_mov_b32_e32 v16, v12
	v_mov_b32_e32 v14, v10
	;; [unrolled: 1-line block ×4, first 2 shown]
.LBB568_34:
	v_cmp_gt_u32_e32 vcc, 25, v0
	s_and_b64 exec, exec, vcc
	s_cbranch_execz .LBB568_39
; %bb.35:
	v_mul_f64 v[9:10], v[15:16], -v[7:8]
	v_mul_f64 v[11:12], v[5:6], v[15:16]
	v_cmp_eq_f64_e32 vcc, 0, v[1:2]
	v_cmp_eq_f64_e64 s[0:1], 0, v[3:4]
	s_mul_i32 s2, s7, 0x190
	s_mul_hi_u32 s3, s6, 0x190
	s_mul_i32 s4, s6, 0x190
	v_fma_f64 v[5:6], v[5:6], v[13:14], v[9:10]
	v_fma_f64 v[7:8], v[7:8], v[13:14], v[11:12]
	s_and_b64 s[0:1], vcc, s[0:1]
	s_and_saveexec_b64 s[6:7], s[0:1]
	s_xor_b64 s[0:1], exec, s[6:7]
	s_cbranch_execz .LBB568_37
; %bb.36:
	s_add_i32 s5, s3, s2
	s_add_u32 s6, s12, s4
	s_addc_u32 s7, s13, s5
	global_store_dwordx4 v17, v[5:8], s[6:7]
                                        ; implicit-def: $vgpr17
                                        ; implicit-def: $vgpr1_vgpr2
                                        ; implicit-def: $vgpr5_vgpr6
.LBB568_37:
	s_andn2_saveexec_b64 s[0:1], s[0:1]
	s_cbranch_execz .LBB568_39
; %bb.38:
	s_add_i32 s3, s3, s2
	s_add_u32 s0, s12, s4
	s_addc_u32 s1, s13, s3
	global_load_dwordx4 v[9:12], v17, s[0:1]
	s_waitcnt vmcnt(0)
	v_fma_f64 v[5:6], v[1:2], v[9:10], v[5:6]
	v_fma_f64 v[7:8], v[3:4], v[9:10], v[7:8]
	v_fma_f64 v[3:4], -v[3:4], v[11:12], v[5:6]
	v_fma_f64 v[5:6], v[1:2], v[11:12], v[7:8]
	global_store_dwordx4 v17, v[3:6], s[0:1]
.LBB568_39:
	s_endpgm
	.section	.rodata,"a",@progbits
	.p2align	6, 0x0
	.amdhsa_kernel _ZN9rocsparseL20bsrxmvn_17_32_kernelILj25E21rocsparse_complex_numIdEllS1_IfES2_S2_EEvT2_20rocsparse_direction_NS_24const_host_device_scalarIT0_EES4_PKS4_PKT1_SD_SA_PKT3_PKT4_S8_PT5_21rocsparse_index_base_b
		.amdhsa_group_segment_fixed_size 10000
		.amdhsa_private_segment_fixed_size 0
		.amdhsa_kernarg_size 120
		.amdhsa_user_sgpr_count 6
		.amdhsa_user_sgpr_private_segment_buffer 1
		.amdhsa_user_sgpr_dispatch_ptr 0
		.amdhsa_user_sgpr_queue_ptr 0
		.amdhsa_user_sgpr_kernarg_segment_ptr 1
		.amdhsa_user_sgpr_dispatch_id 0
		.amdhsa_user_sgpr_flat_scratch_init 0
		.amdhsa_user_sgpr_private_segment_size 0
		.amdhsa_uses_dynamic_stack 0
		.amdhsa_system_sgpr_private_segment_wavefront_offset 0
		.amdhsa_system_sgpr_workgroup_id_x 1
		.amdhsa_system_sgpr_workgroup_id_y 0
		.amdhsa_system_sgpr_workgroup_id_z 0
		.amdhsa_system_sgpr_workgroup_info 0
		.amdhsa_system_vgpr_workitem_id 0
		.amdhsa_next_free_vgpr 31
		.amdhsa_next_free_sgpr 22
		.amdhsa_reserve_vcc 1
		.amdhsa_reserve_flat_scratch 0
		.amdhsa_float_round_mode_32 0
		.amdhsa_float_round_mode_16_64 0
		.amdhsa_float_denorm_mode_32 3
		.amdhsa_float_denorm_mode_16_64 3
		.amdhsa_dx10_clamp 1
		.amdhsa_ieee_mode 1
		.amdhsa_fp16_overflow 0
		.amdhsa_exception_fp_ieee_invalid_op 0
		.amdhsa_exception_fp_denorm_src 0
		.amdhsa_exception_fp_ieee_div_zero 0
		.amdhsa_exception_fp_ieee_overflow 0
		.amdhsa_exception_fp_ieee_underflow 0
		.amdhsa_exception_fp_ieee_inexact 0
		.amdhsa_exception_int_div_zero 0
	.end_amdhsa_kernel
	.section	.text._ZN9rocsparseL20bsrxmvn_17_32_kernelILj25E21rocsparse_complex_numIdEllS1_IfES2_S2_EEvT2_20rocsparse_direction_NS_24const_host_device_scalarIT0_EES4_PKS4_PKT1_SD_SA_PKT3_PKT4_S8_PT5_21rocsparse_index_base_b,"axG",@progbits,_ZN9rocsparseL20bsrxmvn_17_32_kernelILj25E21rocsparse_complex_numIdEllS1_IfES2_S2_EEvT2_20rocsparse_direction_NS_24const_host_device_scalarIT0_EES4_PKS4_PKT1_SD_SA_PKT3_PKT4_S8_PT5_21rocsparse_index_base_b,comdat
.Lfunc_end568:
	.size	_ZN9rocsparseL20bsrxmvn_17_32_kernelILj25E21rocsparse_complex_numIdEllS1_IfES2_S2_EEvT2_20rocsparse_direction_NS_24const_host_device_scalarIT0_EES4_PKS4_PKT1_SD_SA_PKT3_PKT4_S8_PT5_21rocsparse_index_base_b, .Lfunc_end568-_ZN9rocsparseL20bsrxmvn_17_32_kernelILj25E21rocsparse_complex_numIdEllS1_IfES2_S2_EEvT2_20rocsparse_direction_NS_24const_host_device_scalarIT0_EES4_PKS4_PKT1_SD_SA_PKT3_PKT4_S8_PT5_21rocsparse_index_base_b
                                        ; -- End function
	.set _ZN9rocsparseL20bsrxmvn_17_32_kernelILj25E21rocsparse_complex_numIdEllS1_IfES2_S2_EEvT2_20rocsparse_direction_NS_24const_host_device_scalarIT0_EES4_PKS4_PKT1_SD_SA_PKT3_PKT4_S8_PT5_21rocsparse_index_base_b.num_vgpr, 31
	.set _ZN9rocsparseL20bsrxmvn_17_32_kernelILj25E21rocsparse_complex_numIdEllS1_IfES2_S2_EEvT2_20rocsparse_direction_NS_24const_host_device_scalarIT0_EES4_PKS4_PKT1_SD_SA_PKT3_PKT4_S8_PT5_21rocsparse_index_base_b.num_agpr, 0
	.set _ZN9rocsparseL20bsrxmvn_17_32_kernelILj25E21rocsparse_complex_numIdEllS1_IfES2_S2_EEvT2_20rocsparse_direction_NS_24const_host_device_scalarIT0_EES4_PKS4_PKT1_SD_SA_PKT3_PKT4_S8_PT5_21rocsparse_index_base_b.numbered_sgpr, 22
	.set _ZN9rocsparseL20bsrxmvn_17_32_kernelILj25E21rocsparse_complex_numIdEllS1_IfES2_S2_EEvT2_20rocsparse_direction_NS_24const_host_device_scalarIT0_EES4_PKS4_PKT1_SD_SA_PKT3_PKT4_S8_PT5_21rocsparse_index_base_b.num_named_barrier, 0
	.set _ZN9rocsparseL20bsrxmvn_17_32_kernelILj25E21rocsparse_complex_numIdEllS1_IfES2_S2_EEvT2_20rocsparse_direction_NS_24const_host_device_scalarIT0_EES4_PKS4_PKT1_SD_SA_PKT3_PKT4_S8_PT5_21rocsparse_index_base_b.private_seg_size, 0
	.set _ZN9rocsparseL20bsrxmvn_17_32_kernelILj25E21rocsparse_complex_numIdEllS1_IfES2_S2_EEvT2_20rocsparse_direction_NS_24const_host_device_scalarIT0_EES4_PKS4_PKT1_SD_SA_PKT3_PKT4_S8_PT5_21rocsparse_index_base_b.uses_vcc, 1
	.set _ZN9rocsparseL20bsrxmvn_17_32_kernelILj25E21rocsparse_complex_numIdEllS1_IfES2_S2_EEvT2_20rocsparse_direction_NS_24const_host_device_scalarIT0_EES4_PKS4_PKT1_SD_SA_PKT3_PKT4_S8_PT5_21rocsparse_index_base_b.uses_flat_scratch, 0
	.set _ZN9rocsparseL20bsrxmvn_17_32_kernelILj25E21rocsparse_complex_numIdEllS1_IfES2_S2_EEvT2_20rocsparse_direction_NS_24const_host_device_scalarIT0_EES4_PKS4_PKT1_SD_SA_PKT3_PKT4_S8_PT5_21rocsparse_index_base_b.has_dyn_sized_stack, 0
	.set _ZN9rocsparseL20bsrxmvn_17_32_kernelILj25E21rocsparse_complex_numIdEllS1_IfES2_S2_EEvT2_20rocsparse_direction_NS_24const_host_device_scalarIT0_EES4_PKS4_PKT1_SD_SA_PKT3_PKT4_S8_PT5_21rocsparse_index_base_b.has_recursion, 0
	.set _ZN9rocsparseL20bsrxmvn_17_32_kernelILj25E21rocsparse_complex_numIdEllS1_IfES2_S2_EEvT2_20rocsparse_direction_NS_24const_host_device_scalarIT0_EES4_PKS4_PKT1_SD_SA_PKT3_PKT4_S8_PT5_21rocsparse_index_base_b.has_indirect_call, 0
	.section	.AMDGPU.csdata,"",@progbits
; Kernel info:
; codeLenInByte = 1736
; TotalNumSgprs: 26
; NumVgprs: 31
; ScratchSize: 0
; MemoryBound: 0
; FloatMode: 240
; IeeeMode: 1
; LDSByteSize: 10000 bytes/workgroup (compile time only)
; SGPRBlocks: 3
; VGPRBlocks: 7
; NumSGPRsForWavesPerEU: 26
; NumVGPRsForWavesPerEU: 31
; Occupancy: 8
; WaveLimiterHint : 1
; COMPUTE_PGM_RSRC2:SCRATCH_EN: 0
; COMPUTE_PGM_RSRC2:USER_SGPR: 6
; COMPUTE_PGM_RSRC2:TRAP_HANDLER: 0
; COMPUTE_PGM_RSRC2:TGID_X_EN: 1
; COMPUTE_PGM_RSRC2:TGID_Y_EN: 0
; COMPUTE_PGM_RSRC2:TGID_Z_EN: 0
; COMPUTE_PGM_RSRC2:TIDIG_COMP_CNT: 0
	.section	.text._ZN9rocsparseL20bsrxmvn_17_32_kernelILj26E21rocsparse_complex_numIdEllS1_IfES2_S2_EEvT2_20rocsparse_direction_NS_24const_host_device_scalarIT0_EES4_PKS4_PKT1_SD_SA_PKT3_PKT4_S8_PT5_21rocsparse_index_base_b,"axG",@progbits,_ZN9rocsparseL20bsrxmvn_17_32_kernelILj26E21rocsparse_complex_numIdEllS1_IfES2_S2_EEvT2_20rocsparse_direction_NS_24const_host_device_scalarIT0_EES4_PKS4_PKT1_SD_SA_PKT3_PKT4_S8_PT5_21rocsparse_index_base_b,comdat
	.globl	_ZN9rocsparseL20bsrxmvn_17_32_kernelILj26E21rocsparse_complex_numIdEllS1_IfES2_S2_EEvT2_20rocsparse_direction_NS_24const_host_device_scalarIT0_EES4_PKS4_PKT1_SD_SA_PKT3_PKT4_S8_PT5_21rocsparse_index_base_b ; -- Begin function _ZN9rocsparseL20bsrxmvn_17_32_kernelILj26E21rocsparse_complex_numIdEllS1_IfES2_S2_EEvT2_20rocsparse_direction_NS_24const_host_device_scalarIT0_EES4_PKS4_PKT1_SD_SA_PKT3_PKT4_S8_PT5_21rocsparse_index_base_b
	.p2align	8
	.type	_ZN9rocsparseL20bsrxmvn_17_32_kernelILj26E21rocsparse_complex_numIdEllS1_IfES2_S2_EEvT2_20rocsparse_direction_NS_24const_host_device_scalarIT0_EES4_PKS4_PKT1_SD_SA_PKT3_PKT4_S8_PT5_21rocsparse_index_base_b,@function
_ZN9rocsparseL20bsrxmvn_17_32_kernelILj26E21rocsparse_complex_numIdEllS1_IfES2_S2_EEvT2_20rocsparse_direction_NS_24const_host_device_scalarIT0_EES4_PKS4_PKT1_SD_SA_PKT3_PKT4_S8_PT5_21rocsparse_index_base_b: ; @_ZN9rocsparseL20bsrxmvn_17_32_kernelILj26E21rocsparse_complex_numIdEllS1_IfES2_S2_EEvT2_20rocsparse_direction_NS_24const_host_device_scalarIT0_EES4_PKS4_PKT1_SD_SA_PKT3_PKT4_S8_PT5_21rocsparse_index_base_b
; %bb.0:
	s_load_dwordx2 s[0:1], s[4:5], 0x10
	s_load_dwordx2 s[14:15], s[4:5], 0x70
	s_add_u32 s7, s4, 16
	s_addc_u32 s8, s5, 0
	s_add_u32 s9, s4, 0x58
	s_addc_u32 s10, s5, 0
	s_waitcnt lgkmcnt(0)
	s_bitcmp1_b32 s15, 0
	s_cselect_b32 s1, s8, s1
	s_cselect_b32 s0, s7, s0
	v_mov_b32_e32 v1, s0
	v_mov_b32_e32 v2, s1
	flat_load_dwordx4 v[5:8], v[1:2]
	s_load_dwordx2 s[2:3], s[4:5], 0x58
	s_waitcnt lgkmcnt(0)
	s_cselect_b32 s0, s10, s3
	s_cselect_b32 s1, s9, s2
	v_mov_b32_e32 v1, s1
	v_mov_b32_e32 v2, s0
	flat_load_dwordx4 v[1:4], v[1:2]
	s_waitcnt vmcnt(0)
	v_cmp_eq_f64_e32 vcc, 0, v[5:6]
	v_cmp_eq_f64_e64 s[0:1], 0, v[7:8]
	s_and_b64 s[8:9], vcc, s[0:1]
	s_mov_b64 s[0:1], -1
	s_and_saveexec_b64 s[2:3], s[8:9]
	s_cbranch_execz .LBB569_2
; %bb.1:
	s_waitcnt lgkmcnt(0)
	v_cmp_neq_f64_e32 vcc, 1.0, v[1:2]
	v_cmp_neq_f64_e64 s[0:1], 0, v[3:4]
	s_or_b64 s[0:1], vcc, s[0:1]
	s_orn2_b64 s[0:1], s[0:1], exec
.LBB569_2:
	s_or_b64 exec, exec, s[2:3]
	s_and_saveexec_b64 s[2:3], s[0:1]
	s_cbranch_execz .LBB569_39
; %bb.3:
	s_load_dwordx4 s[0:3], s[4:5], 0x28
	s_load_dwordx2 s[8:9], s[4:5], 0x38
	s_mov_b32 s7, 0
	s_waitcnt lgkmcnt(0)
	s_cmp_eq_u64 s[0:1], 0
	s_cbranch_scc1 .LBB569_5
; %bb.4:
	s_lshl_b64 s[6:7], s[6:7], 3
	s_add_u32 s0, s0, s6
	s_addc_u32 s1, s1, s7
	s_load_dwordx2 s[0:1], s[0:1], 0x0
	s_waitcnt lgkmcnt(0)
	s_sub_u32 s6, s0, s14
	s_subb_u32 s7, s1, 0
.LBB569_5:
	s_load_dword s10, s[4:5], 0x8
	s_load_dwordx2 s[12:13], s[4:5], 0x68
	v_mul_u32_u24_e32 v14, 0x9d9, v0
	v_mov_b32_e32 v9, 26
	v_mul_lo_u16_sdwa v9, v14, v9 dst_sel:DWORD dst_unused:UNUSED_PAD src0_sel:WORD_1 src1_sel:DWORD
	s_waitcnt lgkmcnt(0)
	s_cmp_eq_u32 s10, 1
	s_cselect_b64 s[0:1], -1, 0
	s_cmp_lg_u32 s10, 1
	s_cselect_b64 s[16:17], -1, 0
	s_lshl_b64 s[10:11], s[6:7], 3
	s_add_u32 s20, s2, s10
	s_addc_u32 s21, s3, s11
	s_add_u32 s2, s20, 8
	s_addc_u32 s3, s21, 0
	;; [unrolled: 2-line block ×3, first 2 shown]
	s_cmp_eq_u64 s[8:9], 0
	s_cselect_b32 s9, s3, s11
	s_cselect_b32 s8, s2, s10
	s_load_dwordx2 s[2:3], s[8:9], 0x0
	s_load_dwordx2 s[18:19], s[20:21], 0x0
	v_sub_u16_e32 v21, v0, v9
	v_mov_b32_e32 v11, 0
	v_mov_b32_e32 v13, 0
	s_waitcnt lgkmcnt(0)
	v_mov_b32_e32 v10, s3
	v_mov_b32_e32 v9, s2
	v_cmp_ge_i64_e32 vcc, s[18:19], v[9:10]
	v_mov_b32_e32 v9, 0
	v_mov_b32_e32 v12, 0
	;; [unrolled: 1-line block ×3, first 2 shown]
	s_cbranch_vccnz .LBB569_10
; %bb.6:
	s_load_dwordx2 s[20:21], s[4:5], 0x50
	s_load_dwordx4 s[8:11], s[4:5], 0x40
	s_mov_b32 s4, 0xffff
	s_movk_i32 s5, 0x2a4
	v_and_b32_sdwa v9, s4, v14 dst_sel:DWORD dst_unused:UNUSED_PAD src0_sel:DWORD src1_sel:WORD_1
	s_sub_u32 s2, s2, s14
	v_subrev_u32_e32 v10, 26, v9
	v_cmp_gt_u32_e32 vcc, s5, v0
	s_subb_u32 s3, s3, 0
	v_cndmask_b32_e32 v9, v10, v9, vcc
	s_sub_u32 s4, s18, s14
	v_cndmask_b32_e64 v12, v21, v9, s[0:1]
	s_subb_u32 s5, s19, 0
	v_lshlrev_b64 v[9:10], 4, v[12:13]
	s_mul_i32 s0, s5, 0x1520
	s_mul_hi_u32 s1, s4, 0x1520
	s_add_i32 s1, s1, s0
	s_mul_i32 s0, s4, 0x1520
	s_waitcnt lgkmcnt(0)
	v_mov_b32_e32 v11, s21
	v_add_co_u32_e32 v13, vcc, s20, v9
	s_add_u32 s0, s10, s0
	v_addc_co_u32_e32 v14, vcc, v11, v10, vcc
	s_addc_u32 s1, s11, s1
	v_lshlrev_b32_e32 v9, 3, v0
	v_mov_b32_e32 v10, s1
	v_add_co_u32_e32 v15, vcc, s0, v9
	v_addc_co_u32_e32 v16, vcc, 0, v10, vcc
	s_movk_i32 s0, 0x2a3
	v_cmp_lt_u32_e32 vcc, s0, v0
	v_cndmask_b32_e64 v22, 0, 1, vcc
	v_mov_b32_e32 v9, s19
	v_add_co_u32_e32 v10, vcc, s18, v22
	v_addc_co_u32_e32 v11, vcc, 0, v9, vcc
	v_subrev_co_u32_e32 v9, vcc, s14, v10
	v_subbrev_co_u32_e32 v10, vcc, 0, v11, vcc
	v_lshlrev_b64 v[9:10], 3, v[9:10]
	v_mov_b32_e32 v11, s9
	v_add_co_u32_e32 v17, vcc, s8, v9
	v_addc_co_u32_e32 v18, vcc, v11, v10, vcc
	v_mov_b32_e32 v11, 0
	v_mov_b32_e32 v12, 0
	;; [unrolled: 1-line block ×4, first 2 shown]
	s_movk_i32 s8, 0x1a0
	v_mov_b32_e32 v19, s2
	v_mov_b32_e32 v10, v12
	s_branch .LBB569_8
.LBB569_7:                              ;   in Loop: Header=BB569_8 Depth=1
	s_or_b64 exec, exec, s[0:1]
	s_add_u32 s4, s4, 1
	s_addc_u32 s5, s5, 0
	v_cmp_lt_i64_e32 vcc, s[4:5], v[19:20]
	v_add_co_u32_e64 v17, s[0:1], 8, v17
	v_addc_co_u32_e64 v18, s[0:1], 0, v18, s[0:1]
	s_cbranch_vccz .LBB569_10
.LBB569_8:                              ; =>This Inner Loop Header: Depth=1
	v_mov_b32_e32 v24, s5
	v_add_co_u32_e32 v23, vcc, s4, v22
	v_addc_co_u32_e32 v24, vcc, 0, v24, vcc
	v_cmp_gt_i64_e32 vcc, s[2:3], v[23:24]
	s_and_saveexec_b64 s[0:1], vcc
	s_cbranch_execz .LBB569_7
; %bb.9:                                ;   in Loop: Header=BB569_8 Depth=1
	global_load_dwordx2 v[23:24], v[17:18], off
	s_waitcnt vmcnt(0)
	v_subrev_co_u32_e32 v23, vcc, s14, v23
	v_subbrev_co_u32_e32 v25, vcc, 0, v24, vcc
	v_mad_u64_u32 v[23:24], s[10:11], v23, s8, v[13:14]
	v_mad_u64_u32 v[24:25], s[10:11], v25, s8, v[24:25]
	global_load_dwordx2 v[27:28], v[15:16], off
	s_nop 0
	global_load_dwordx4 v[23:26], v[23:24], off
	v_add_co_u32_e32 v15, vcc, 0x1520, v15
	v_addc_co_u32_e32 v16, vcc, 0, v16, vcc
	s_waitcnt vmcnt(1)
	v_cvt_f64_f32_e32 v[29:30], v27
	v_cvt_f64_f32_e32 v[27:28], v28
	s_waitcnt vmcnt(0)
	v_fma_f64 v[9:10], v[29:30], v[23:24], v[9:10]
	v_fma_f64 v[11:12], v[27:28], v[23:24], v[11:12]
	v_fma_f64 v[9:10], -v[27:28], v[25:26], v[9:10]
	v_fma_f64 v[11:12], v[29:30], v[25:26], v[11:12]
	s_branch .LBB569_7
.LBB569_10:
	v_lshlrev_b32_e32 v17, 4, v0
	s_and_b64 vcc, exec, s[16:17]
	ds_write_b128 v17, v[9:12]
	s_waitcnt lgkmcnt(0)
	s_barrier
	s_cbranch_vccz .LBB569_22
; %bb.11:
	v_cmp_gt_u16_e32 vcc, 10, v21
	s_and_saveexec_b64 s[0:1], vcc
	s_cbranch_execz .LBB569_13
; %bb.12:
	ds_read_b128 v[13:16], v17 offset:256
	ds_read_b128 v[22:25], v17
	s_waitcnt lgkmcnt(0)
	v_add_f64 v[13:14], v[13:14], v[22:23]
	v_add_f64 v[15:16], v[15:16], v[24:25]
	ds_write_b128 v17, v[13:16]
.LBB569_13:
	s_or_b64 exec, exec, s[0:1]
	v_cmp_gt_u16_e32 vcc, 8, v21
	s_waitcnt lgkmcnt(0)
	s_barrier
	s_and_saveexec_b64 s[0:1], vcc
	s_cbranch_execz .LBB569_15
; %bb.14:
	ds_read_b128 v[13:16], v17 offset:128
	ds_read_b128 v[22:25], v17
	s_waitcnt lgkmcnt(0)
	v_add_f64 v[13:14], v[13:14], v[22:23]
	v_add_f64 v[15:16], v[15:16], v[24:25]
	ds_write_b128 v17, v[13:16]
.LBB569_15:
	s_or_b64 exec, exec, s[0:1]
	v_cmp_gt_u16_e32 vcc, 4, v21
	s_waitcnt lgkmcnt(0)
	s_barrier
	;; [unrolled: 14-line block ×3, first 2 shown]
	s_and_saveexec_b64 s[0:1], vcc
	s_cbranch_execz .LBB569_19
; %bb.18:
	ds_read_b128 v[13:16], v17
	ds_read_b128 v[18:21], v17 offset:32
	s_waitcnt lgkmcnt(0)
	v_add_f64 v[13:14], v[18:19], v[13:14]
	v_add_f64 v[15:16], v[20:21], v[15:16]
	ds_write_b128 v17, v[13:16]
.LBB569_19:
	s_or_b64 exec, exec, s[0:1]
	v_mov_b32_e32 v16, v12
	v_mov_b32_e32 v14, v10
	v_cmp_gt_u32_e32 vcc, 26, v0
	v_mov_b32_e32 v15, v11
	v_mov_b32_e32 v13, v9
	s_waitcnt lgkmcnt(0)
	s_barrier
	s_and_saveexec_b64 s[0:1], vcc
	s_cbranch_execz .LBB569_21
; %bb.20:
	s_movk_i32 s2, 0x190
	v_mad_u32_u24 v18, v0, s2, v17
	ds_read_b128 v[13:16], v18
	ds_read_b128 v[18:21], v18 offset:16
	s_waitcnt lgkmcnt(0)
	v_add_f64 v[13:14], v[18:19], v[13:14]
	v_add_f64 v[15:16], v[20:21], v[15:16]
.LBB569_21:
	s_or_b64 exec, exec, s[0:1]
	s_branch .LBB569_34
.LBB569_22:
                                        ; implicit-def: $vgpr15_vgpr16
                                        ; implicit-def: $vgpr13_vgpr14
	s_cbranch_execz .LBB569_34
; %bb.23:
	s_movk_i32 s0, 0x104
	v_cmp_gt_u32_e32 vcc, s0, v0
	s_and_saveexec_b64 s[0:1], vcc
	s_cbranch_execz .LBB569_25
; %bb.24:
	ds_read_b128 v[13:16], v17 offset:6656
	ds_read_b128 v[18:21], v17
	s_waitcnt lgkmcnt(0)
	v_add_f64 v[13:14], v[13:14], v[18:19]
	v_add_f64 v[15:16], v[15:16], v[20:21]
	ds_write_b128 v17, v[13:16]
.LBB569_25:
	s_or_b64 exec, exec, s[0:1]
	s_movk_i32 s0, 0xd0
	v_cmp_gt_u32_e32 vcc, s0, v0
	s_waitcnt lgkmcnt(0)
	s_barrier
	s_and_saveexec_b64 s[0:1], vcc
	s_cbranch_execz .LBB569_27
; %bb.26:
	ds_read_b128 v[13:16], v17 offset:3328
	ds_read_b128 v[18:21], v17
	s_waitcnt lgkmcnt(0)
	v_add_f64 v[13:14], v[13:14], v[18:19]
	v_add_f64 v[15:16], v[15:16], v[20:21]
	ds_write_b128 v17, v[13:16]
.LBB569_27:
	s_or_b64 exec, exec, s[0:1]
	s_movk_i32 s0, 0x68
	v_cmp_gt_u32_e32 vcc, s0, v0
	s_waitcnt lgkmcnt(0)
	s_barrier
	s_and_saveexec_b64 s[0:1], vcc
	s_cbranch_execz .LBB569_29
; %bb.28:
	ds_read_b128 v[13:16], v17 offset:1664
	ds_read_b128 v[18:21], v17
	s_waitcnt lgkmcnt(0)
	v_add_f64 v[13:14], v[13:14], v[18:19]
	v_add_f64 v[15:16], v[15:16], v[20:21]
	ds_write_b128 v17, v[13:16]
.LBB569_29:
	s_or_b64 exec, exec, s[0:1]
	v_cmp_gt_u32_e32 vcc, 52, v0
	s_waitcnt lgkmcnt(0)
	s_barrier
	s_and_saveexec_b64 s[0:1], vcc
	s_cbranch_execz .LBB569_31
; %bb.30:
	ds_read_b128 v[13:16], v17 offset:832
	ds_read_b128 v[18:21], v17
	s_waitcnt lgkmcnt(0)
	v_add_f64 v[13:14], v[13:14], v[18:19]
	v_add_f64 v[15:16], v[15:16], v[20:21]
	ds_write_b128 v17, v[13:16]
.LBB569_31:
	s_or_b64 exec, exec, s[0:1]
	v_cmp_gt_u32_e32 vcc, 26, v0
	s_waitcnt lgkmcnt(0)
	s_and_saveexec_b64 s[0:1], vcc
	s_cbranch_execz .LBB569_33
; %bb.32:
	ds_read_b128 v[9:12], v17 offset:416
	ds_read_b128 v[13:16], v17
	s_waitcnt lgkmcnt(0)
	v_add_f64 v[9:10], v[9:10], v[13:14]
	v_add_f64 v[11:12], v[11:12], v[15:16]
.LBB569_33:
	s_or_b64 exec, exec, s[0:1]
	v_mov_b32_e32 v16, v12
	v_mov_b32_e32 v14, v10
	v_mov_b32_e32 v15, v11
	v_mov_b32_e32 v13, v9
.LBB569_34:
	v_cmp_gt_u32_e32 vcc, 26, v0
	s_and_b64 exec, exec, vcc
	s_cbranch_execz .LBB569_39
; %bb.35:
	v_mul_f64 v[9:10], v[15:16], -v[7:8]
	v_mul_f64 v[11:12], v[5:6], v[15:16]
	v_cmp_eq_f64_e32 vcc, 0, v[1:2]
	v_cmp_eq_f64_e64 s[0:1], 0, v[3:4]
	s_mul_i32 s2, s7, 0x1a0
	s_mul_hi_u32 s3, s6, 0x1a0
	s_mul_i32 s4, s6, 0x1a0
	v_fma_f64 v[5:6], v[5:6], v[13:14], v[9:10]
	v_fma_f64 v[7:8], v[7:8], v[13:14], v[11:12]
	s_and_b64 s[0:1], vcc, s[0:1]
	s_and_saveexec_b64 s[6:7], s[0:1]
	s_xor_b64 s[0:1], exec, s[6:7]
	s_cbranch_execz .LBB569_37
; %bb.36:
	s_add_i32 s5, s3, s2
	s_add_u32 s6, s12, s4
	s_addc_u32 s7, s13, s5
	global_store_dwordx4 v17, v[5:8], s[6:7]
                                        ; implicit-def: $vgpr17
                                        ; implicit-def: $vgpr1_vgpr2
                                        ; implicit-def: $vgpr5_vgpr6
.LBB569_37:
	s_andn2_saveexec_b64 s[0:1], s[0:1]
	s_cbranch_execz .LBB569_39
; %bb.38:
	s_add_i32 s3, s3, s2
	s_add_u32 s0, s12, s4
	s_addc_u32 s1, s13, s3
	global_load_dwordx4 v[9:12], v17, s[0:1]
	s_waitcnt vmcnt(0)
	v_fma_f64 v[5:6], v[1:2], v[9:10], v[5:6]
	v_fma_f64 v[7:8], v[3:4], v[9:10], v[7:8]
	v_fma_f64 v[3:4], -v[3:4], v[11:12], v[5:6]
	v_fma_f64 v[5:6], v[1:2], v[11:12], v[7:8]
	global_store_dwordx4 v17, v[3:6], s[0:1]
.LBB569_39:
	s_endpgm
	.section	.rodata,"a",@progbits
	.p2align	6, 0x0
	.amdhsa_kernel _ZN9rocsparseL20bsrxmvn_17_32_kernelILj26E21rocsparse_complex_numIdEllS1_IfES2_S2_EEvT2_20rocsparse_direction_NS_24const_host_device_scalarIT0_EES4_PKS4_PKT1_SD_SA_PKT3_PKT4_S8_PT5_21rocsparse_index_base_b
		.amdhsa_group_segment_fixed_size 10816
		.amdhsa_private_segment_fixed_size 0
		.amdhsa_kernarg_size 120
		.amdhsa_user_sgpr_count 6
		.amdhsa_user_sgpr_private_segment_buffer 1
		.amdhsa_user_sgpr_dispatch_ptr 0
		.amdhsa_user_sgpr_queue_ptr 0
		.amdhsa_user_sgpr_kernarg_segment_ptr 1
		.amdhsa_user_sgpr_dispatch_id 0
		.amdhsa_user_sgpr_flat_scratch_init 0
		.amdhsa_user_sgpr_private_segment_size 0
		.amdhsa_uses_dynamic_stack 0
		.amdhsa_system_sgpr_private_segment_wavefront_offset 0
		.amdhsa_system_sgpr_workgroup_id_x 1
		.amdhsa_system_sgpr_workgroup_id_y 0
		.amdhsa_system_sgpr_workgroup_id_z 0
		.amdhsa_system_sgpr_workgroup_info 0
		.amdhsa_system_vgpr_workitem_id 0
		.amdhsa_next_free_vgpr 31
		.amdhsa_next_free_sgpr 61
		.amdhsa_reserve_vcc 1
		.amdhsa_reserve_flat_scratch 0
		.amdhsa_float_round_mode_32 0
		.amdhsa_float_round_mode_16_64 0
		.amdhsa_float_denorm_mode_32 3
		.amdhsa_float_denorm_mode_16_64 3
		.amdhsa_dx10_clamp 1
		.amdhsa_ieee_mode 1
		.amdhsa_fp16_overflow 0
		.amdhsa_exception_fp_ieee_invalid_op 0
		.amdhsa_exception_fp_denorm_src 0
		.amdhsa_exception_fp_ieee_div_zero 0
		.amdhsa_exception_fp_ieee_overflow 0
		.amdhsa_exception_fp_ieee_underflow 0
		.amdhsa_exception_fp_ieee_inexact 0
		.amdhsa_exception_int_div_zero 0
	.end_amdhsa_kernel
	.section	.text._ZN9rocsparseL20bsrxmvn_17_32_kernelILj26E21rocsparse_complex_numIdEllS1_IfES2_S2_EEvT2_20rocsparse_direction_NS_24const_host_device_scalarIT0_EES4_PKS4_PKT1_SD_SA_PKT3_PKT4_S8_PT5_21rocsparse_index_base_b,"axG",@progbits,_ZN9rocsparseL20bsrxmvn_17_32_kernelILj26E21rocsparse_complex_numIdEllS1_IfES2_S2_EEvT2_20rocsparse_direction_NS_24const_host_device_scalarIT0_EES4_PKS4_PKT1_SD_SA_PKT3_PKT4_S8_PT5_21rocsparse_index_base_b,comdat
.Lfunc_end569:
	.size	_ZN9rocsparseL20bsrxmvn_17_32_kernelILj26E21rocsparse_complex_numIdEllS1_IfES2_S2_EEvT2_20rocsparse_direction_NS_24const_host_device_scalarIT0_EES4_PKS4_PKT1_SD_SA_PKT3_PKT4_S8_PT5_21rocsparse_index_base_b, .Lfunc_end569-_ZN9rocsparseL20bsrxmvn_17_32_kernelILj26E21rocsparse_complex_numIdEllS1_IfES2_S2_EEvT2_20rocsparse_direction_NS_24const_host_device_scalarIT0_EES4_PKS4_PKT1_SD_SA_PKT3_PKT4_S8_PT5_21rocsparse_index_base_b
                                        ; -- End function
	.set _ZN9rocsparseL20bsrxmvn_17_32_kernelILj26E21rocsparse_complex_numIdEllS1_IfES2_S2_EEvT2_20rocsparse_direction_NS_24const_host_device_scalarIT0_EES4_PKS4_PKT1_SD_SA_PKT3_PKT4_S8_PT5_21rocsparse_index_base_b.num_vgpr, 31
	.set _ZN9rocsparseL20bsrxmvn_17_32_kernelILj26E21rocsparse_complex_numIdEllS1_IfES2_S2_EEvT2_20rocsparse_direction_NS_24const_host_device_scalarIT0_EES4_PKS4_PKT1_SD_SA_PKT3_PKT4_S8_PT5_21rocsparse_index_base_b.num_agpr, 0
	.set _ZN9rocsparseL20bsrxmvn_17_32_kernelILj26E21rocsparse_complex_numIdEllS1_IfES2_S2_EEvT2_20rocsparse_direction_NS_24const_host_device_scalarIT0_EES4_PKS4_PKT1_SD_SA_PKT3_PKT4_S8_PT5_21rocsparse_index_base_b.numbered_sgpr, 22
	.set _ZN9rocsparseL20bsrxmvn_17_32_kernelILj26E21rocsparse_complex_numIdEllS1_IfES2_S2_EEvT2_20rocsparse_direction_NS_24const_host_device_scalarIT0_EES4_PKS4_PKT1_SD_SA_PKT3_PKT4_S8_PT5_21rocsparse_index_base_b.num_named_barrier, 0
	.set _ZN9rocsparseL20bsrxmvn_17_32_kernelILj26E21rocsparse_complex_numIdEllS1_IfES2_S2_EEvT2_20rocsparse_direction_NS_24const_host_device_scalarIT0_EES4_PKS4_PKT1_SD_SA_PKT3_PKT4_S8_PT5_21rocsparse_index_base_b.private_seg_size, 0
	.set _ZN9rocsparseL20bsrxmvn_17_32_kernelILj26E21rocsparse_complex_numIdEllS1_IfES2_S2_EEvT2_20rocsparse_direction_NS_24const_host_device_scalarIT0_EES4_PKS4_PKT1_SD_SA_PKT3_PKT4_S8_PT5_21rocsparse_index_base_b.uses_vcc, 1
	.set _ZN9rocsparseL20bsrxmvn_17_32_kernelILj26E21rocsparse_complex_numIdEllS1_IfES2_S2_EEvT2_20rocsparse_direction_NS_24const_host_device_scalarIT0_EES4_PKS4_PKT1_SD_SA_PKT3_PKT4_S8_PT5_21rocsparse_index_base_b.uses_flat_scratch, 0
	.set _ZN9rocsparseL20bsrxmvn_17_32_kernelILj26E21rocsparse_complex_numIdEllS1_IfES2_S2_EEvT2_20rocsparse_direction_NS_24const_host_device_scalarIT0_EES4_PKS4_PKT1_SD_SA_PKT3_PKT4_S8_PT5_21rocsparse_index_base_b.has_dyn_sized_stack, 0
	.set _ZN9rocsparseL20bsrxmvn_17_32_kernelILj26E21rocsparse_complex_numIdEllS1_IfES2_S2_EEvT2_20rocsparse_direction_NS_24const_host_device_scalarIT0_EES4_PKS4_PKT1_SD_SA_PKT3_PKT4_S8_PT5_21rocsparse_index_base_b.has_recursion, 0
	.set _ZN9rocsparseL20bsrxmvn_17_32_kernelILj26E21rocsparse_complex_numIdEllS1_IfES2_S2_EEvT2_20rocsparse_direction_NS_24const_host_device_scalarIT0_EES4_PKS4_PKT1_SD_SA_PKT3_PKT4_S8_PT5_21rocsparse_index_base_b.has_indirect_call, 0
	.section	.AMDGPU.csdata,"",@progbits
; Kernel info:
; codeLenInByte = 1736
; TotalNumSgprs: 26
; NumVgprs: 31
; ScratchSize: 0
; MemoryBound: 0
; FloatMode: 240
; IeeeMode: 1
; LDSByteSize: 10816 bytes/workgroup (compile time only)
; SGPRBlocks: 8
; VGPRBlocks: 7
; NumSGPRsForWavesPerEU: 65
; NumVGPRsForWavesPerEU: 31
; Occupancy: 8
; WaveLimiterHint : 1
; COMPUTE_PGM_RSRC2:SCRATCH_EN: 0
; COMPUTE_PGM_RSRC2:USER_SGPR: 6
; COMPUTE_PGM_RSRC2:TRAP_HANDLER: 0
; COMPUTE_PGM_RSRC2:TGID_X_EN: 1
; COMPUTE_PGM_RSRC2:TGID_Y_EN: 0
; COMPUTE_PGM_RSRC2:TGID_Z_EN: 0
; COMPUTE_PGM_RSRC2:TIDIG_COMP_CNT: 0
	.section	.text._ZN9rocsparseL20bsrxmvn_17_32_kernelILj27E21rocsparse_complex_numIdEllS1_IfES2_S2_EEvT2_20rocsparse_direction_NS_24const_host_device_scalarIT0_EES4_PKS4_PKT1_SD_SA_PKT3_PKT4_S8_PT5_21rocsparse_index_base_b,"axG",@progbits,_ZN9rocsparseL20bsrxmvn_17_32_kernelILj27E21rocsparse_complex_numIdEllS1_IfES2_S2_EEvT2_20rocsparse_direction_NS_24const_host_device_scalarIT0_EES4_PKS4_PKT1_SD_SA_PKT3_PKT4_S8_PT5_21rocsparse_index_base_b,comdat
	.globl	_ZN9rocsparseL20bsrxmvn_17_32_kernelILj27E21rocsparse_complex_numIdEllS1_IfES2_S2_EEvT2_20rocsparse_direction_NS_24const_host_device_scalarIT0_EES4_PKS4_PKT1_SD_SA_PKT3_PKT4_S8_PT5_21rocsparse_index_base_b ; -- Begin function _ZN9rocsparseL20bsrxmvn_17_32_kernelILj27E21rocsparse_complex_numIdEllS1_IfES2_S2_EEvT2_20rocsparse_direction_NS_24const_host_device_scalarIT0_EES4_PKS4_PKT1_SD_SA_PKT3_PKT4_S8_PT5_21rocsparse_index_base_b
	.p2align	8
	.type	_ZN9rocsparseL20bsrxmvn_17_32_kernelILj27E21rocsparse_complex_numIdEllS1_IfES2_S2_EEvT2_20rocsparse_direction_NS_24const_host_device_scalarIT0_EES4_PKS4_PKT1_SD_SA_PKT3_PKT4_S8_PT5_21rocsparse_index_base_b,@function
_ZN9rocsparseL20bsrxmvn_17_32_kernelILj27E21rocsparse_complex_numIdEllS1_IfES2_S2_EEvT2_20rocsparse_direction_NS_24const_host_device_scalarIT0_EES4_PKS4_PKT1_SD_SA_PKT3_PKT4_S8_PT5_21rocsparse_index_base_b: ; @_ZN9rocsparseL20bsrxmvn_17_32_kernelILj27E21rocsparse_complex_numIdEllS1_IfES2_S2_EEvT2_20rocsparse_direction_NS_24const_host_device_scalarIT0_EES4_PKS4_PKT1_SD_SA_PKT3_PKT4_S8_PT5_21rocsparse_index_base_b
; %bb.0:
	s_load_dwordx2 s[0:1], s[4:5], 0x10
	s_load_dwordx2 s[14:15], s[4:5], 0x70
	s_add_u32 s7, s4, 16
	s_addc_u32 s8, s5, 0
	s_add_u32 s9, s4, 0x58
	s_addc_u32 s10, s5, 0
	s_waitcnt lgkmcnt(0)
	s_bitcmp1_b32 s15, 0
	s_cselect_b32 s1, s8, s1
	s_cselect_b32 s0, s7, s0
	v_mov_b32_e32 v1, s0
	v_mov_b32_e32 v2, s1
	flat_load_dwordx4 v[5:8], v[1:2]
	s_load_dwordx2 s[2:3], s[4:5], 0x58
	s_waitcnt lgkmcnt(0)
	s_cselect_b32 s0, s10, s3
	s_cselect_b32 s1, s9, s2
	v_mov_b32_e32 v1, s1
	v_mov_b32_e32 v2, s0
	flat_load_dwordx4 v[1:4], v[1:2]
	s_waitcnt vmcnt(0)
	v_cmp_eq_f64_e32 vcc, 0, v[5:6]
	v_cmp_eq_f64_e64 s[0:1], 0, v[7:8]
	s_and_b64 s[8:9], vcc, s[0:1]
	s_mov_b64 s[0:1], -1
	s_and_saveexec_b64 s[2:3], s[8:9]
	s_cbranch_execz .LBB570_2
; %bb.1:
	s_waitcnt lgkmcnt(0)
	v_cmp_neq_f64_e32 vcc, 1.0, v[1:2]
	v_cmp_neq_f64_e64 s[0:1], 0, v[3:4]
	s_or_b64 s[0:1], vcc, s[0:1]
	s_orn2_b64 s[0:1], s[0:1], exec
.LBB570_2:
	s_or_b64 exec, exec, s[2:3]
	s_and_saveexec_b64 s[2:3], s[0:1]
	s_cbranch_execz .LBB570_39
; %bb.3:
	s_load_dwordx4 s[0:3], s[4:5], 0x28
	s_load_dwordx2 s[8:9], s[4:5], 0x38
	s_mov_b32 s7, 0
	s_waitcnt lgkmcnt(0)
	s_cmp_eq_u64 s[0:1], 0
	s_cbranch_scc1 .LBB570_5
; %bb.4:
	s_lshl_b64 s[6:7], s[6:7], 3
	s_add_u32 s0, s0, s6
	s_addc_u32 s1, s1, s7
	s_load_dwordx2 s[0:1], s[0:1], 0x0
	s_waitcnt lgkmcnt(0)
	s_sub_u32 s6, s0, s14
	s_subb_u32 s7, s1, 0
.LBB570_5:
	s_load_dword s10, s[4:5], 0x8
	s_load_dwordx2 s[12:13], s[4:5], 0x68
	v_mul_u32_u24_e32 v14, 0x97c, v0
	v_mov_b32_e32 v9, 27
	v_mul_lo_u16_sdwa v9, v14, v9 dst_sel:DWORD dst_unused:UNUSED_PAD src0_sel:WORD_1 src1_sel:DWORD
	s_waitcnt lgkmcnt(0)
	s_cmp_eq_u32 s10, 1
	s_cselect_b64 s[0:1], -1, 0
	s_cmp_lg_u32 s10, 1
	s_cselect_b64 s[16:17], -1, 0
	s_lshl_b64 s[10:11], s[6:7], 3
	s_add_u32 s20, s2, s10
	s_addc_u32 s21, s3, s11
	s_add_u32 s2, s20, 8
	s_addc_u32 s3, s21, 0
	;; [unrolled: 2-line block ×3, first 2 shown]
	s_cmp_eq_u64 s[8:9], 0
	s_cselect_b32 s9, s3, s11
	s_cselect_b32 s8, s2, s10
	s_load_dwordx2 s[2:3], s[8:9], 0x0
	s_load_dwordx2 s[18:19], s[20:21], 0x0
	v_sub_u16_e32 v21, v0, v9
	v_mov_b32_e32 v11, 0
	v_mov_b32_e32 v13, 0
	s_waitcnt lgkmcnt(0)
	v_mov_b32_e32 v10, s3
	v_mov_b32_e32 v9, s2
	v_cmp_ge_i64_e32 vcc, s[18:19], v[9:10]
	v_mov_b32_e32 v9, 0
	v_mov_b32_e32 v12, 0
	;; [unrolled: 1-line block ×3, first 2 shown]
	s_cbranch_vccnz .LBB570_10
; %bb.6:
	s_load_dwordx2 s[20:21], s[4:5], 0x50
	s_load_dwordx4 s[8:11], s[4:5], 0x40
	s_mov_b32 s4, 0xffff
	s_movk_i32 s5, 0x2d9
	v_and_b32_sdwa v9, s4, v14 dst_sel:DWORD dst_unused:UNUSED_PAD src0_sel:DWORD src1_sel:WORD_1
	s_sub_u32 s2, s2, s14
	v_subrev_u32_e32 v10, 27, v9
	v_cmp_gt_u32_e32 vcc, s5, v0
	s_subb_u32 s3, s3, 0
	v_cndmask_b32_e32 v9, v10, v9, vcc
	s_sub_u32 s4, s18, s14
	v_cndmask_b32_e64 v12, v21, v9, s[0:1]
	s_subb_u32 s5, s19, 0
	v_lshlrev_b64 v[9:10], 4, v[12:13]
	s_mul_i32 s0, s5, 0x16c8
	s_mul_hi_u32 s1, s4, 0x16c8
	s_add_i32 s1, s1, s0
	s_mul_i32 s0, s4, 0x16c8
	s_waitcnt lgkmcnt(0)
	v_mov_b32_e32 v11, s21
	v_add_co_u32_e32 v13, vcc, s20, v9
	s_add_u32 s0, s10, s0
	v_addc_co_u32_e32 v14, vcc, v11, v10, vcc
	s_addc_u32 s1, s11, s1
	v_lshlrev_b32_e32 v9, 3, v0
	v_mov_b32_e32 v10, s1
	v_add_co_u32_e32 v15, vcc, s0, v9
	v_addc_co_u32_e32 v16, vcc, 0, v10, vcc
	s_movk_i32 s0, 0x2d8
	v_cmp_lt_u32_e32 vcc, s0, v0
	v_cndmask_b32_e64 v22, 0, 1, vcc
	v_mov_b32_e32 v9, s19
	v_add_co_u32_e32 v10, vcc, s18, v22
	v_addc_co_u32_e32 v11, vcc, 0, v9, vcc
	v_subrev_co_u32_e32 v9, vcc, s14, v10
	v_subbrev_co_u32_e32 v10, vcc, 0, v11, vcc
	v_lshlrev_b64 v[9:10], 3, v[9:10]
	v_mov_b32_e32 v11, s9
	v_add_co_u32_e32 v17, vcc, s8, v9
	v_addc_co_u32_e32 v18, vcc, v11, v10, vcc
	v_mov_b32_e32 v11, 0
	v_mov_b32_e32 v12, 0
	;; [unrolled: 1-line block ×4, first 2 shown]
	s_movk_i32 s8, 0x1b0
	v_mov_b32_e32 v19, s2
	v_mov_b32_e32 v10, v12
	s_branch .LBB570_8
.LBB570_7:                              ;   in Loop: Header=BB570_8 Depth=1
	s_or_b64 exec, exec, s[0:1]
	s_add_u32 s4, s4, 1
	s_addc_u32 s5, s5, 0
	v_cmp_lt_i64_e32 vcc, s[4:5], v[19:20]
	v_add_co_u32_e64 v17, s[0:1], 8, v17
	v_addc_co_u32_e64 v18, s[0:1], 0, v18, s[0:1]
	s_cbranch_vccz .LBB570_10
.LBB570_8:                              ; =>This Inner Loop Header: Depth=1
	v_mov_b32_e32 v24, s5
	v_add_co_u32_e32 v23, vcc, s4, v22
	v_addc_co_u32_e32 v24, vcc, 0, v24, vcc
	v_cmp_gt_i64_e32 vcc, s[2:3], v[23:24]
	s_and_saveexec_b64 s[0:1], vcc
	s_cbranch_execz .LBB570_7
; %bb.9:                                ;   in Loop: Header=BB570_8 Depth=1
	global_load_dwordx2 v[23:24], v[17:18], off
	s_waitcnt vmcnt(0)
	v_subrev_co_u32_e32 v23, vcc, s14, v23
	v_subbrev_co_u32_e32 v25, vcc, 0, v24, vcc
	v_mad_u64_u32 v[23:24], s[10:11], v23, s8, v[13:14]
	v_mad_u64_u32 v[24:25], s[10:11], v25, s8, v[24:25]
	global_load_dwordx2 v[27:28], v[15:16], off
	s_nop 0
	global_load_dwordx4 v[23:26], v[23:24], off
	v_add_co_u32_e32 v15, vcc, 0x16c8, v15
	v_addc_co_u32_e32 v16, vcc, 0, v16, vcc
	s_waitcnt vmcnt(1)
	v_cvt_f64_f32_e32 v[29:30], v27
	v_cvt_f64_f32_e32 v[27:28], v28
	s_waitcnt vmcnt(0)
	v_fma_f64 v[9:10], v[29:30], v[23:24], v[9:10]
	v_fma_f64 v[11:12], v[27:28], v[23:24], v[11:12]
	v_fma_f64 v[9:10], -v[27:28], v[25:26], v[9:10]
	v_fma_f64 v[11:12], v[29:30], v[25:26], v[11:12]
	s_branch .LBB570_7
.LBB570_10:
	v_lshlrev_b32_e32 v17, 4, v0
	s_and_b64 vcc, exec, s[16:17]
	ds_write_b128 v17, v[9:12]
	s_waitcnt lgkmcnt(0)
	s_barrier
	s_cbranch_vccz .LBB570_22
; %bb.11:
	v_cmp_gt_u16_e32 vcc, 11, v21
	s_and_saveexec_b64 s[0:1], vcc
	s_cbranch_execz .LBB570_13
; %bb.12:
	ds_read_b128 v[13:16], v17 offset:256
	ds_read_b128 v[22:25], v17
	s_waitcnt lgkmcnt(0)
	v_add_f64 v[13:14], v[13:14], v[22:23]
	v_add_f64 v[15:16], v[15:16], v[24:25]
	ds_write_b128 v17, v[13:16]
.LBB570_13:
	s_or_b64 exec, exec, s[0:1]
	v_cmp_gt_u16_e32 vcc, 8, v21
	s_waitcnt lgkmcnt(0)
	s_barrier
	s_and_saveexec_b64 s[0:1], vcc
	s_cbranch_execz .LBB570_15
; %bb.14:
	ds_read_b128 v[13:16], v17 offset:128
	ds_read_b128 v[22:25], v17
	s_waitcnt lgkmcnt(0)
	v_add_f64 v[13:14], v[13:14], v[22:23]
	v_add_f64 v[15:16], v[15:16], v[24:25]
	ds_write_b128 v17, v[13:16]
.LBB570_15:
	s_or_b64 exec, exec, s[0:1]
	v_cmp_gt_u16_e32 vcc, 4, v21
	s_waitcnt lgkmcnt(0)
	s_barrier
	;; [unrolled: 14-line block ×3, first 2 shown]
	s_and_saveexec_b64 s[0:1], vcc
	s_cbranch_execz .LBB570_19
; %bb.18:
	ds_read_b128 v[13:16], v17
	ds_read_b128 v[18:21], v17 offset:32
	s_waitcnt lgkmcnt(0)
	v_add_f64 v[13:14], v[18:19], v[13:14]
	v_add_f64 v[15:16], v[20:21], v[15:16]
	ds_write_b128 v17, v[13:16]
.LBB570_19:
	s_or_b64 exec, exec, s[0:1]
	v_mov_b32_e32 v16, v12
	v_mov_b32_e32 v14, v10
	v_cmp_gt_u32_e32 vcc, 27, v0
	v_mov_b32_e32 v15, v11
	v_mov_b32_e32 v13, v9
	s_waitcnt lgkmcnt(0)
	s_barrier
	s_and_saveexec_b64 s[0:1], vcc
	s_cbranch_execz .LBB570_21
; %bb.20:
	s_movk_i32 s2, 0x1a0
	v_mad_u32_u24 v18, v0, s2, v17
	ds_read_b128 v[13:16], v18
	ds_read_b128 v[18:21], v18 offset:16
	s_waitcnt lgkmcnt(0)
	v_add_f64 v[13:14], v[18:19], v[13:14]
	v_add_f64 v[15:16], v[20:21], v[15:16]
.LBB570_21:
	s_or_b64 exec, exec, s[0:1]
	s_branch .LBB570_34
.LBB570_22:
                                        ; implicit-def: $vgpr15_vgpr16
                                        ; implicit-def: $vgpr13_vgpr14
	s_cbranch_execz .LBB570_34
; %bb.23:
	s_movk_i32 s0, 0x129
	v_cmp_gt_u32_e32 vcc, s0, v0
	s_and_saveexec_b64 s[0:1], vcc
	s_cbranch_execz .LBB570_25
; %bb.24:
	ds_read_b128 v[13:16], v17 offset:6912
	ds_read_b128 v[18:21], v17
	s_waitcnt lgkmcnt(0)
	v_add_f64 v[13:14], v[13:14], v[18:19]
	v_add_f64 v[15:16], v[15:16], v[20:21]
	ds_write_b128 v17, v[13:16]
.LBB570_25:
	s_or_b64 exec, exec, s[0:1]
	s_movk_i32 s0, 0xd8
	v_cmp_gt_u32_e32 vcc, s0, v0
	s_waitcnt lgkmcnt(0)
	s_barrier
	s_and_saveexec_b64 s[0:1], vcc
	s_cbranch_execz .LBB570_27
; %bb.26:
	ds_read_b128 v[13:16], v17 offset:3456
	ds_read_b128 v[18:21], v17
	s_waitcnt lgkmcnt(0)
	v_add_f64 v[13:14], v[13:14], v[18:19]
	v_add_f64 v[15:16], v[15:16], v[20:21]
	ds_write_b128 v17, v[13:16]
.LBB570_27:
	s_or_b64 exec, exec, s[0:1]
	s_movk_i32 s0, 0x6c
	v_cmp_gt_u32_e32 vcc, s0, v0
	s_waitcnt lgkmcnt(0)
	s_barrier
	s_and_saveexec_b64 s[0:1], vcc
	s_cbranch_execz .LBB570_29
; %bb.28:
	ds_read_b128 v[13:16], v17 offset:1728
	ds_read_b128 v[18:21], v17
	s_waitcnt lgkmcnt(0)
	v_add_f64 v[13:14], v[13:14], v[18:19]
	v_add_f64 v[15:16], v[15:16], v[20:21]
	ds_write_b128 v17, v[13:16]
.LBB570_29:
	s_or_b64 exec, exec, s[0:1]
	v_cmp_gt_u32_e32 vcc, 54, v0
	s_waitcnt lgkmcnt(0)
	s_barrier
	s_and_saveexec_b64 s[0:1], vcc
	s_cbranch_execz .LBB570_31
; %bb.30:
	ds_read_b128 v[13:16], v17 offset:864
	ds_read_b128 v[18:21], v17
	s_waitcnt lgkmcnt(0)
	v_add_f64 v[13:14], v[13:14], v[18:19]
	v_add_f64 v[15:16], v[15:16], v[20:21]
	ds_write_b128 v17, v[13:16]
.LBB570_31:
	s_or_b64 exec, exec, s[0:1]
	v_cmp_gt_u32_e32 vcc, 27, v0
	s_waitcnt lgkmcnt(0)
	s_and_saveexec_b64 s[0:1], vcc
	s_cbranch_execz .LBB570_33
; %bb.32:
	ds_read_b128 v[9:12], v17 offset:432
	ds_read_b128 v[13:16], v17
	s_waitcnt lgkmcnt(0)
	v_add_f64 v[9:10], v[9:10], v[13:14]
	v_add_f64 v[11:12], v[11:12], v[15:16]
.LBB570_33:
	s_or_b64 exec, exec, s[0:1]
	v_mov_b32_e32 v16, v12
	v_mov_b32_e32 v14, v10
	;; [unrolled: 1-line block ×4, first 2 shown]
.LBB570_34:
	v_cmp_gt_u32_e32 vcc, 27, v0
	s_and_b64 exec, exec, vcc
	s_cbranch_execz .LBB570_39
; %bb.35:
	v_mul_f64 v[9:10], v[15:16], -v[7:8]
	v_mul_f64 v[11:12], v[5:6], v[15:16]
	v_cmp_eq_f64_e32 vcc, 0, v[1:2]
	v_cmp_eq_f64_e64 s[0:1], 0, v[3:4]
	s_mul_i32 s2, s7, 0x1b0
	s_mul_hi_u32 s3, s6, 0x1b0
	s_mul_i32 s4, s6, 0x1b0
	v_fma_f64 v[5:6], v[5:6], v[13:14], v[9:10]
	v_fma_f64 v[7:8], v[7:8], v[13:14], v[11:12]
	s_and_b64 s[0:1], vcc, s[0:1]
	s_and_saveexec_b64 s[6:7], s[0:1]
	s_xor_b64 s[0:1], exec, s[6:7]
	s_cbranch_execz .LBB570_37
; %bb.36:
	s_add_i32 s5, s3, s2
	s_add_u32 s6, s12, s4
	s_addc_u32 s7, s13, s5
	global_store_dwordx4 v17, v[5:8], s[6:7]
                                        ; implicit-def: $vgpr17
                                        ; implicit-def: $vgpr1_vgpr2
                                        ; implicit-def: $vgpr5_vgpr6
.LBB570_37:
	s_andn2_saveexec_b64 s[0:1], s[0:1]
	s_cbranch_execz .LBB570_39
; %bb.38:
	s_add_i32 s3, s3, s2
	s_add_u32 s0, s12, s4
	s_addc_u32 s1, s13, s3
	global_load_dwordx4 v[9:12], v17, s[0:1]
	s_waitcnt vmcnt(0)
	v_fma_f64 v[5:6], v[1:2], v[9:10], v[5:6]
	v_fma_f64 v[7:8], v[3:4], v[9:10], v[7:8]
	v_fma_f64 v[3:4], -v[3:4], v[11:12], v[5:6]
	v_fma_f64 v[5:6], v[1:2], v[11:12], v[7:8]
	global_store_dwordx4 v17, v[3:6], s[0:1]
.LBB570_39:
	s_endpgm
	.section	.rodata,"a",@progbits
	.p2align	6, 0x0
	.amdhsa_kernel _ZN9rocsparseL20bsrxmvn_17_32_kernelILj27E21rocsparse_complex_numIdEllS1_IfES2_S2_EEvT2_20rocsparse_direction_NS_24const_host_device_scalarIT0_EES4_PKS4_PKT1_SD_SA_PKT3_PKT4_S8_PT5_21rocsparse_index_base_b
		.amdhsa_group_segment_fixed_size 11664
		.amdhsa_private_segment_fixed_size 0
		.amdhsa_kernarg_size 120
		.amdhsa_user_sgpr_count 6
		.amdhsa_user_sgpr_private_segment_buffer 1
		.amdhsa_user_sgpr_dispatch_ptr 0
		.amdhsa_user_sgpr_queue_ptr 0
		.amdhsa_user_sgpr_kernarg_segment_ptr 1
		.amdhsa_user_sgpr_dispatch_id 0
		.amdhsa_user_sgpr_flat_scratch_init 0
		.amdhsa_user_sgpr_private_segment_size 0
		.amdhsa_uses_dynamic_stack 0
		.amdhsa_system_sgpr_private_segment_wavefront_offset 0
		.amdhsa_system_sgpr_workgroup_id_x 1
		.amdhsa_system_sgpr_workgroup_id_y 0
		.amdhsa_system_sgpr_workgroup_id_z 0
		.amdhsa_system_sgpr_workgroup_info 0
		.amdhsa_system_vgpr_workitem_id 0
		.amdhsa_next_free_vgpr 31
		.amdhsa_next_free_sgpr 61
		.amdhsa_reserve_vcc 1
		.amdhsa_reserve_flat_scratch 0
		.amdhsa_float_round_mode_32 0
		.amdhsa_float_round_mode_16_64 0
		.amdhsa_float_denorm_mode_32 3
		.amdhsa_float_denorm_mode_16_64 3
		.amdhsa_dx10_clamp 1
		.amdhsa_ieee_mode 1
		.amdhsa_fp16_overflow 0
		.amdhsa_exception_fp_ieee_invalid_op 0
		.amdhsa_exception_fp_denorm_src 0
		.amdhsa_exception_fp_ieee_div_zero 0
		.amdhsa_exception_fp_ieee_overflow 0
		.amdhsa_exception_fp_ieee_underflow 0
		.amdhsa_exception_fp_ieee_inexact 0
		.amdhsa_exception_int_div_zero 0
	.end_amdhsa_kernel
	.section	.text._ZN9rocsparseL20bsrxmvn_17_32_kernelILj27E21rocsparse_complex_numIdEllS1_IfES2_S2_EEvT2_20rocsparse_direction_NS_24const_host_device_scalarIT0_EES4_PKS4_PKT1_SD_SA_PKT3_PKT4_S8_PT5_21rocsparse_index_base_b,"axG",@progbits,_ZN9rocsparseL20bsrxmvn_17_32_kernelILj27E21rocsparse_complex_numIdEllS1_IfES2_S2_EEvT2_20rocsparse_direction_NS_24const_host_device_scalarIT0_EES4_PKS4_PKT1_SD_SA_PKT3_PKT4_S8_PT5_21rocsparse_index_base_b,comdat
.Lfunc_end570:
	.size	_ZN9rocsparseL20bsrxmvn_17_32_kernelILj27E21rocsparse_complex_numIdEllS1_IfES2_S2_EEvT2_20rocsparse_direction_NS_24const_host_device_scalarIT0_EES4_PKS4_PKT1_SD_SA_PKT3_PKT4_S8_PT5_21rocsparse_index_base_b, .Lfunc_end570-_ZN9rocsparseL20bsrxmvn_17_32_kernelILj27E21rocsparse_complex_numIdEllS1_IfES2_S2_EEvT2_20rocsparse_direction_NS_24const_host_device_scalarIT0_EES4_PKS4_PKT1_SD_SA_PKT3_PKT4_S8_PT5_21rocsparse_index_base_b
                                        ; -- End function
	.set _ZN9rocsparseL20bsrxmvn_17_32_kernelILj27E21rocsparse_complex_numIdEllS1_IfES2_S2_EEvT2_20rocsparse_direction_NS_24const_host_device_scalarIT0_EES4_PKS4_PKT1_SD_SA_PKT3_PKT4_S8_PT5_21rocsparse_index_base_b.num_vgpr, 31
	.set _ZN9rocsparseL20bsrxmvn_17_32_kernelILj27E21rocsparse_complex_numIdEllS1_IfES2_S2_EEvT2_20rocsparse_direction_NS_24const_host_device_scalarIT0_EES4_PKS4_PKT1_SD_SA_PKT3_PKT4_S8_PT5_21rocsparse_index_base_b.num_agpr, 0
	.set _ZN9rocsparseL20bsrxmvn_17_32_kernelILj27E21rocsparse_complex_numIdEllS1_IfES2_S2_EEvT2_20rocsparse_direction_NS_24const_host_device_scalarIT0_EES4_PKS4_PKT1_SD_SA_PKT3_PKT4_S8_PT5_21rocsparse_index_base_b.numbered_sgpr, 22
	.set _ZN9rocsparseL20bsrxmvn_17_32_kernelILj27E21rocsparse_complex_numIdEllS1_IfES2_S2_EEvT2_20rocsparse_direction_NS_24const_host_device_scalarIT0_EES4_PKS4_PKT1_SD_SA_PKT3_PKT4_S8_PT5_21rocsparse_index_base_b.num_named_barrier, 0
	.set _ZN9rocsparseL20bsrxmvn_17_32_kernelILj27E21rocsparse_complex_numIdEllS1_IfES2_S2_EEvT2_20rocsparse_direction_NS_24const_host_device_scalarIT0_EES4_PKS4_PKT1_SD_SA_PKT3_PKT4_S8_PT5_21rocsparse_index_base_b.private_seg_size, 0
	.set _ZN9rocsparseL20bsrxmvn_17_32_kernelILj27E21rocsparse_complex_numIdEllS1_IfES2_S2_EEvT2_20rocsparse_direction_NS_24const_host_device_scalarIT0_EES4_PKS4_PKT1_SD_SA_PKT3_PKT4_S8_PT5_21rocsparse_index_base_b.uses_vcc, 1
	.set _ZN9rocsparseL20bsrxmvn_17_32_kernelILj27E21rocsparse_complex_numIdEllS1_IfES2_S2_EEvT2_20rocsparse_direction_NS_24const_host_device_scalarIT0_EES4_PKS4_PKT1_SD_SA_PKT3_PKT4_S8_PT5_21rocsparse_index_base_b.uses_flat_scratch, 0
	.set _ZN9rocsparseL20bsrxmvn_17_32_kernelILj27E21rocsparse_complex_numIdEllS1_IfES2_S2_EEvT2_20rocsparse_direction_NS_24const_host_device_scalarIT0_EES4_PKS4_PKT1_SD_SA_PKT3_PKT4_S8_PT5_21rocsparse_index_base_b.has_dyn_sized_stack, 0
	.set _ZN9rocsparseL20bsrxmvn_17_32_kernelILj27E21rocsparse_complex_numIdEllS1_IfES2_S2_EEvT2_20rocsparse_direction_NS_24const_host_device_scalarIT0_EES4_PKS4_PKT1_SD_SA_PKT3_PKT4_S8_PT5_21rocsparse_index_base_b.has_recursion, 0
	.set _ZN9rocsparseL20bsrxmvn_17_32_kernelILj27E21rocsparse_complex_numIdEllS1_IfES2_S2_EEvT2_20rocsparse_direction_NS_24const_host_device_scalarIT0_EES4_PKS4_PKT1_SD_SA_PKT3_PKT4_S8_PT5_21rocsparse_index_base_b.has_indirect_call, 0
	.section	.AMDGPU.csdata,"",@progbits
; Kernel info:
; codeLenInByte = 1736
; TotalNumSgprs: 26
; NumVgprs: 31
; ScratchSize: 0
; MemoryBound: 0
; FloatMode: 240
; IeeeMode: 1
; LDSByteSize: 11664 bytes/workgroup (compile time only)
; SGPRBlocks: 8
; VGPRBlocks: 7
; NumSGPRsForWavesPerEU: 65
; NumVGPRsForWavesPerEU: 31
; Occupancy: 8
; WaveLimiterHint : 1
; COMPUTE_PGM_RSRC2:SCRATCH_EN: 0
; COMPUTE_PGM_RSRC2:USER_SGPR: 6
; COMPUTE_PGM_RSRC2:TRAP_HANDLER: 0
; COMPUTE_PGM_RSRC2:TGID_X_EN: 1
; COMPUTE_PGM_RSRC2:TGID_Y_EN: 0
; COMPUTE_PGM_RSRC2:TGID_Z_EN: 0
; COMPUTE_PGM_RSRC2:TIDIG_COMP_CNT: 0
	.section	.text._ZN9rocsparseL20bsrxmvn_17_32_kernelILj28E21rocsparse_complex_numIdEllS1_IfES2_S2_EEvT2_20rocsparse_direction_NS_24const_host_device_scalarIT0_EES4_PKS4_PKT1_SD_SA_PKT3_PKT4_S8_PT5_21rocsparse_index_base_b,"axG",@progbits,_ZN9rocsparseL20bsrxmvn_17_32_kernelILj28E21rocsparse_complex_numIdEllS1_IfES2_S2_EEvT2_20rocsparse_direction_NS_24const_host_device_scalarIT0_EES4_PKS4_PKT1_SD_SA_PKT3_PKT4_S8_PT5_21rocsparse_index_base_b,comdat
	.globl	_ZN9rocsparseL20bsrxmvn_17_32_kernelILj28E21rocsparse_complex_numIdEllS1_IfES2_S2_EEvT2_20rocsparse_direction_NS_24const_host_device_scalarIT0_EES4_PKS4_PKT1_SD_SA_PKT3_PKT4_S8_PT5_21rocsparse_index_base_b ; -- Begin function _ZN9rocsparseL20bsrxmvn_17_32_kernelILj28E21rocsparse_complex_numIdEllS1_IfES2_S2_EEvT2_20rocsparse_direction_NS_24const_host_device_scalarIT0_EES4_PKS4_PKT1_SD_SA_PKT3_PKT4_S8_PT5_21rocsparse_index_base_b
	.p2align	8
	.type	_ZN9rocsparseL20bsrxmvn_17_32_kernelILj28E21rocsparse_complex_numIdEllS1_IfES2_S2_EEvT2_20rocsparse_direction_NS_24const_host_device_scalarIT0_EES4_PKS4_PKT1_SD_SA_PKT3_PKT4_S8_PT5_21rocsparse_index_base_b,@function
_ZN9rocsparseL20bsrxmvn_17_32_kernelILj28E21rocsparse_complex_numIdEllS1_IfES2_S2_EEvT2_20rocsparse_direction_NS_24const_host_device_scalarIT0_EES4_PKS4_PKT1_SD_SA_PKT3_PKT4_S8_PT5_21rocsparse_index_base_b: ; @_ZN9rocsparseL20bsrxmvn_17_32_kernelILj28E21rocsparse_complex_numIdEllS1_IfES2_S2_EEvT2_20rocsparse_direction_NS_24const_host_device_scalarIT0_EES4_PKS4_PKT1_SD_SA_PKT3_PKT4_S8_PT5_21rocsparse_index_base_b
; %bb.0:
	s_load_dwordx2 s[0:1], s[4:5], 0x10
	s_load_dwordx2 s[14:15], s[4:5], 0x70
	s_add_u32 s7, s4, 16
	s_addc_u32 s8, s5, 0
	s_add_u32 s9, s4, 0x58
	s_addc_u32 s10, s5, 0
	s_waitcnt lgkmcnt(0)
	s_bitcmp1_b32 s15, 0
	s_cselect_b32 s1, s8, s1
	s_cselect_b32 s0, s7, s0
	v_mov_b32_e32 v1, s0
	v_mov_b32_e32 v2, s1
	flat_load_dwordx4 v[5:8], v[1:2]
	s_load_dwordx2 s[2:3], s[4:5], 0x58
	s_waitcnt lgkmcnt(0)
	s_cselect_b32 s0, s10, s3
	s_cselect_b32 s1, s9, s2
	v_mov_b32_e32 v1, s1
	v_mov_b32_e32 v2, s0
	flat_load_dwordx4 v[1:4], v[1:2]
	s_waitcnt vmcnt(0)
	v_cmp_eq_f64_e32 vcc, 0, v[5:6]
	v_cmp_eq_f64_e64 s[0:1], 0, v[7:8]
	s_and_b64 s[8:9], vcc, s[0:1]
	s_mov_b64 s[0:1], -1
	s_and_saveexec_b64 s[2:3], s[8:9]
	s_cbranch_execz .LBB571_2
; %bb.1:
	s_waitcnt lgkmcnt(0)
	v_cmp_neq_f64_e32 vcc, 1.0, v[1:2]
	v_cmp_neq_f64_e64 s[0:1], 0, v[3:4]
	s_or_b64 s[0:1], vcc, s[0:1]
	s_orn2_b64 s[0:1], s[0:1], exec
.LBB571_2:
	s_or_b64 exec, exec, s[2:3]
	s_and_saveexec_b64 s[2:3], s[0:1]
	s_cbranch_execz .LBB571_39
; %bb.3:
	s_load_dwordx4 s[0:3], s[4:5], 0x28
	s_load_dwordx2 s[8:9], s[4:5], 0x38
	s_mov_b32 s7, 0
	s_waitcnt lgkmcnt(0)
	s_cmp_eq_u64 s[0:1], 0
	s_cbranch_scc1 .LBB571_5
; %bb.4:
	s_lshl_b64 s[6:7], s[6:7], 3
	s_add_u32 s0, s0, s6
	s_addc_u32 s1, s1, s7
	s_load_dwordx2 s[0:1], s[0:1], 0x0
	s_waitcnt lgkmcnt(0)
	s_sub_u32 s6, s0, s14
	s_subb_u32 s7, s1, 0
.LBB571_5:
	s_load_dword s10, s[4:5], 0x8
	s_load_dwordx2 s[12:13], s[4:5], 0x68
	v_mul_u32_u24_e32 v14, 0x925, v0
	v_mov_b32_e32 v9, 28
	v_mul_lo_u16_sdwa v9, v14, v9 dst_sel:DWORD dst_unused:UNUSED_PAD src0_sel:WORD_1 src1_sel:DWORD
	s_waitcnt lgkmcnt(0)
	s_cmp_eq_u32 s10, 1
	s_cselect_b64 s[0:1], -1, 0
	s_cmp_lg_u32 s10, 1
	s_cselect_b64 s[16:17], -1, 0
	s_lshl_b64 s[10:11], s[6:7], 3
	s_add_u32 s20, s2, s10
	s_addc_u32 s21, s3, s11
	s_add_u32 s2, s20, 8
	s_addc_u32 s3, s21, 0
	;; [unrolled: 2-line block ×3, first 2 shown]
	s_cmp_eq_u64 s[8:9], 0
	s_cselect_b32 s9, s3, s11
	s_cselect_b32 s8, s2, s10
	s_load_dwordx2 s[2:3], s[8:9], 0x0
	s_load_dwordx2 s[18:19], s[20:21], 0x0
	v_sub_u16_e32 v21, v0, v9
	v_mov_b32_e32 v11, 0
	v_mov_b32_e32 v13, 0
	s_waitcnt lgkmcnt(0)
	v_mov_b32_e32 v10, s3
	v_mov_b32_e32 v9, s2
	v_cmp_ge_i64_e32 vcc, s[18:19], v[9:10]
	v_mov_b32_e32 v9, 0
	v_mov_b32_e32 v12, 0
	;; [unrolled: 1-line block ×3, first 2 shown]
	s_cbranch_vccnz .LBB571_10
; %bb.6:
	s_load_dwordx2 s[20:21], s[4:5], 0x50
	s_load_dwordx4 s[8:11], s[4:5], 0x40
	s_mov_b32 s4, 0xffff
	s_movk_i32 s5, 0x310
	v_and_b32_sdwa v9, s4, v14 dst_sel:DWORD dst_unused:UNUSED_PAD src0_sel:DWORD src1_sel:WORD_1
	s_sub_u32 s2, s2, s14
	v_subrev_u32_e32 v10, 28, v9
	v_cmp_gt_u32_e32 vcc, s5, v0
	s_subb_u32 s3, s3, 0
	v_cndmask_b32_e32 v9, v10, v9, vcc
	s_sub_u32 s4, s18, s14
	v_cndmask_b32_e64 v12, v21, v9, s[0:1]
	s_subb_u32 s5, s19, 0
	v_lshlrev_b64 v[9:10], 4, v[12:13]
	s_mul_i32 s0, s5, 0x1880
	s_mul_hi_u32 s1, s4, 0x1880
	s_add_i32 s1, s1, s0
	s_mul_i32 s0, s4, 0x1880
	s_waitcnt lgkmcnt(0)
	v_mov_b32_e32 v11, s21
	v_add_co_u32_e32 v13, vcc, s20, v9
	s_add_u32 s0, s10, s0
	v_addc_co_u32_e32 v14, vcc, v11, v10, vcc
	s_addc_u32 s1, s11, s1
	v_lshlrev_b32_e32 v9, 3, v0
	v_mov_b32_e32 v10, s1
	v_add_co_u32_e32 v15, vcc, s0, v9
	v_addc_co_u32_e32 v16, vcc, 0, v10, vcc
	s_movk_i32 s0, 0x30f
	v_cmp_lt_u32_e32 vcc, s0, v0
	v_cndmask_b32_e64 v22, 0, 1, vcc
	v_mov_b32_e32 v9, s19
	v_add_co_u32_e32 v10, vcc, s18, v22
	v_addc_co_u32_e32 v11, vcc, 0, v9, vcc
	v_subrev_co_u32_e32 v9, vcc, s14, v10
	v_subbrev_co_u32_e32 v10, vcc, 0, v11, vcc
	v_lshlrev_b64 v[9:10], 3, v[9:10]
	v_mov_b32_e32 v11, s9
	v_add_co_u32_e32 v17, vcc, s8, v9
	v_addc_co_u32_e32 v18, vcc, v11, v10, vcc
	v_mov_b32_e32 v11, 0
	v_mov_b32_e32 v12, 0
	;; [unrolled: 1-line block ×4, first 2 shown]
	s_movk_i32 s8, 0x1c0
	v_mov_b32_e32 v19, s2
	v_mov_b32_e32 v10, v12
	s_branch .LBB571_8
.LBB571_7:                              ;   in Loop: Header=BB571_8 Depth=1
	s_or_b64 exec, exec, s[0:1]
	s_add_u32 s4, s4, 1
	s_addc_u32 s5, s5, 0
	v_cmp_lt_i64_e32 vcc, s[4:5], v[19:20]
	v_add_co_u32_e64 v17, s[0:1], 8, v17
	v_addc_co_u32_e64 v18, s[0:1], 0, v18, s[0:1]
	s_cbranch_vccz .LBB571_10
.LBB571_8:                              ; =>This Inner Loop Header: Depth=1
	v_mov_b32_e32 v24, s5
	v_add_co_u32_e32 v23, vcc, s4, v22
	v_addc_co_u32_e32 v24, vcc, 0, v24, vcc
	v_cmp_gt_i64_e32 vcc, s[2:3], v[23:24]
	s_and_saveexec_b64 s[0:1], vcc
	s_cbranch_execz .LBB571_7
; %bb.9:                                ;   in Loop: Header=BB571_8 Depth=1
	global_load_dwordx2 v[23:24], v[17:18], off
	s_waitcnt vmcnt(0)
	v_subrev_co_u32_e32 v23, vcc, s14, v23
	v_subbrev_co_u32_e32 v25, vcc, 0, v24, vcc
	v_mad_u64_u32 v[23:24], s[10:11], v23, s8, v[13:14]
	v_mad_u64_u32 v[24:25], s[10:11], v25, s8, v[24:25]
	global_load_dwordx2 v[27:28], v[15:16], off
	s_nop 0
	global_load_dwordx4 v[23:26], v[23:24], off
	v_add_co_u32_e32 v15, vcc, 0x1880, v15
	v_addc_co_u32_e32 v16, vcc, 0, v16, vcc
	s_waitcnt vmcnt(1)
	v_cvt_f64_f32_e32 v[29:30], v27
	v_cvt_f64_f32_e32 v[27:28], v28
	s_waitcnt vmcnt(0)
	v_fma_f64 v[9:10], v[29:30], v[23:24], v[9:10]
	v_fma_f64 v[11:12], v[27:28], v[23:24], v[11:12]
	v_fma_f64 v[9:10], -v[27:28], v[25:26], v[9:10]
	v_fma_f64 v[11:12], v[29:30], v[25:26], v[11:12]
	s_branch .LBB571_7
.LBB571_10:
	v_lshlrev_b32_e32 v17, 4, v0
	s_and_b64 vcc, exec, s[16:17]
	ds_write_b128 v17, v[9:12]
	s_waitcnt lgkmcnt(0)
	s_barrier
	s_cbranch_vccz .LBB571_22
; %bb.11:
	v_cmp_gt_u16_e32 vcc, 12, v21
	s_and_saveexec_b64 s[0:1], vcc
	s_cbranch_execz .LBB571_13
; %bb.12:
	ds_read_b128 v[13:16], v17 offset:256
	ds_read_b128 v[22:25], v17
	s_waitcnt lgkmcnt(0)
	v_add_f64 v[13:14], v[13:14], v[22:23]
	v_add_f64 v[15:16], v[15:16], v[24:25]
	ds_write_b128 v17, v[13:16]
.LBB571_13:
	s_or_b64 exec, exec, s[0:1]
	v_cmp_gt_u16_e32 vcc, 8, v21
	s_waitcnt lgkmcnt(0)
	s_barrier
	s_and_saveexec_b64 s[0:1], vcc
	s_cbranch_execz .LBB571_15
; %bb.14:
	ds_read_b128 v[13:16], v17 offset:128
	ds_read_b128 v[22:25], v17
	s_waitcnt lgkmcnt(0)
	v_add_f64 v[13:14], v[13:14], v[22:23]
	v_add_f64 v[15:16], v[15:16], v[24:25]
	ds_write_b128 v17, v[13:16]
.LBB571_15:
	s_or_b64 exec, exec, s[0:1]
	v_cmp_gt_u16_e32 vcc, 4, v21
	s_waitcnt lgkmcnt(0)
	s_barrier
	s_and_saveexec_b64 s[0:1], vcc
	s_cbranch_execz .LBB571_17
; %bb.16:
	ds_read_b128 v[13:16], v17 offset:64
	ds_read_b128 v[22:25], v17
	s_waitcnt lgkmcnt(0)
	v_add_f64 v[13:14], v[13:14], v[22:23]
	v_add_f64 v[15:16], v[15:16], v[24:25]
	ds_write_b128 v17, v[13:16]
.LBB571_17:
	s_or_b64 exec, exec, s[0:1]
	v_cmp_gt_u16_e32 vcc, 2, v21
	s_waitcnt lgkmcnt(0)
	s_barrier
	s_and_saveexec_b64 s[0:1], vcc
	s_cbranch_execz .LBB571_19
; %bb.18:
	ds_read_b128 v[13:16], v17
	ds_read_b128 v[18:21], v17 offset:32
	s_waitcnt lgkmcnt(0)
	v_add_f64 v[13:14], v[18:19], v[13:14]
	v_add_f64 v[15:16], v[20:21], v[15:16]
	ds_write_b128 v17, v[13:16]
.LBB571_19:
	s_or_b64 exec, exec, s[0:1]
	v_mov_b32_e32 v16, v12
	v_mov_b32_e32 v14, v10
	v_cmp_gt_u32_e32 vcc, 28, v0
	v_mov_b32_e32 v15, v11
	v_mov_b32_e32 v13, v9
	s_waitcnt lgkmcnt(0)
	s_barrier
	s_and_saveexec_b64 s[0:1], vcc
	s_cbranch_execz .LBB571_21
; %bb.20:
	s_movk_i32 s2, 0x1b0
	v_mad_u32_u24 v18, v0, s2, v17
	ds_read_b128 v[13:16], v18
	ds_read_b128 v[18:21], v18 offset:16
	s_waitcnt lgkmcnt(0)
	v_add_f64 v[13:14], v[18:19], v[13:14]
	v_add_f64 v[15:16], v[20:21], v[15:16]
.LBB571_21:
	s_or_b64 exec, exec, s[0:1]
	s_branch .LBB571_34
.LBB571_22:
                                        ; implicit-def: $vgpr15_vgpr16
                                        ; implicit-def: $vgpr13_vgpr14
	s_cbranch_execz .LBB571_34
; %bb.23:
	s_movk_i32 s0, 0x150
	v_cmp_gt_u32_e32 vcc, s0, v0
	s_and_saveexec_b64 s[0:1], vcc
	s_cbranch_execz .LBB571_25
; %bb.24:
	ds_read_b128 v[13:16], v17 offset:7168
	ds_read_b128 v[18:21], v17
	s_waitcnt lgkmcnt(0)
	v_add_f64 v[13:14], v[13:14], v[18:19]
	v_add_f64 v[15:16], v[15:16], v[20:21]
	ds_write_b128 v17, v[13:16]
.LBB571_25:
	s_or_b64 exec, exec, s[0:1]
	s_movk_i32 s0, 0xe0
	v_cmp_gt_u32_e32 vcc, s0, v0
	s_waitcnt lgkmcnt(0)
	s_barrier
	s_and_saveexec_b64 s[0:1], vcc
	s_cbranch_execz .LBB571_27
; %bb.26:
	ds_read_b128 v[13:16], v17 offset:3584
	ds_read_b128 v[18:21], v17
	s_waitcnt lgkmcnt(0)
	v_add_f64 v[13:14], v[13:14], v[18:19]
	v_add_f64 v[15:16], v[15:16], v[20:21]
	ds_write_b128 v17, v[13:16]
.LBB571_27:
	s_or_b64 exec, exec, s[0:1]
	s_movk_i32 s0, 0x70
	v_cmp_gt_u32_e32 vcc, s0, v0
	s_waitcnt lgkmcnt(0)
	s_barrier
	s_and_saveexec_b64 s[0:1], vcc
	s_cbranch_execz .LBB571_29
; %bb.28:
	ds_read_b128 v[13:16], v17 offset:1792
	ds_read_b128 v[18:21], v17
	s_waitcnt lgkmcnt(0)
	v_add_f64 v[13:14], v[13:14], v[18:19]
	v_add_f64 v[15:16], v[15:16], v[20:21]
	ds_write_b128 v17, v[13:16]
.LBB571_29:
	s_or_b64 exec, exec, s[0:1]
	v_cmp_gt_u32_e32 vcc, 56, v0
	s_waitcnt lgkmcnt(0)
	s_barrier
	s_and_saveexec_b64 s[0:1], vcc
	s_cbranch_execz .LBB571_31
; %bb.30:
	ds_read_b128 v[13:16], v17 offset:896
	ds_read_b128 v[18:21], v17
	s_waitcnt lgkmcnt(0)
	v_add_f64 v[13:14], v[13:14], v[18:19]
	v_add_f64 v[15:16], v[15:16], v[20:21]
	ds_write_b128 v17, v[13:16]
.LBB571_31:
	s_or_b64 exec, exec, s[0:1]
	v_cmp_gt_u32_e32 vcc, 28, v0
	s_waitcnt lgkmcnt(0)
	s_and_saveexec_b64 s[0:1], vcc
	s_cbranch_execz .LBB571_33
; %bb.32:
	ds_read_b128 v[9:12], v17 offset:448
	ds_read_b128 v[13:16], v17
	s_waitcnt lgkmcnt(0)
	v_add_f64 v[9:10], v[9:10], v[13:14]
	v_add_f64 v[11:12], v[11:12], v[15:16]
.LBB571_33:
	s_or_b64 exec, exec, s[0:1]
	v_mov_b32_e32 v16, v12
	v_mov_b32_e32 v14, v10
	;; [unrolled: 1-line block ×4, first 2 shown]
.LBB571_34:
	v_cmp_gt_u32_e32 vcc, 28, v0
	s_and_b64 exec, exec, vcc
	s_cbranch_execz .LBB571_39
; %bb.35:
	v_mul_f64 v[9:10], v[15:16], -v[7:8]
	v_mul_f64 v[11:12], v[5:6], v[15:16]
	v_cmp_eq_f64_e32 vcc, 0, v[1:2]
	v_cmp_eq_f64_e64 s[0:1], 0, v[3:4]
	s_mul_i32 s2, s7, 0x1c0
	s_mul_hi_u32 s3, s6, 0x1c0
	s_mul_i32 s4, s6, 0x1c0
	v_fma_f64 v[5:6], v[5:6], v[13:14], v[9:10]
	v_fma_f64 v[7:8], v[7:8], v[13:14], v[11:12]
	s_and_b64 s[0:1], vcc, s[0:1]
	s_and_saveexec_b64 s[6:7], s[0:1]
	s_xor_b64 s[0:1], exec, s[6:7]
	s_cbranch_execz .LBB571_37
; %bb.36:
	s_add_i32 s5, s3, s2
	s_add_u32 s6, s12, s4
	s_addc_u32 s7, s13, s5
	global_store_dwordx4 v17, v[5:8], s[6:7]
                                        ; implicit-def: $vgpr17
                                        ; implicit-def: $vgpr1_vgpr2
                                        ; implicit-def: $vgpr5_vgpr6
.LBB571_37:
	s_andn2_saveexec_b64 s[0:1], s[0:1]
	s_cbranch_execz .LBB571_39
; %bb.38:
	s_add_i32 s3, s3, s2
	s_add_u32 s0, s12, s4
	s_addc_u32 s1, s13, s3
	global_load_dwordx4 v[9:12], v17, s[0:1]
	s_waitcnt vmcnt(0)
	v_fma_f64 v[5:6], v[1:2], v[9:10], v[5:6]
	v_fma_f64 v[7:8], v[3:4], v[9:10], v[7:8]
	v_fma_f64 v[3:4], -v[3:4], v[11:12], v[5:6]
	v_fma_f64 v[5:6], v[1:2], v[11:12], v[7:8]
	global_store_dwordx4 v17, v[3:6], s[0:1]
.LBB571_39:
	s_endpgm
	.section	.rodata,"a",@progbits
	.p2align	6, 0x0
	.amdhsa_kernel _ZN9rocsparseL20bsrxmvn_17_32_kernelILj28E21rocsparse_complex_numIdEllS1_IfES2_S2_EEvT2_20rocsparse_direction_NS_24const_host_device_scalarIT0_EES4_PKS4_PKT1_SD_SA_PKT3_PKT4_S8_PT5_21rocsparse_index_base_b
		.amdhsa_group_segment_fixed_size 12544
		.amdhsa_private_segment_fixed_size 0
		.amdhsa_kernarg_size 120
		.amdhsa_user_sgpr_count 6
		.amdhsa_user_sgpr_private_segment_buffer 1
		.amdhsa_user_sgpr_dispatch_ptr 0
		.amdhsa_user_sgpr_queue_ptr 0
		.amdhsa_user_sgpr_kernarg_segment_ptr 1
		.amdhsa_user_sgpr_dispatch_id 0
		.amdhsa_user_sgpr_flat_scratch_init 0
		.amdhsa_user_sgpr_private_segment_size 0
		.amdhsa_uses_dynamic_stack 0
		.amdhsa_system_sgpr_private_segment_wavefront_offset 0
		.amdhsa_system_sgpr_workgroup_id_x 1
		.amdhsa_system_sgpr_workgroup_id_y 0
		.amdhsa_system_sgpr_workgroup_id_z 0
		.amdhsa_system_sgpr_workgroup_info 0
		.amdhsa_system_vgpr_workitem_id 0
		.amdhsa_next_free_vgpr 31
		.amdhsa_next_free_sgpr 22
		.amdhsa_reserve_vcc 1
		.amdhsa_reserve_flat_scratch 0
		.amdhsa_float_round_mode_32 0
		.amdhsa_float_round_mode_16_64 0
		.amdhsa_float_denorm_mode_32 3
		.amdhsa_float_denorm_mode_16_64 3
		.amdhsa_dx10_clamp 1
		.amdhsa_ieee_mode 1
		.amdhsa_fp16_overflow 0
		.amdhsa_exception_fp_ieee_invalid_op 0
		.amdhsa_exception_fp_denorm_src 0
		.amdhsa_exception_fp_ieee_div_zero 0
		.amdhsa_exception_fp_ieee_overflow 0
		.amdhsa_exception_fp_ieee_underflow 0
		.amdhsa_exception_fp_ieee_inexact 0
		.amdhsa_exception_int_div_zero 0
	.end_amdhsa_kernel
	.section	.text._ZN9rocsparseL20bsrxmvn_17_32_kernelILj28E21rocsparse_complex_numIdEllS1_IfES2_S2_EEvT2_20rocsparse_direction_NS_24const_host_device_scalarIT0_EES4_PKS4_PKT1_SD_SA_PKT3_PKT4_S8_PT5_21rocsparse_index_base_b,"axG",@progbits,_ZN9rocsparseL20bsrxmvn_17_32_kernelILj28E21rocsparse_complex_numIdEllS1_IfES2_S2_EEvT2_20rocsparse_direction_NS_24const_host_device_scalarIT0_EES4_PKS4_PKT1_SD_SA_PKT3_PKT4_S8_PT5_21rocsparse_index_base_b,comdat
.Lfunc_end571:
	.size	_ZN9rocsparseL20bsrxmvn_17_32_kernelILj28E21rocsparse_complex_numIdEllS1_IfES2_S2_EEvT2_20rocsparse_direction_NS_24const_host_device_scalarIT0_EES4_PKS4_PKT1_SD_SA_PKT3_PKT4_S8_PT5_21rocsparse_index_base_b, .Lfunc_end571-_ZN9rocsparseL20bsrxmvn_17_32_kernelILj28E21rocsparse_complex_numIdEllS1_IfES2_S2_EEvT2_20rocsparse_direction_NS_24const_host_device_scalarIT0_EES4_PKS4_PKT1_SD_SA_PKT3_PKT4_S8_PT5_21rocsparse_index_base_b
                                        ; -- End function
	.set _ZN9rocsparseL20bsrxmvn_17_32_kernelILj28E21rocsparse_complex_numIdEllS1_IfES2_S2_EEvT2_20rocsparse_direction_NS_24const_host_device_scalarIT0_EES4_PKS4_PKT1_SD_SA_PKT3_PKT4_S8_PT5_21rocsparse_index_base_b.num_vgpr, 31
	.set _ZN9rocsparseL20bsrxmvn_17_32_kernelILj28E21rocsparse_complex_numIdEllS1_IfES2_S2_EEvT2_20rocsparse_direction_NS_24const_host_device_scalarIT0_EES4_PKS4_PKT1_SD_SA_PKT3_PKT4_S8_PT5_21rocsparse_index_base_b.num_agpr, 0
	.set _ZN9rocsparseL20bsrxmvn_17_32_kernelILj28E21rocsparse_complex_numIdEllS1_IfES2_S2_EEvT2_20rocsparse_direction_NS_24const_host_device_scalarIT0_EES4_PKS4_PKT1_SD_SA_PKT3_PKT4_S8_PT5_21rocsparse_index_base_b.numbered_sgpr, 22
	.set _ZN9rocsparseL20bsrxmvn_17_32_kernelILj28E21rocsparse_complex_numIdEllS1_IfES2_S2_EEvT2_20rocsparse_direction_NS_24const_host_device_scalarIT0_EES4_PKS4_PKT1_SD_SA_PKT3_PKT4_S8_PT5_21rocsparse_index_base_b.num_named_barrier, 0
	.set _ZN9rocsparseL20bsrxmvn_17_32_kernelILj28E21rocsparse_complex_numIdEllS1_IfES2_S2_EEvT2_20rocsparse_direction_NS_24const_host_device_scalarIT0_EES4_PKS4_PKT1_SD_SA_PKT3_PKT4_S8_PT5_21rocsparse_index_base_b.private_seg_size, 0
	.set _ZN9rocsparseL20bsrxmvn_17_32_kernelILj28E21rocsparse_complex_numIdEllS1_IfES2_S2_EEvT2_20rocsparse_direction_NS_24const_host_device_scalarIT0_EES4_PKS4_PKT1_SD_SA_PKT3_PKT4_S8_PT5_21rocsparse_index_base_b.uses_vcc, 1
	.set _ZN9rocsparseL20bsrxmvn_17_32_kernelILj28E21rocsparse_complex_numIdEllS1_IfES2_S2_EEvT2_20rocsparse_direction_NS_24const_host_device_scalarIT0_EES4_PKS4_PKT1_SD_SA_PKT3_PKT4_S8_PT5_21rocsparse_index_base_b.uses_flat_scratch, 0
	.set _ZN9rocsparseL20bsrxmvn_17_32_kernelILj28E21rocsparse_complex_numIdEllS1_IfES2_S2_EEvT2_20rocsparse_direction_NS_24const_host_device_scalarIT0_EES4_PKS4_PKT1_SD_SA_PKT3_PKT4_S8_PT5_21rocsparse_index_base_b.has_dyn_sized_stack, 0
	.set _ZN9rocsparseL20bsrxmvn_17_32_kernelILj28E21rocsparse_complex_numIdEllS1_IfES2_S2_EEvT2_20rocsparse_direction_NS_24const_host_device_scalarIT0_EES4_PKS4_PKT1_SD_SA_PKT3_PKT4_S8_PT5_21rocsparse_index_base_b.has_recursion, 0
	.set _ZN9rocsparseL20bsrxmvn_17_32_kernelILj28E21rocsparse_complex_numIdEllS1_IfES2_S2_EEvT2_20rocsparse_direction_NS_24const_host_device_scalarIT0_EES4_PKS4_PKT1_SD_SA_PKT3_PKT4_S8_PT5_21rocsparse_index_base_b.has_indirect_call, 0
	.section	.AMDGPU.csdata,"",@progbits
; Kernel info:
; codeLenInByte = 1736
; TotalNumSgprs: 26
; NumVgprs: 31
; ScratchSize: 0
; MemoryBound: 0
; FloatMode: 240
; IeeeMode: 1
; LDSByteSize: 12544 bytes/workgroup (compile time only)
; SGPRBlocks: 3
; VGPRBlocks: 7
; NumSGPRsForWavesPerEU: 26
; NumVGPRsForWavesPerEU: 31
; Occupancy: 8
; WaveLimiterHint : 1
; COMPUTE_PGM_RSRC2:SCRATCH_EN: 0
; COMPUTE_PGM_RSRC2:USER_SGPR: 6
; COMPUTE_PGM_RSRC2:TRAP_HANDLER: 0
; COMPUTE_PGM_RSRC2:TGID_X_EN: 1
; COMPUTE_PGM_RSRC2:TGID_Y_EN: 0
; COMPUTE_PGM_RSRC2:TGID_Z_EN: 0
; COMPUTE_PGM_RSRC2:TIDIG_COMP_CNT: 0
	.section	.text._ZN9rocsparseL20bsrxmvn_17_32_kernelILj29E21rocsparse_complex_numIdEllS1_IfES2_S2_EEvT2_20rocsparse_direction_NS_24const_host_device_scalarIT0_EES4_PKS4_PKT1_SD_SA_PKT3_PKT4_S8_PT5_21rocsparse_index_base_b,"axG",@progbits,_ZN9rocsparseL20bsrxmvn_17_32_kernelILj29E21rocsparse_complex_numIdEllS1_IfES2_S2_EEvT2_20rocsparse_direction_NS_24const_host_device_scalarIT0_EES4_PKS4_PKT1_SD_SA_PKT3_PKT4_S8_PT5_21rocsparse_index_base_b,comdat
	.globl	_ZN9rocsparseL20bsrxmvn_17_32_kernelILj29E21rocsparse_complex_numIdEllS1_IfES2_S2_EEvT2_20rocsparse_direction_NS_24const_host_device_scalarIT0_EES4_PKS4_PKT1_SD_SA_PKT3_PKT4_S8_PT5_21rocsparse_index_base_b ; -- Begin function _ZN9rocsparseL20bsrxmvn_17_32_kernelILj29E21rocsparse_complex_numIdEllS1_IfES2_S2_EEvT2_20rocsparse_direction_NS_24const_host_device_scalarIT0_EES4_PKS4_PKT1_SD_SA_PKT3_PKT4_S8_PT5_21rocsparse_index_base_b
	.p2align	8
	.type	_ZN9rocsparseL20bsrxmvn_17_32_kernelILj29E21rocsparse_complex_numIdEllS1_IfES2_S2_EEvT2_20rocsparse_direction_NS_24const_host_device_scalarIT0_EES4_PKS4_PKT1_SD_SA_PKT3_PKT4_S8_PT5_21rocsparse_index_base_b,@function
_ZN9rocsparseL20bsrxmvn_17_32_kernelILj29E21rocsparse_complex_numIdEllS1_IfES2_S2_EEvT2_20rocsparse_direction_NS_24const_host_device_scalarIT0_EES4_PKS4_PKT1_SD_SA_PKT3_PKT4_S8_PT5_21rocsparse_index_base_b: ; @_ZN9rocsparseL20bsrxmvn_17_32_kernelILj29E21rocsparse_complex_numIdEllS1_IfES2_S2_EEvT2_20rocsparse_direction_NS_24const_host_device_scalarIT0_EES4_PKS4_PKT1_SD_SA_PKT3_PKT4_S8_PT5_21rocsparse_index_base_b
; %bb.0:
	s_load_dwordx2 s[0:1], s[4:5], 0x10
	s_load_dwordx2 s[14:15], s[4:5], 0x70
	s_add_u32 s7, s4, 16
	s_addc_u32 s8, s5, 0
	s_add_u32 s9, s4, 0x58
	s_addc_u32 s10, s5, 0
	s_waitcnt lgkmcnt(0)
	s_bitcmp1_b32 s15, 0
	s_cselect_b32 s1, s8, s1
	s_cselect_b32 s0, s7, s0
	v_mov_b32_e32 v1, s0
	v_mov_b32_e32 v2, s1
	flat_load_dwordx4 v[5:8], v[1:2]
	s_load_dwordx2 s[2:3], s[4:5], 0x58
	s_waitcnt lgkmcnt(0)
	s_cselect_b32 s0, s10, s3
	s_cselect_b32 s1, s9, s2
	v_mov_b32_e32 v1, s1
	v_mov_b32_e32 v2, s0
	flat_load_dwordx4 v[1:4], v[1:2]
	s_waitcnt vmcnt(0)
	v_cmp_eq_f64_e32 vcc, 0, v[5:6]
	v_cmp_eq_f64_e64 s[0:1], 0, v[7:8]
	s_and_b64 s[8:9], vcc, s[0:1]
	s_mov_b64 s[0:1], -1
	s_and_saveexec_b64 s[2:3], s[8:9]
	s_cbranch_execz .LBB572_2
; %bb.1:
	s_waitcnt lgkmcnt(0)
	v_cmp_neq_f64_e32 vcc, 1.0, v[1:2]
	v_cmp_neq_f64_e64 s[0:1], 0, v[3:4]
	s_or_b64 s[0:1], vcc, s[0:1]
	s_orn2_b64 s[0:1], s[0:1], exec
.LBB572_2:
	s_or_b64 exec, exec, s[2:3]
	s_and_saveexec_b64 s[2:3], s[0:1]
	s_cbranch_execz .LBB572_39
; %bb.3:
	s_load_dwordx4 s[0:3], s[4:5], 0x28
	s_load_dwordx2 s[8:9], s[4:5], 0x38
	s_mov_b32 s7, 0
	s_waitcnt lgkmcnt(0)
	s_cmp_eq_u64 s[0:1], 0
	s_cbranch_scc1 .LBB572_5
; %bb.4:
	s_lshl_b64 s[6:7], s[6:7], 3
	s_add_u32 s0, s0, s6
	s_addc_u32 s1, s1, s7
	s_load_dwordx2 s[0:1], s[0:1], 0x0
	s_waitcnt lgkmcnt(0)
	s_sub_u32 s6, s0, s14
	s_subb_u32 s7, s1, 0
.LBB572_5:
	s_load_dword s10, s[4:5], 0x8
	s_load_dwordx2 s[12:13], s[4:5], 0x68
	v_mul_u32_u24_e32 v14, 0x8d4, v0
	v_mov_b32_e32 v9, 29
	v_mul_lo_u16_sdwa v9, v14, v9 dst_sel:DWORD dst_unused:UNUSED_PAD src0_sel:WORD_1 src1_sel:DWORD
	s_waitcnt lgkmcnt(0)
	s_cmp_eq_u32 s10, 1
	s_cselect_b64 s[0:1], -1, 0
	s_cmp_lg_u32 s10, 1
	s_cselect_b64 s[16:17], -1, 0
	s_lshl_b64 s[10:11], s[6:7], 3
	s_add_u32 s20, s2, s10
	s_addc_u32 s21, s3, s11
	s_add_u32 s2, s20, 8
	s_addc_u32 s3, s21, 0
	;; [unrolled: 2-line block ×3, first 2 shown]
	s_cmp_eq_u64 s[8:9], 0
	s_cselect_b32 s9, s3, s11
	s_cselect_b32 s8, s2, s10
	s_load_dwordx2 s[2:3], s[8:9], 0x0
	s_load_dwordx2 s[18:19], s[20:21], 0x0
	v_sub_u16_e32 v21, v0, v9
	v_mov_b32_e32 v11, 0
	v_mov_b32_e32 v13, 0
	s_waitcnt lgkmcnt(0)
	v_mov_b32_e32 v10, s3
	v_mov_b32_e32 v9, s2
	v_cmp_ge_i64_e32 vcc, s[18:19], v[9:10]
	v_mov_b32_e32 v9, 0
	v_mov_b32_e32 v12, 0
	v_mov_b32_e32 v10, 0
	s_cbranch_vccnz .LBB572_10
; %bb.6:
	s_load_dwordx2 s[20:21], s[4:5], 0x50
	s_load_dwordx4 s[8:11], s[4:5], 0x40
	s_mov_b32 s4, 0xffff
	s_movk_i32 s5, 0x349
	v_and_b32_sdwa v9, s4, v14 dst_sel:DWORD dst_unused:UNUSED_PAD src0_sel:DWORD src1_sel:WORD_1
	s_sub_u32 s2, s2, s14
	v_subrev_u32_e32 v10, 29, v9
	v_cmp_gt_u32_e32 vcc, s5, v0
	s_subb_u32 s3, s3, 0
	v_cndmask_b32_e32 v9, v10, v9, vcc
	s_sub_u32 s4, s18, s14
	v_cndmask_b32_e64 v12, v21, v9, s[0:1]
	s_subb_u32 s5, s19, 0
	v_lshlrev_b64 v[9:10], 4, v[12:13]
	s_mul_i32 s0, s5, 0x1a48
	s_mul_hi_u32 s1, s4, 0x1a48
	s_add_i32 s1, s1, s0
	s_mul_i32 s0, s4, 0x1a48
	s_waitcnt lgkmcnt(0)
	v_mov_b32_e32 v11, s21
	v_add_co_u32_e32 v13, vcc, s20, v9
	s_add_u32 s0, s10, s0
	v_addc_co_u32_e32 v14, vcc, v11, v10, vcc
	s_addc_u32 s1, s11, s1
	v_lshlrev_b32_e32 v9, 3, v0
	v_mov_b32_e32 v10, s1
	v_add_co_u32_e32 v15, vcc, s0, v9
	v_addc_co_u32_e32 v16, vcc, 0, v10, vcc
	s_movk_i32 s0, 0x348
	v_cmp_lt_u32_e32 vcc, s0, v0
	v_cndmask_b32_e64 v22, 0, 1, vcc
	v_mov_b32_e32 v9, s19
	v_add_co_u32_e32 v10, vcc, s18, v22
	v_addc_co_u32_e32 v11, vcc, 0, v9, vcc
	v_subrev_co_u32_e32 v9, vcc, s14, v10
	v_subbrev_co_u32_e32 v10, vcc, 0, v11, vcc
	v_lshlrev_b64 v[9:10], 3, v[9:10]
	v_mov_b32_e32 v11, s9
	v_add_co_u32_e32 v17, vcc, s8, v9
	v_addc_co_u32_e32 v18, vcc, v11, v10, vcc
	v_mov_b32_e32 v11, 0
	v_mov_b32_e32 v12, 0
	;; [unrolled: 1-line block ×4, first 2 shown]
	s_movk_i32 s8, 0x1d0
	v_mov_b32_e32 v19, s2
	v_mov_b32_e32 v10, v12
	s_branch .LBB572_8
.LBB572_7:                              ;   in Loop: Header=BB572_8 Depth=1
	s_or_b64 exec, exec, s[0:1]
	s_add_u32 s4, s4, 1
	s_addc_u32 s5, s5, 0
	v_cmp_lt_i64_e32 vcc, s[4:5], v[19:20]
	v_add_co_u32_e64 v17, s[0:1], 8, v17
	v_addc_co_u32_e64 v18, s[0:1], 0, v18, s[0:1]
	s_cbranch_vccz .LBB572_10
.LBB572_8:                              ; =>This Inner Loop Header: Depth=1
	v_mov_b32_e32 v24, s5
	v_add_co_u32_e32 v23, vcc, s4, v22
	v_addc_co_u32_e32 v24, vcc, 0, v24, vcc
	v_cmp_gt_i64_e32 vcc, s[2:3], v[23:24]
	s_and_saveexec_b64 s[0:1], vcc
	s_cbranch_execz .LBB572_7
; %bb.9:                                ;   in Loop: Header=BB572_8 Depth=1
	global_load_dwordx2 v[23:24], v[17:18], off
	s_waitcnt vmcnt(0)
	v_subrev_co_u32_e32 v23, vcc, s14, v23
	v_subbrev_co_u32_e32 v25, vcc, 0, v24, vcc
	v_mad_u64_u32 v[23:24], s[10:11], v23, s8, v[13:14]
	v_mad_u64_u32 v[24:25], s[10:11], v25, s8, v[24:25]
	global_load_dwordx2 v[27:28], v[15:16], off
	s_nop 0
	global_load_dwordx4 v[23:26], v[23:24], off
	v_add_co_u32_e32 v15, vcc, 0x1a48, v15
	v_addc_co_u32_e32 v16, vcc, 0, v16, vcc
	s_waitcnt vmcnt(1)
	v_cvt_f64_f32_e32 v[29:30], v27
	v_cvt_f64_f32_e32 v[27:28], v28
	s_waitcnt vmcnt(0)
	v_fma_f64 v[9:10], v[29:30], v[23:24], v[9:10]
	v_fma_f64 v[11:12], v[27:28], v[23:24], v[11:12]
	v_fma_f64 v[9:10], -v[27:28], v[25:26], v[9:10]
	v_fma_f64 v[11:12], v[29:30], v[25:26], v[11:12]
	s_branch .LBB572_7
.LBB572_10:
	v_lshlrev_b32_e32 v17, 4, v0
	s_and_b64 vcc, exec, s[16:17]
	ds_write_b128 v17, v[9:12]
	s_waitcnt lgkmcnt(0)
	s_barrier
	s_cbranch_vccz .LBB572_22
; %bb.11:
	v_cmp_gt_u16_e32 vcc, 13, v21
	s_and_saveexec_b64 s[0:1], vcc
	s_cbranch_execz .LBB572_13
; %bb.12:
	ds_read_b128 v[13:16], v17 offset:256
	ds_read_b128 v[22:25], v17
	s_waitcnt lgkmcnt(0)
	v_add_f64 v[13:14], v[13:14], v[22:23]
	v_add_f64 v[15:16], v[15:16], v[24:25]
	ds_write_b128 v17, v[13:16]
.LBB572_13:
	s_or_b64 exec, exec, s[0:1]
	v_cmp_gt_u16_e32 vcc, 8, v21
	s_waitcnt lgkmcnt(0)
	s_barrier
	s_and_saveexec_b64 s[0:1], vcc
	s_cbranch_execz .LBB572_15
; %bb.14:
	ds_read_b128 v[13:16], v17 offset:128
	ds_read_b128 v[22:25], v17
	s_waitcnt lgkmcnt(0)
	v_add_f64 v[13:14], v[13:14], v[22:23]
	v_add_f64 v[15:16], v[15:16], v[24:25]
	ds_write_b128 v17, v[13:16]
.LBB572_15:
	s_or_b64 exec, exec, s[0:1]
	v_cmp_gt_u16_e32 vcc, 4, v21
	s_waitcnt lgkmcnt(0)
	s_barrier
	;; [unrolled: 14-line block ×3, first 2 shown]
	s_and_saveexec_b64 s[0:1], vcc
	s_cbranch_execz .LBB572_19
; %bb.18:
	ds_read_b128 v[13:16], v17
	ds_read_b128 v[18:21], v17 offset:32
	s_waitcnt lgkmcnt(0)
	v_add_f64 v[13:14], v[18:19], v[13:14]
	v_add_f64 v[15:16], v[20:21], v[15:16]
	ds_write_b128 v17, v[13:16]
.LBB572_19:
	s_or_b64 exec, exec, s[0:1]
	v_mov_b32_e32 v16, v12
	v_mov_b32_e32 v14, v10
	v_cmp_gt_u32_e32 vcc, 29, v0
	v_mov_b32_e32 v15, v11
	v_mov_b32_e32 v13, v9
	s_waitcnt lgkmcnt(0)
	s_barrier
	s_and_saveexec_b64 s[0:1], vcc
	s_cbranch_execz .LBB572_21
; %bb.20:
	s_movk_i32 s2, 0x1c0
	v_mad_u32_u24 v18, v0, s2, v17
	ds_read_b128 v[13:16], v18
	ds_read_b128 v[18:21], v18 offset:16
	s_waitcnt lgkmcnt(0)
	v_add_f64 v[13:14], v[18:19], v[13:14]
	v_add_f64 v[15:16], v[20:21], v[15:16]
.LBB572_21:
	s_or_b64 exec, exec, s[0:1]
	s_branch .LBB572_34
.LBB572_22:
                                        ; implicit-def: $vgpr15_vgpr16
                                        ; implicit-def: $vgpr13_vgpr14
	s_cbranch_execz .LBB572_34
; %bb.23:
	s_movk_i32 s0, 0x179
	v_cmp_gt_u32_e32 vcc, s0, v0
	s_and_saveexec_b64 s[0:1], vcc
	s_cbranch_execz .LBB572_25
; %bb.24:
	ds_read_b128 v[13:16], v17 offset:7424
	ds_read_b128 v[18:21], v17
	s_waitcnt lgkmcnt(0)
	v_add_f64 v[13:14], v[13:14], v[18:19]
	v_add_f64 v[15:16], v[15:16], v[20:21]
	ds_write_b128 v17, v[13:16]
.LBB572_25:
	s_or_b64 exec, exec, s[0:1]
	s_movk_i32 s0, 0xe8
	v_cmp_gt_u32_e32 vcc, s0, v0
	s_waitcnt lgkmcnt(0)
	s_barrier
	s_and_saveexec_b64 s[0:1], vcc
	s_cbranch_execz .LBB572_27
; %bb.26:
	ds_read_b128 v[13:16], v17 offset:3712
	ds_read_b128 v[18:21], v17
	s_waitcnt lgkmcnt(0)
	v_add_f64 v[13:14], v[13:14], v[18:19]
	v_add_f64 v[15:16], v[15:16], v[20:21]
	ds_write_b128 v17, v[13:16]
.LBB572_27:
	s_or_b64 exec, exec, s[0:1]
	s_movk_i32 s0, 0x74
	v_cmp_gt_u32_e32 vcc, s0, v0
	s_waitcnt lgkmcnt(0)
	s_barrier
	s_and_saveexec_b64 s[0:1], vcc
	s_cbranch_execz .LBB572_29
; %bb.28:
	ds_read_b128 v[13:16], v17 offset:1856
	ds_read_b128 v[18:21], v17
	s_waitcnt lgkmcnt(0)
	v_add_f64 v[13:14], v[13:14], v[18:19]
	v_add_f64 v[15:16], v[15:16], v[20:21]
	ds_write_b128 v17, v[13:16]
.LBB572_29:
	s_or_b64 exec, exec, s[0:1]
	v_cmp_gt_u32_e32 vcc, 58, v0
	s_waitcnt lgkmcnt(0)
	s_barrier
	s_and_saveexec_b64 s[0:1], vcc
	s_cbranch_execz .LBB572_31
; %bb.30:
	ds_read_b128 v[13:16], v17 offset:928
	ds_read_b128 v[18:21], v17
	s_waitcnt lgkmcnt(0)
	v_add_f64 v[13:14], v[13:14], v[18:19]
	v_add_f64 v[15:16], v[15:16], v[20:21]
	ds_write_b128 v17, v[13:16]
.LBB572_31:
	s_or_b64 exec, exec, s[0:1]
	v_cmp_gt_u32_e32 vcc, 29, v0
	s_waitcnt lgkmcnt(0)
	s_and_saveexec_b64 s[0:1], vcc
	s_cbranch_execz .LBB572_33
; %bb.32:
	ds_read_b128 v[9:12], v17 offset:464
	ds_read_b128 v[13:16], v17
	s_waitcnt lgkmcnt(0)
	v_add_f64 v[9:10], v[9:10], v[13:14]
	v_add_f64 v[11:12], v[11:12], v[15:16]
.LBB572_33:
	s_or_b64 exec, exec, s[0:1]
	v_mov_b32_e32 v16, v12
	v_mov_b32_e32 v14, v10
	;; [unrolled: 1-line block ×4, first 2 shown]
.LBB572_34:
	v_cmp_gt_u32_e32 vcc, 29, v0
	s_and_b64 exec, exec, vcc
	s_cbranch_execz .LBB572_39
; %bb.35:
	v_mul_f64 v[9:10], v[15:16], -v[7:8]
	v_mul_f64 v[11:12], v[5:6], v[15:16]
	v_cmp_eq_f64_e32 vcc, 0, v[1:2]
	v_cmp_eq_f64_e64 s[0:1], 0, v[3:4]
	s_mul_i32 s2, s7, 0x1d0
	s_mul_hi_u32 s3, s6, 0x1d0
	s_mul_i32 s4, s6, 0x1d0
	v_fma_f64 v[5:6], v[5:6], v[13:14], v[9:10]
	v_fma_f64 v[7:8], v[7:8], v[13:14], v[11:12]
	s_and_b64 s[0:1], vcc, s[0:1]
	s_and_saveexec_b64 s[6:7], s[0:1]
	s_xor_b64 s[0:1], exec, s[6:7]
	s_cbranch_execz .LBB572_37
; %bb.36:
	s_add_i32 s5, s3, s2
	s_add_u32 s6, s12, s4
	s_addc_u32 s7, s13, s5
	global_store_dwordx4 v17, v[5:8], s[6:7]
                                        ; implicit-def: $vgpr17
                                        ; implicit-def: $vgpr1_vgpr2
                                        ; implicit-def: $vgpr5_vgpr6
.LBB572_37:
	s_andn2_saveexec_b64 s[0:1], s[0:1]
	s_cbranch_execz .LBB572_39
; %bb.38:
	s_add_i32 s3, s3, s2
	s_add_u32 s0, s12, s4
	s_addc_u32 s1, s13, s3
	global_load_dwordx4 v[9:12], v17, s[0:1]
	s_waitcnt vmcnt(0)
	v_fma_f64 v[5:6], v[1:2], v[9:10], v[5:6]
	v_fma_f64 v[7:8], v[3:4], v[9:10], v[7:8]
	v_fma_f64 v[3:4], -v[3:4], v[11:12], v[5:6]
	v_fma_f64 v[5:6], v[1:2], v[11:12], v[7:8]
	global_store_dwordx4 v17, v[3:6], s[0:1]
.LBB572_39:
	s_endpgm
	.section	.rodata,"a",@progbits
	.p2align	6, 0x0
	.amdhsa_kernel _ZN9rocsparseL20bsrxmvn_17_32_kernelILj29E21rocsparse_complex_numIdEllS1_IfES2_S2_EEvT2_20rocsparse_direction_NS_24const_host_device_scalarIT0_EES4_PKS4_PKT1_SD_SA_PKT3_PKT4_S8_PT5_21rocsparse_index_base_b
		.amdhsa_group_segment_fixed_size 13456
		.amdhsa_private_segment_fixed_size 0
		.amdhsa_kernarg_size 120
		.amdhsa_user_sgpr_count 6
		.amdhsa_user_sgpr_private_segment_buffer 1
		.amdhsa_user_sgpr_dispatch_ptr 0
		.amdhsa_user_sgpr_queue_ptr 0
		.amdhsa_user_sgpr_kernarg_segment_ptr 1
		.amdhsa_user_sgpr_dispatch_id 0
		.amdhsa_user_sgpr_flat_scratch_init 0
		.amdhsa_user_sgpr_private_segment_size 0
		.amdhsa_uses_dynamic_stack 0
		.amdhsa_system_sgpr_private_segment_wavefront_offset 0
		.amdhsa_system_sgpr_workgroup_id_x 1
		.amdhsa_system_sgpr_workgroup_id_y 0
		.amdhsa_system_sgpr_workgroup_id_z 0
		.amdhsa_system_sgpr_workgroup_info 0
		.amdhsa_system_vgpr_workitem_id 0
		.amdhsa_next_free_vgpr 33
		.amdhsa_next_free_sgpr 77
		.amdhsa_reserve_vcc 1
		.amdhsa_reserve_flat_scratch 0
		.amdhsa_float_round_mode_32 0
		.amdhsa_float_round_mode_16_64 0
		.amdhsa_float_denorm_mode_32 3
		.amdhsa_float_denorm_mode_16_64 3
		.amdhsa_dx10_clamp 1
		.amdhsa_ieee_mode 1
		.amdhsa_fp16_overflow 0
		.amdhsa_exception_fp_ieee_invalid_op 0
		.amdhsa_exception_fp_denorm_src 0
		.amdhsa_exception_fp_ieee_div_zero 0
		.amdhsa_exception_fp_ieee_overflow 0
		.amdhsa_exception_fp_ieee_underflow 0
		.amdhsa_exception_fp_ieee_inexact 0
		.amdhsa_exception_int_div_zero 0
	.end_amdhsa_kernel
	.section	.text._ZN9rocsparseL20bsrxmvn_17_32_kernelILj29E21rocsparse_complex_numIdEllS1_IfES2_S2_EEvT2_20rocsparse_direction_NS_24const_host_device_scalarIT0_EES4_PKS4_PKT1_SD_SA_PKT3_PKT4_S8_PT5_21rocsparse_index_base_b,"axG",@progbits,_ZN9rocsparseL20bsrxmvn_17_32_kernelILj29E21rocsparse_complex_numIdEllS1_IfES2_S2_EEvT2_20rocsparse_direction_NS_24const_host_device_scalarIT0_EES4_PKS4_PKT1_SD_SA_PKT3_PKT4_S8_PT5_21rocsparse_index_base_b,comdat
.Lfunc_end572:
	.size	_ZN9rocsparseL20bsrxmvn_17_32_kernelILj29E21rocsparse_complex_numIdEllS1_IfES2_S2_EEvT2_20rocsparse_direction_NS_24const_host_device_scalarIT0_EES4_PKS4_PKT1_SD_SA_PKT3_PKT4_S8_PT5_21rocsparse_index_base_b, .Lfunc_end572-_ZN9rocsparseL20bsrxmvn_17_32_kernelILj29E21rocsparse_complex_numIdEllS1_IfES2_S2_EEvT2_20rocsparse_direction_NS_24const_host_device_scalarIT0_EES4_PKS4_PKT1_SD_SA_PKT3_PKT4_S8_PT5_21rocsparse_index_base_b
                                        ; -- End function
	.set _ZN9rocsparseL20bsrxmvn_17_32_kernelILj29E21rocsparse_complex_numIdEllS1_IfES2_S2_EEvT2_20rocsparse_direction_NS_24const_host_device_scalarIT0_EES4_PKS4_PKT1_SD_SA_PKT3_PKT4_S8_PT5_21rocsparse_index_base_b.num_vgpr, 31
	.set _ZN9rocsparseL20bsrxmvn_17_32_kernelILj29E21rocsparse_complex_numIdEllS1_IfES2_S2_EEvT2_20rocsparse_direction_NS_24const_host_device_scalarIT0_EES4_PKS4_PKT1_SD_SA_PKT3_PKT4_S8_PT5_21rocsparse_index_base_b.num_agpr, 0
	.set _ZN9rocsparseL20bsrxmvn_17_32_kernelILj29E21rocsparse_complex_numIdEllS1_IfES2_S2_EEvT2_20rocsparse_direction_NS_24const_host_device_scalarIT0_EES4_PKS4_PKT1_SD_SA_PKT3_PKT4_S8_PT5_21rocsparse_index_base_b.numbered_sgpr, 22
	.set _ZN9rocsparseL20bsrxmvn_17_32_kernelILj29E21rocsparse_complex_numIdEllS1_IfES2_S2_EEvT2_20rocsparse_direction_NS_24const_host_device_scalarIT0_EES4_PKS4_PKT1_SD_SA_PKT3_PKT4_S8_PT5_21rocsparse_index_base_b.num_named_barrier, 0
	.set _ZN9rocsparseL20bsrxmvn_17_32_kernelILj29E21rocsparse_complex_numIdEllS1_IfES2_S2_EEvT2_20rocsparse_direction_NS_24const_host_device_scalarIT0_EES4_PKS4_PKT1_SD_SA_PKT3_PKT4_S8_PT5_21rocsparse_index_base_b.private_seg_size, 0
	.set _ZN9rocsparseL20bsrxmvn_17_32_kernelILj29E21rocsparse_complex_numIdEllS1_IfES2_S2_EEvT2_20rocsparse_direction_NS_24const_host_device_scalarIT0_EES4_PKS4_PKT1_SD_SA_PKT3_PKT4_S8_PT5_21rocsparse_index_base_b.uses_vcc, 1
	.set _ZN9rocsparseL20bsrxmvn_17_32_kernelILj29E21rocsparse_complex_numIdEllS1_IfES2_S2_EEvT2_20rocsparse_direction_NS_24const_host_device_scalarIT0_EES4_PKS4_PKT1_SD_SA_PKT3_PKT4_S8_PT5_21rocsparse_index_base_b.uses_flat_scratch, 0
	.set _ZN9rocsparseL20bsrxmvn_17_32_kernelILj29E21rocsparse_complex_numIdEllS1_IfES2_S2_EEvT2_20rocsparse_direction_NS_24const_host_device_scalarIT0_EES4_PKS4_PKT1_SD_SA_PKT3_PKT4_S8_PT5_21rocsparse_index_base_b.has_dyn_sized_stack, 0
	.set _ZN9rocsparseL20bsrxmvn_17_32_kernelILj29E21rocsparse_complex_numIdEllS1_IfES2_S2_EEvT2_20rocsparse_direction_NS_24const_host_device_scalarIT0_EES4_PKS4_PKT1_SD_SA_PKT3_PKT4_S8_PT5_21rocsparse_index_base_b.has_recursion, 0
	.set _ZN9rocsparseL20bsrxmvn_17_32_kernelILj29E21rocsparse_complex_numIdEllS1_IfES2_S2_EEvT2_20rocsparse_direction_NS_24const_host_device_scalarIT0_EES4_PKS4_PKT1_SD_SA_PKT3_PKT4_S8_PT5_21rocsparse_index_base_b.has_indirect_call, 0
	.section	.AMDGPU.csdata,"",@progbits
; Kernel info:
; codeLenInByte = 1736
; TotalNumSgprs: 26
; NumVgprs: 31
; ScratchSize: 0
; MemoryBound: 0
; FloatMode: 240
; IeeeMode: 1
; LDSByteSize: 13456 bytes/workgroup (compile time only)
; SGPRBlocks: 10
; VGPRBlocks: 8
; NumSGPRsForWavesPerEU: 81
; NumVGPRsForWavesPerEU: 33
; Occupancy: 7
; WaveLimiterHint : 1
; COMPUTE_PGM_RSRC2:SCRATCH_EN: 0
; COMPUTE_PGM_RSRC2:USER_SGPR: 6
; COMPUTE_PGM_RSRC2:TRAP_HANDLER: 0
; COMPUTE_PGM_RSRC2:TGID_X_EN: 1
; COMPUTE_PGM_RSRC2:TGID_Y_EN: 0
; COMPUTE_PGM_RSRC2:TGID_Z_EN: 0
; COMPUTE_PGM_RSRC2:TIDIG_COMP_CNT: 0
	.section	.text._ZN9rocsparseL20bsrxmvn_17_32_kernelILj30E21rocsparse_complex_numIdEllS1_IfES2_S2_EEvT2_20rocsparse_direction_NS_24const_host_device_scalarIT0_EES4_PKS4_PKT1_SD_SA_PKT3_PKT4_S8_PT5_21rocsparse_index_base_b,"axG",@progbits,_ZN9rocsparseL20bsrxmvn_17_32_kernelILj30E21rocsparse_complex_numIdEllS1_IfES2_S2_EEvT2_20rocsparse_direction_NS_24const_host_device_scalarIT0_EES4_PKS4_PKT1_SD_SA_PKT3_PKT4_S8_PT5_21rocsparse_index_base_b,comdat
	.globl	_ZN9rocsparseL20bsrxmvn_17_32_kernelILj30E21rocsparse_complex_numIdEllS1_IfES2_S2_EEvT2_20rocsparse_direction_NS_24const_host_device_scalarIT0_EES4_PKS4_PKT1_SD_SA_PKT3_PKT4_S8_PT5_21rocsparse_index_base_b ; -- Begin function _ZN9rocsparseL20bsrxmvn_17_32_kernelILj30E21rocsparse_complex_numIdEllS1_IfES2_S2_EEvT2_20rocsparse_direction_NS_24const_host_device_scalarIT0_EES4_PKS4_PKT1_SD_SA_PKT3_PKT4_S8_PT5_21rocsparse_index_base_b
	.p2align	8
	.type	_ZN9rocsparseL20bsrxmvn_17_32_kernelILj30E21rocsparse_complex_numIdEllS1_IfES2_S2_EEvT2_20rocsparse_direction_NS_24const_host_device_scalarIT0_EES4_PKS4_PKT1_SD_SA_PKT3_PKT4_S8_PT5_21rocsparse_index_base_b,@function
_ZN9rocsparseL20bsrxmvn_17_32_kernelILj30E21rocsparse_complex_numIdEllS1_IfES2_S2_EEvT2_20rocsparse_direction_NS_24const_host_device_scalarIT0_EES4_PKS4_PKT1_SD_SA_PKT3_PKT4_S8_PT5_21rocsparse_index_base_b: ; @_ZN9rocsparseL20bsrxmvn_17_32_kernelILj30E21rocsparse_complex_numIdEllS1_IfES2_S2_EEvT2_20rocsparse_direction_NS_24const_host_device_scalarIT0_EES4_PKS4_PKT1_SD_SA_PKT3_PKT4_S8_PT5_21rocsparse_index_base_b
; %bb.0:
	s_load_dwordx2 s[0:1], s[4:5], 0x10
	s_load_dwordx2 s[14:15], s[4:5], 0x70
	s_add_u32 s7, s4, 16
	s_addc_u32 s8, s5, 0
	s_add_u32 s9, s4, 0x58
	s_addc_u32 s10, s5, 0
	s_waitcnt lgkmcnt(0)
	s_bitcmp1_b32 s15, 0
	s_cselect_b32 s1, s8, s1
	s_cselect_b32 s0, s7, s0
	v_mov_b32_e32 v1, s0
	v_mov_b32_e32 v2, s1
	flat_load_dwordx4 v[5:8], v[1:2]
	s_load_dwordx2 s[2:3], s[4:5], 0x58
	s_waitcnt lgkmcnt(0)
	s_cselect_b32 s0, s10, s3
	s_cselect_b32 s1, s9, s2
	v_mov_b32_e32 v1, s1
	v_mov_b32_e32 v2, s0
	flat_load_dwordx4 v[1:4], v[1:2]
	s_waitcnt vmcnt(0)
	v_cmp_eq_f64_e32 vcc, 0, v[5:6]
	v_cmp_eq_f64_e64 s[0:1], 0, v[7:8]
	s_and_b64 s[8:9], vcc, s[0:1]
	s_mov_b64 s[0:1], -1
	s_and_saveexec_b64 s[2:3], s[8:9]
	s_cbranch_execz .LBB573_2
; %bb.1:
	s_waitcnt lgkmcnt(0)
	v_cmp_neq_f64_e32 vcc, 1.0, v[1:2]
	v_cmp_neq_f64_e64 s[0:1], 0, v[3:4]
	s_or_b64 s[0:1], vcc, s[0:1]
	s_orn2_b64 s[0:1], s[0:1], exec
.LBB573_2:
	s_or_b64 exec, exec, s[2:3]
	s_and_saveexec_b64 s[2:3], s[0:1]
	s_cbranch_execz .LBB573_39
; %bb.3:
	s_load_dwordx4 s[0:3], s[4:5], 0x28
	s_load_dwordx2 s[8:9], s[4:5], 0x38
	s_mov_b32 s7, 0
	s_waitcnt lgkmcnt(0)
	s_cmp_eq_u64 s[0:1], 0
	s_cbranch_scc1 .LBB573_5
; %bb.4:
	s_lshl_b64 s[6:7], s[6:7], 3
	s_add_u32 s0, s0, s6
	s_addc_u32 s1, s1, s7
	s_load_dwordx2 s[0:1], s[0:1], 0x0
	s_waitcnt lgkmcnt(0)
	s_sub_u32 s6, s0, s14
	s_subb_u32 s7, s1, 0
.LBB573_5:
	s_load_dword s10, s[4:5], 0x8
	s_load_dwordx2 s[12:13], s[4:5], 0x68
	v_mul_u32_u24_e32 v14, 0x889, v0
	v_mov_b32_e32 v9, 30
	v_mul_lo_u16_sdwa v9, v14, v9 dst_sel:DWORD dst_unused:UNUSED_PAD src0_sel:WORD_1 src1_sel:DWORD
	s_waitcnt lgkmcnt(0)
	s_cmp_eq_u32 s10, 1
	s_cselect_b64 s[0:1], -1, 0
	s_cmp_lg_u32 s10, 1
	s_cselect_b64 s[16:17], -1, 0
	s_lshl_b64 s[10:11], s[6:7], 3
	s_add_u32 s20, s2, s10
	s_addc_u32 s21, s3, s11
	s_add_u32 s2, s20, 8
	s_addc_u32 s3, s21, 0
	;; [unrolled: 2-line block ×3, first 2 shown]
	s_cmp_eq_u64 s[8:9], 0
	s_cselect_b32 s9, s3, s11
	s_cselect_b32 s8, s2, s10
	s_load_dwordx2 s[2:3], s[8:9], 0x0
	s_load_dwordx2 s[18:19], s[20:21], 0x0
	v_sub_u16_e32 v21, v0, v9
	v_mov_b32_e32 v11, 0
	v_mov_b32_e32 v13, 0
	s_waitcnt lgkmcnt(0)
	v_mov_b32_e32 v10, s3
	v_mov_b32_e32 v9, s2
	v_cmp_ge_i64_e32 vcc, s[18:19], v[9:10]
	v_mov_b32_e32 v9, 0
	v_mov_b32_e32 v12, 0
	;; [unrolled: 1-line block ×3, first 2 shown]
	s_cbranch_vccnz .LBB573_10
; %bb.6:
	s_load_dwordx2 s[20:21], s[4:5], 0x50
	s_load_dwordx4 s[8:11], s[4:5], 0x40
	s_mov_b32 s4, 0xffff
	s_movk_i32 s5, 0x384
	v_and_b32_sdwa v9, s4, v14 dst_sel:DWORD dst_unused:UNUSED_PAD src0_sel:DWORD src1_sel:WORD_1
	s_sub_u32 s2, s2, s14
	v_subrev_u32_e32 v10, 30, v9
	v_cmp_gt_u32_e32 vcc, s5, v0
	s_subb_u32 s3, s3, 0
	v_cndmask_b32_e32 v9, v10, v9, vcc
	s_sub_u32 s4, s18, s14
	v_cndmask_b32_e64 v12, v21, v9, s[0:1]
	s_subb_u32 s5, s19, 0
	v_lshlrev_b64 v[9:10], 4, v[12:13]
	s_mul_i32 s0, s5, 0x1c20
	s_mul_hi_u32 s1, s4, 0x1c20
	s_add_i32 s1, s1, s0
	s_mul_i32 s0, s4, 0x1c20
	s_waitcnt lgkmcnt(0)
	v_mov_b32_e32 v11, s21
	v_add_co_u32_e32 v13, vcc, s20, v9
	s_add_u32 s0, s10, s0
	v_addc_co_u32_e32 v14, vcc, v11, v10, vcc
	s_addc_u32 s1, s11, s1
	v_lshlrev_b32_e32 v9, 3, v0
	v_mov_b32_e32 v10, s1
	v_add_co_u32_e32 v15, vcc, s0, v9
	v_addc_co_u32_e32 v16, vcc, 0, v10, vcc
	s_movk_i32 s0, 0x383
	v_cmp_lt_u32_e32 vcc, s0, v0
	v_cndmask_b32_e64 v22, 0, 1, vcc
	v_mov_b32_e32 v9, s19
	v_add_co_u32_e32 v10, vcc, s18, v22
	v_addc_co_u32_e32 v11, vcc, 0, v9, vcc
	v_subrev_co_u32_e32 v9, vcc, s14, v10
	v_subbrev_co_u32_e32 v10, vcc, 0, v11, vcc
	v_lshlrev_b64 v[9:10], 3, v[9:10]
	v_mov_b32_e32 v11, s9
	v_add_co_u32_e32 v17, vcc, s8, v9
	v_addc_co_u32_e32 v18, vcc, v11, v10, vcc
	v_mov_b32_e32 v11, 0
	v_mov_b32_e32 v12, 0
	;; [unrolled: 1-line block ×4, first 2 shown]
	s_movk_i32 s8, 0x1e0
	v_mov_b32_e32 v19, s2
	v_mov_b32_e32 v10, v12
	s_branch .LBB573_8
.LBB573_7:                              ;   in Loop: Header=BB573_8 Depth=1
	s_or_b64 exec, exec, s[0:1]
	s_add_u32 s4, s4, 1
	s_addc_u32 s5, s5, 0
	v_cmp_lt_i64_e32 vcc, s[4:5], v[19:20]
	v_add_co_u32_e64 v17, s[0:1], 8, v17
	v_addc_co_u32_e64 v18, s[0:1], 0, v18, s[0:1]
	s_cbranch_vccz .LBB573_10
.LBB573_8:                              ; =>This Inner Loop Header: Depth=1
	v_mov_b32_e32 v24, s5
	v_add_co_u32_e32 v23, vcc, s4, v22
	v_addc_co_u32_e32 v24, vcc, 0, v24, vcc
	v_cmp_gt_i64_e32 vcc, s[2:3], v[23:24]
	s_and_saveexec_b64 s[0:1], vcc
	s_cbranch_execz .LBB573_7
; %bb.9:                                ;   in Loop: Header=BB573_8 Depth=1
	global_load_dwordx2 v[23:24], v[17:18], off
	s_waitcnt vmcnt(0)
	v_subrev_co_u32_e32 v23, vcc, s14, v23
	v_subbrev_co_u32_e32 v25, vcc, 0, v24, vcc
	v_mad_u64_u32 v[23:24], s[10:11], v23, s8, v[13:14]
	v_mad_u64_u32 v[24:25], s[10:11], v25, s8, v[24:25]
	global_load_dwordx2 v[27:28], v[15:16], off
	s_nop 0
	global_load_dwordx4 v[23:26], v[23:24], off
	v_add_co_u32_e32 v15, vcc, 0x1c20, v15
	v_addc_co_u32_e32 v16, vcc, 0, v16, vcc
	s_waitcnt vmcnt(1)
	v_cvt_f64_f32_e32 v[29:30], v27
	v_cvt_f64_f32_e32 v[27:28], v28
	s_waitcnt vmcnt(0)
	v_fma_f64 v[9:10], v[29:30], v[23:24], v[9:10]
	v_fma_f64 v[11:12], v[27:28], v[23:24], v[11:12]
	v_fma_f64 v[9:10], -v[27:28], v[25:26], v[9:10]
	v_fma_f64 v[11:12], v[29:30], v[25:26], v[11:12]
	s_branch .LBB573_7
.LBB573_10:
	v_lshlrev_b32_e32 v17, 4, v0
	s_and_b64 vcc, exec, s[16:17]
	ds_write_b128 v17, v[9:12]
	s_waitcnt lgkmcnt(0)
	s_barrier
	s_cbranch_vccz .LBB573_22
; %bb.11:
	v_cmp_gt_u16_e32 vcc, 14, v21
	s_and_saveexec_b64 s[0:1], vcc
	s_cbranch_execz .LBB573_13
; %bb.12:
	ds_read_b128 v[13:16], v17 offset:256
	ds_read_b128 v[22:25], v17
	s_waitcnt lgkmcnt(0)
	v_add_f64 v[13:14], v[13:14], v[22:23]
	v_add_f64 v[15:16], v[15:16], v[24:25]
	ds_write_b128 v17, v[13:16]
.LBB573_13:
	s_or_b64 exec, exec, s[0:1]
	v_cmp_gt_u16_e32 vcc, 8, v21
	s_waitcnt lgkmcnt(0)
	s_barrier
	s_and_saveexec_b64 s[0:1], vcc
	s_cbranch_execz .LBB573_15
; %bb.14:
	ds_read_b128 v[13:16], v17 offset:128
	ds_read_b128 v[22:25], v17
	s_waitcnt lgkmcnt(0)
	v_add_f64 v[13:14], v[13:14], v[22:23]
	v_add_f64 v[15:16], v[15:16], v[24:25]
	ds_write_b128 v17, v[13:16]
.LBB573_15:
	s_or_b64 exec, exec, s[0:1]
	v_cmp_gt_u16_e32 vcc, 4, v21
	s_waitcnt lgkmcnt(0)
	s_barrier
	;; [unrolled: 14-line block ×3, first 2 shown]
	s_and_saveexec_b64 s[0:1], vcc
	s_cbranch_execz .LBB573_19
; %bb.18:
	ds_read_b128 v[13:16], v17
	ds_read_b128 v[18:21], v17 offset:32
	s_waitcnt lgkmcnt(0)
	v_add_f64 v[13:14], v[18:19], v[13:14]
	v_add_f64 v[15:16], v[20:21], v[15:16]
	ds_write_b128 v17, v[13:16]
.LBB573_19:
	s_or_b64 exec, exec, s[0:1]
	v_mov_b32_e32 v16, v12
	v_mov_b32_e32 v14, v10
	v_cmp_gt_u32_e32 vcc, 30, v0
	v_mov_b32_e32 v15, v11
	v_mov_b32_e32 v13, v9
	s_waitcnt lgkmcnt(0)
	s_barrier
	s_and_saveexec_b64 s[0:1], vcc
	s_cbranch_execz .LBB573_21
; %bb.20:
	s_movk_i32 s2, 0x1d0
	v_mad_u32_u24 v18, v0, s2, v17
	ds_read_b128 v[13:16], v18
	ds_read_b128 v[18:21], v18 offset:16
	s_waitcnt lgkmcnt(0)
	v_add_f64 v[13:14], v[18:19], v[13:14]
	v_add_f64 v[15:16], v[20:21], v[15:16]
.LBB573_21:
	s_or_b64 exec, exec, s[0:1]
	s_branch .LBB573_34
.LBB573_22:
                                        ; implicit-def: $vgpr15_vgpr16
                                        ; implicit-def: $vgpr13_vgpr14
	s_cbranch_execz .LBB573_34
; %bb.23:
	s_movk_i32 s0, 0x1a4
	v_cmp_gt_u32_e32 vcc, s0, v0
	s_and_saveexec_b64 s[0:1], vcc
	s_cbranch_execz .LBB573_25
; %bb.24:
	ds_read_b128 v[13:16], v17 offset:7680
	ds_read_b128 v[18:21], v17
	s_waitcnt lgkmcnt(0)
	v_add_f64 v[13:14], v[13:14], v[18:19]
	v_add_f64 v[15:16], v[15:16], v[20:21]
	ds_write_b128 v17, v[13:16]
.LBB573_25:
	s_or_b64 exec, exec, s[0:1]
	s_movk_i32 s0, 0xf0
	v_cmp_gt_u32_e32 vcc, s0, v0
	s_waitcnt lgkmcnt(0)
	s_barrier
	s_and_saveexec_b64 s[0:1], vcc
	s_cbranch_execz .LBB573_27
; %bb.26:
	ds_read_b128 v[13:16], v17 offset:3840
	ds_read_b128 v[18:21], v17
	s_waitcnt lgkmcnt(0)
	v_add_f64 v[13:14], v[13:14], v[18:19]
	v_add_f64 v[15:16], v[15:16], v[20:21]
	ds_write_b128 v17, v[13:16]
.LBB573_27:
	s_or_b64 exec, exec, s[0:1]
	s_movk_i32 s0, 0x78
	v_cmp_gt_u32_e32 vcc, s0, v0
	s_waitcnt lgkmcnt(0)
	s_barrier
	s_and_saveexec_b64 s[0:1], vcc
	s_cbranch_execz .LBB573_29
; %bb.28:
	ds_read_b128 v[13:16], v17 offset:1920
	ds_read_b128 v[18:21], v17
	s_waitcnt lgkmcnt(0)
	v_add_f64 v[13:14], v[13:14], v[18:19]
	v_add_f64 v[15:16], v[15:16], v[20:21]
	ds_write_b128 v17, v[13:16]
.LBB573_29:
	s_or_b64 exec, exec, s[0:1]
	v_cmp_gt_u32_e32 vcc, 60, v0
	s_waitcnt lgkmcnt(0)
	s_barrier
	s_and_saveexec_b64 s[0:1], vcc
	s_cbranch_execz .LBB573_31
; %bb.30:
	ds_read_b128 v[13:16], v17 offset:960
	ds_read_b128 v[18:21], v17
	s_waitcnt lgkmcnt(0)
	v_add_f64 v[13:14], v[13:14], v[18:19]
	v_add_f64 v[15:16], v[15:16], v[20:21]
	ds_write_b128 v17, v[13:16]
.LBB573_31:
	s_or_b64 exec, exec, s[0:1]
	v_cmp_gt_u32_e32 vcc, 30, v0
	s_waitcnt lgkmcnt(0)
	s_and_saveexec_b64 s[0:1], vcc
	s_cbranch_execz .LBB573_33
; %bb.32:
	ds_read_b128 v[9:12], v17 offset:480
	ds_read_b128 v[13:16], v17
	s_waitcnt lgkmcnt(0)
	v_add_f64 v[9:10], v[9:10], v[13:14]
	v_add_f64 v[11:12], v[11:12], v[15:16]
.LBB573_33:
	s_or_b64 exec, exec, s[0:1]
	v_mov_b32_e32 v16, v12
	v_mov_b32_e32 v14, v10
	v_mov_b32_e32 v15, v11
	v_mov_b32_e32 v13, v9
.LBB573_34:
	v_cmp_gt_u32_e32 vcc, 30, v0
	s_and_b64 exec, exec, vcc
	s_cbranch_execz .LBB573_39
; %bb.35:
	v_mul_f64 v[9:10], v[15:16], -v[7:8]
	v_mul_f64 v[11:12], v[5:6], v[15:16]
	v_cmp_eq_f64_e32 vcc, 0, v[1:2]
	v_cmp_eq_f64_e64 s[0:1], 0, v[3:4]
	s_mul_i32 s2, s7, 0x1e0
	s_mul_hi_u32 s3, s6, 0x1e0
	s_mul_i32 s4, s6, 0x1e0
	v_fma_f64 v[5:6], v[5:6], v[13:14], v[9:10]
	v_fma_f64 v[7:8], v[7:8], v[13:14], v[11:12]
	s_and_b64 s[0:1], vcc, s[0:1]
	s_and_saveexec_b64 s[6:7], s[0:1]
	s_xor_b64 s[0:1], exec, s[6:7]
	s_cbranch_execz .LBB573_37
; %bb.36:
	s_add_i32 s5, s3, s2
	s_add_u32 s6, s12, s4
	s_addc_u32 s7, s13, s5
	global_store_dwordx4 v17, v[5:8], s[6:7]
                                        ; implicit-def: $vgpr17
                                        ; implicit-def: $vgpr1_vgpr2
                                        ; implicit-def: $vgpr5_vgpr6
.LBB573_37:
	s_andn2_saveexec_b64 s[0:1], s[0:1]
	s_cbranch_execz .LBB573_39
; %bb.38:
	s_add_i32 s3, s3, s2
	s_add_u32 s0, s12, s4
	s_addc_u32 s1, s13, s3
	global_load_dwordx4 v[9:12], v17, s[0:1]
	s_waitcnt vmcnt(0)
	v_fma_f64 v[5:6], v[1:2], v[9:10], v[5:6]
	v_fma_f64 v[7:8], v[3:4], v[9:10], v[7:8]
	v_fma_f64 v[3:4], -v[3:4], v[11:12], v[5:6]
	v_fma_f64 v[5:6], v[1:2], v[11:12], v[7:8]
	global_store_dwordx4 v17, v[3:6], s[0:1]
.LBB573_39:
	s_endpgm
	.section	.rodata,"a",@progbits
	.p2align	6, 0x0
	.amdhsa_kernel _ZN9rocsparseL20bsrxmvn_17_32_kernelILj30E21rocsparse_complex_numIdEllS1_IfES2_S2_EEvT2_20rocsparse_direction_NS_24const_host_device_scalarIT0_EES4_PKS4_PKT1_SD_SA_PKT3_PKT4_S8_PT5_21rocsparse_index_base_b
		.amdhsa_group_segment_fixed_size 14400
		.amdhsa_private_segment_fixed_size 0
		.amdhsa_kernarg_size 120
		.amdhsa_user_sgpr_count 6
		.amdhsa_user_sgpr_private_segment_buffer 1
		.amdhsa_user_sgpr_dispatch_ptr 0
		.amdhsa_user_sgpr_queue_ptr 0
		.amdhsa_user_sgpr_kernarg_segment_ptr 1
		.amdhsa_user_sgpr_dispatch_id 0
		.amdhsa_user_sgpr_flat_scratch_init 0
		.amdhsa_user_sgpr_private_segment_size 0
		.amdhsa_uses_dynamic_stack 0
		.amdhsa_system_sgpr_private_segment_wavefront_offset 0
		.amdhsa_system_sgpr_workgroup_id_x 1
		.amdhsa_system_sgpr_workgroup_id_y 0
		.amdhsa_system_sgpr_workgroup_id_z 0
		.amdhsa_system_sgpr_workgroup_info 0
		.amdhsa_system_vgpr_workitem_id 0
		.amdhsa_next_free_vgpr 31
		.amdhsa_next_free_sgpr 61
		.amdhsa_reserve_vcc 1
		.amdhsa_reserve_flat_scratch 0
		.amdhsa_float_round_mode_32 0
		.amdhsa_float_round_mode_16_64 0
		.amdhsa_float_denorm_mode_32 3
		.amdhsa_float_denorm_mode_16_64 3
		.amdhsa_dx10_clamp 1
		.amdhsa_ieee_mode 1
		.amdhsa_fp16_overflow 0
		.amdhsa_exception_fp_ieee_invalid_op 0
		.amdhsa_exception_fp_denorm_src 0
		.amdhsa_exception_fp_ieee_div_zero 0
		.amdhsa_exception_fp_ieee_overflow 0
		.amdhsa_exception_fp_ieee_underflow 0
		.amdhsa_exception_fp_ieee_inexact 0
		.amdhsa_exception_int_div_zero 0
	.end_amdhsa_kernel
	.section	.text._ZN9rocsparseL20bsrxmvn_17_32_kernelILj30E21rocsparse_complex_numIdEllS1_IfES2_S2_EEvT2_20rocsparse_direction_NS_24const_host_device_scalarIT0_EES4_PKS4_PKT1_SD_SA_PKT3_PKT4_S8_PT5_21rocsparse_index_base_b,"axG",@progbits,_ZN9rocsparseL20bsrxmvn_17_32_kernelILj30E21rocsparse_complex_numIdEllS1_IfES2_S2_EEvT2_20rocsparse_direction_NS_24const_host_device_scalarIT0_EES4_PKS4_PKT1_SD_SA_PKT3_PKT4_S8_PT5_21rocsparse_index_base_b,comdat
.Lfunc_end573:
	.size	_ZN9rocsparseL20bsrxmvn_17_32_kernelILj30E21rocsparse_complex_numIdEllS1_IfES2_S2_EEvT2_20rocsparse_direction_NS_24const_host_device_scalarIT0_EES4_PKS4_PKT1_SD_SA_PKT3_PKT4_S8_PT5_21rocsparse_index_base_b, .Lfunc_end573-_ZN9rocsparseL20bsrxmvn_17_32_kernelILj30E21rocsparse_complex_numIdEllS1_IfES2_S2_EEvT2_20rocsparse_direction_NS_24const_host_device_scalarIT0_EES4_PKS4_PKT1_SD_SA_PKT3_PKT4_S8_PT5_21rocsparse_index_base_b
                                        ; -- End function
	.set _ZN9rocsparseL20bsrxmvn_17_32_kernelILj30E21rocsparse_complex_numIdEllS1_IfES2_S2_EEvT2_20rocsparse_direction_NS_24const_host_device_scalarIT0_EES4_PKS4_PKT1_SD_SA_PKT3_PKT4_S8_PT5_21rocsparse_index_base_b.num_vgpr, 31
	.set _ZN9rocsparseL20bsrxmvn_17_32_kernelILj30E21rocsparse_complex_numIdEllS1_IfES2_S2_EEvT2_20rocsparse_direction_NS_24const_host_device_scalarIT0_EES4_PKS4_PKT1_SD_SA_PKT3_PKT4_S8_PT5_21rocsparse_index_base_b.num_agpr, 0
	.set _ZN9rocsparseL20bsrxmvn_17_32_kernelILj30E21rocsparse_complex_numIdEllS1_IfES2_S2_EEvT2_20rocsparse_direction_NS_24const_host_device_scalarIT0_EES4_PKS4_PKT1_SD_SA_PKT3_PKT4_S8_PT5_21rocsparse_index_base_b.numbered_sgpr, 22
	.set _ZN9rocsparseL20bsrxmvn_17_32_kernelILj30E21rocsparse_complex_numIdEllS1_IfES2_S2_EEvT2_20rocsparse_direction_NS_24const_host_device_scalarIT0_EES4_PKS4_PKT1_SD_SA_PKT3_PKT4_S8_PT5_21rocsparse_index_base_b.num_named_barrier, 0
	.set _ZN9rocsparseL20bsrxmvn_17_32_kernelILj30E21rocsparse_complex_numIdEllS1_IfES2_S2_EEvT2_20rocsparse_direction_NS_24const_host_device_scalarIT0_EES4_PKS4_PKT1_SD_SA_PKT3_PKT4_S8_PT5_21rocsparse_index_base_b.private_seg_size, 0
	.set _ZN9rocsparseL20bsrxmvn_17_32_kernelILj30E21rocsparse_complex_numIdEllS1_IfES2_S2_EEvT2_20rocsparse_direction_NS_24const_host_device_scalarIT0_EES4_PKS4_PKT1_SD_SA_PKT3_PKT4_S8_PT5_21rocsparse_index_base_b.uses_vcc, 1
	.set _ZN9rocsparseL20bsrxmvn_17_32_kernelILj30E21rocsparse_complex_numIdEllS1_IfES2_S2_EEvT2_20rocsparse_direction_NS_24const_host_device_scalarIT0_EES4_PKS4_PKT1_SD_SA_PKT3_PKT4_S8_PT5_21rocsparse_index_base_b.uses_flat_scratch, 0
	.set _ZN9rocsparseL20bsrxmvn_17_32_kernelILj30E21rocsparse_complex_numIdEllS1_IfES2_S2_EEvT2_20rocsparse_direction_NS_24const_host_device_scalarIT0_EES4_PKS4_PKT1_SD_SA_PKT3_PKT4_S8_PT5_21rocsparse_index_base_b.has_dyn_sized_stack, 0
	.set _ZN9rocsparseL20bsrxmvn_17_32_kernelILj30E21rocsparse_complex_numIdEllS1_IfES2_S2_EEvT2_20rocsparse_direction_NS_24const_host_device_scalarIT0_EES4_PKS4_PKT1_SD_SA_PKT3_PKT4_S8_PT5_21rocsparse_index_base_b.has_recursion, 0
	.set _ZN9rocsparseL20bsrxmvn_17_32_kernelILj30E21rocsparse_complex_numIdEllS1_IfES2_S2_EEvT2_20rocsparse_direction_NS_24const_host_device_scalarIT0_EES4_PKS4_PKT1_SD_SA_PKT3_PKT4_S8_PT5_21rocsparse_index_base_b.has_indirect_call, 0
	.section	.AMDGPU.csdata,"",@progbits
; Kernel info:
; codeLenInByte = 1736
; TotalNumSgprs: 26
; NumVgprs: 31
; ScratchSize: 0
; MemoryBound: 0
; FloatMode: 240
; IeeeMode: 1
; LDSByteSize: 14400 bytes/workgroup (compile time only)
; SGPRBlocks: 8
; VGPRBlocks: 7
; NumSGPRsForWavesPerEU: 65
; NumVGPRsForWavesPerEU: 31
; Occupancy: 8
; WaveLimiterHint : 1
; COMPUTE_PGM_RSRC2:SCRATCH_EN: 0
; COMPUTE_PGM_RSRC2:USER_SGPR: 6
; COMPUTE_PGM_RSRC2:TRAP_HANDLER: 0
; COMPUTE_PGM_RSRC2:TGID_X_EN: 1
; COMPUTE_PGM_RSRC2:TGID_Y_EN: 0
; COMPUTE_PGM_RSRC2:TGID_Z_EN: 0
; COMPUTE_PGM_RSRC2:TIDIG_COMP_CNT: 0
	.section	.text._ZN9rocsparseL20bsrxmvn_17_32_kernelILj31E21rocsparse_complex_numIdEllS1_IfES2_S2_EEvT2_20rocsparse_direction_NS_24const_host_device_scalarIT0_EES4_PKS4_PKT1_SD_SA_PKT3_PKT4_S8_PT5_21rocsparse_index_base_b,"axG",@progbits,_ZN9rocsparseL20bsrxmvn_17_32_kernelILj31E21rocsparse_complex_numIdEllS1_IfES2_S2_EEvT2_20rocsparse_direction_NS_24const_host_device_scalarIT0_EES4_PKS4_PKT1_SD_SA_PKT3_PKT4_S8_PT5_21rocsparse_index_base_b,comdat
	.globl	_ZN9rocsparseL20bsrxmvn_17_32_kernelILj31E21rocsparse_complex_numIdEllS1_IfES2_S2_EEvT2_20rocsparse_direction_NS_24const_host_device_scalarIT0_EES4_PKS4_PKT1_SD_SA_PKT3_PKT4_S8_PT5_21rocsparse_index_base_b ; -- Begin function _ZN9rocsparseL20bsrxmvn_17_32_kernelILj31E21rocsparse_complex_numIdEllS1_IfES2_S2_EEvT2_20rocsparse_direction_NS_24const_host_device_scalarIT0_EES4_PKS4_PKT1_SD_SA_PKT3_PKT4_S8_PT5_21rocsparse_index_base_b
	.p2align	8
	.type	_ZN9rocsparseL20bsrxmvn_17_32_kernelILj31E21rocsparse_complex_numIdEllS1_IfES2_S2_EEvT2_20rocsparse_direction_NS_24const_host_device_scalarIT0_EES4_PKS4_PKT1_SD_SA_PKT3_PKT4_S8_PT5_21rocsparse_index_base_b,@function
_ZN9rocsparseL20bsrxmvn_17_32_kernelILj31E21rocsparse_complex_numIdEllS1_IfES2_S2_EEvT2_20rocsparse_direction_NS_24const_host_device_scalarIT0_EES4_PKS4_PKT1_SD_SA_PKT3_PKT4_S8_PT5_21rocsparse_index_base_b: ; @_ZN9rocsparseL20bsrxmvn_17_32_kernelILj31E21rocsparse_complex_numIdEllS1_IfES2_S2_EEvT2_20rocsparse_direction_NS_24const_host_device_scalarIT0_EES4_PKS4_PKT1_SD_SA_PKT3_PKT4_S8_PT5_21rocsparse_index_base_b
; %bb.0:
	s_load_dwordx2 s[0:1], s[4:5], 0x10
	s_load_dwordx2 s[14:15], s[4:5], 0x70
	s_add_u32 s7, s4, 16
	s_addc_u32 s8, s5, 0
	s_add_u32 s9, s4, 0x58
	s_addc_u32 s10, s5, 0
	s_waitcnt lgkmcnt(0)
	s_bitcmp1_b32 s15, 0
	s_cselect_b32 s1, s8, s1
	s_cselect_b32 s0, s7, s0
	v_mov_b32_e32 v1, s0
	v_mov_b32_e32 v2, s1
	flat_load_dwordx4 v[5:8], v[1:2]
	s_load_dwordx2 s[2:3], s[4:5], 0x58
	s_waitcnt lgkmcnt(0)
	s_cselect_b32 s0, s10, s3
	s_cselect_b32 s1, s9, s2
	v_mov_b32_e32 v1, s1
	v_mov_b32_e32 v2, s0
	flat_load_dwordx4 v[1:4], v[1:2]
	s_waitcnt vmcnt(0)
	v_cmp_eq_f64_e32 vcc, 0, v[5:6]
	v_cmp_eq_f64_e64 s[0:1], 0, v[7:8]
	s_and_b64 s[8:9], vcc, s[0:1]
	s_mov_b64 s[0:1], -1
	s_and_saveexec_b64 s[2:3], s[8:9]
	s_cbranch_execz .LBB574_2
; %bb.1:
	s_waitcnt lgkmcnt(0)
	v_cmp_neq_f64_e32 vcc, 1.0, v[1:2]
	v_cmp_neq_f64_e64 s[0:1], 0, v[3:4]
	s_or_b64 s[0:1], vcc, s[0:1]
	s_orn2_b64 s[0:1], s[0:1], exec
.LBB574_2:
	s_or_b64 exec, exec, s[2:3]
	s_and_saveexec_b64 s[2:3], s[0:1]
	s_cbranch_execz .LBB574_39
; %bb.3:
	s_load_dwordx4 s[0:3], s[4:5], 0x28
	s_load_dwordx2 s[8:9], s[4:5], 0x38
	s_mov_b32 s7, 0
	s_waitcnt lgkmcnt(0)
	s_cmp_eq_u64 s[0:1], 0
	s_cbranch_scc1 .LBB574_5
; %bb.4:
	s_lshl_b64 s[6:7], s[6:7], 3
	s_add_u32 s0, s0, s6
	s_addc_u32 s1, s1, s7
	s_load_dwordx2 s[0:1], s[0:1], 0x0
	s_waitcnt lgkmcnt(0)
	s_sub_u32 s6, s0, s14
	s_subb_u32 s7, s1, 0
.LBB574_5:
	s_load_dword s10, s[4:5], 0x8
	s_load_dwordx2 s[12:13], s[4:5], 0x68
	v_mul_u32_u24_e32 v14, 0x843, v0
	v_mov_b32_e32 v9, 31
	v_mul_lo_u16_sdwa v9, v14, v9 dst_sel:DWORD dst_unused:UNUSED_PAD src0_sel:WORD_1 src1_sel:DWORD
	s_waitcnt lgkmcnt(0)
	s_cmp_eq_u32 s10, 1
	s_cselect_b64 s[0:1], -1, 0
	s_cmp_lg_u32 s10, 1
	s_cselect_b64 s[16:17], -1, 0
	s_lshl_b64 s[10:11], s[6:7], 3
	s_add_u32 s20, s2, s10
	s_addc_u32 s21, s3, s11
	s_add_u32 s2, s20, 8
	s_addc_u32 s3, s21, 0
	;; [unrolled: 2-line block ×3, first 2 shown]
	s_cmp_eq_u64 s[8:9], 0
	s_cselect_b32 s9, s3, s11
	s_cselect_b32 s8, s2, s10
	s_load_dwordx2 s[2:3], s[8:9], 0x0
	s_load_dwordx2 s[18:19], s[20:21], 0x0
	v_sub_u16_e32 v21, v0, v9
	v_mov_b32_e32 v11, 0
	v_mov_b32_e32 v13, 0
	s_waitcnt lgkmcnt(0)
	v_mov_b32_e32 v10, s3
	v_mov_b32_e32 v9, s2
	v_cmp_ge_i64_e32 vcc, s[18:19], v[9:10]
	v_mov_b32_e32 v9, 0
	v_mov_b32_e32 v12, 0
	;; [unrolled: 1-line block ×3, first 2 shown]
	s_cbranch_vccnz .LBB574_10
; %bb.6:
	s_load_dwordx2 s[20:21], s[4:5], 0x50
	s_load_dwordx4 s[8:11], s[4:5], 0x40
	s_mov_b32 s4, 0xffff
	s_movk_i32 s5, 0x3c1
	v_and_b32_sdwa v9, s4, v14 dst_sel:DWORD dst_unused:UNUSED_PAD src0_sel:DWORD src1_sel:WORD_1
	s_sub_u32 s2, s2, s14
	v_subrev_u32_e32 v10, 31, v9
	v_cmp_gt_u32_e32 vcc, s5, v0
	s_subb_u32 s3, s3, 0
	v_cndmask_b32_e32 v9, v10, v9, vcc
	s_sub_u32 s4, s18, s14
	v_cndmask_b32_e64 v12, v21, v9, s[0:1]
	s_subb_u32 s5, s19, 0
	v_lshlrev_b64 v[9:10], 4, v[12:13]
	s_mul_i32 s0, s5, 0x1e08
	s_mul_hi_u32 s1, s4, 0x1e08
	s_add_i32 s1, s1, s0
	s_mul_i32 s0, s4, 0x1e08
	s_waitcnt lgkmcnt(0)
	v_mov_b32_e32 v11, s21
	v_add_co_u32_e32 v13, vcc, s20, v9
	s_add_u32 s0, s10, s0
	v_addc_co_u32_e32 v14, vcc, v11, v10, vcc
	s_addc_u32 s1, s11, s1
	v_lshlrev_b32_e32 v9, 3, v0
	v_mov_b32_e32 v10, s1
	v_add_co_u32_e32 v15, vcc, s0, v9
	v_addc_co_u32_e32 v16, vcc, 0, v10, vcc
	s_movk_i32 s0, 0x3c0
	v_cmp_lt_u32_e32 vcc, s0, v0
	v_cndmask_b32_e64 v22, 0, 1, vcc
	v_mov_b32_e32 v9, s19
	v_add_co_u32_e32 v10, vcc, s18, v22
	v_addc_co_u32_e32 v11, vcc, 0, v9, vcc
	v_subrev_co_u32_e32 v9, vcc, s14, v10
	v_subbrev_co_u32_e32 v10, vcc, 0, v11, vcc
	v_lshlrev_b64 v[9:10], 3, v[9:10]
	v_mov_b32_e32 v11, s9
	v_add_co_u32_e32 v17, vcc, s8, v9
	v_addc_co_u32_e32 v18, vcc, v11, v10, vcc
	v_mov_b32_e32 v11, 0
	v_mov_b32_e32 v12, 0
	;; [unrolled: 1-line block ×4, first 2 shown]
	s_movk_i32 s8, 0x1f0
	v_mov_b32_e32 v19, s2
	v_mov_b32_e32 v10, v12
	s_branch .LBB574_8
.LBB574_7:                              ;   in Loop: Header=BB574_8 Depth=1
	s_or_b64 exec, exec, s[0:1]
	s_add_u32 s4, s4, 1
	s_addc_u32 s5, s5, 0
	v_cmp_lt_i64_e32 vcc, s[4:5], v[19:20]
	v_add_co_u32_e64 v17, s[0:1], 8, v17
	v_addc_co_u32_e64 v18, s[0:1], 0, v18, s[0:1]
	s_cbranch_vccz .LBB574_10
.LBB574_8:                              ; =>This Inner Loop Header: Depth=1
	v_mov_b32_e32 v24, s5
	v_add_co_u32_e32 v23, vcc, s4, v22
	v_addc_co_u32_e32 v24, vcc, 0, v24, vcc
	v_cmp_gt_i64_e32 vcc, s[2:3], v[23:24]
	s_and_saveexec_b64 s[0:1], vcc
	s_cbranch_execz .LBB574_7
; %bb.9:                                ;   in Loop: Header=BB574_8 Depth=1
	global_load_dwordx2 v[23:24], v[17:18], off
	s_waitcnt vmcnt(0)
	v_subrev_co_u32_e32 v23, vcc, s14, v23
	v_subbrev_co_u32_e32 v25, vcc, 0, v24, vcc
	v_mad_u64_u32 v[23:24], s[10:11], v23, s8, v[13:14]
	v_mad_u64_u32 v[24:25], s[10:11], v25, s8, v[24:25]
	global_load_dwordx2 v[27:28], v[15:16], off
	s_nop 0
	global_load_dwordx4 v[23:26], v[23:24], off
	v_add_co_u32_e32 v15, vcc, 0x1e08, v15
	v_addc_co_u32_e32 v16, vcc, 0, v16, vcc
	s_waitcnt vmcnt(1)
	v_cvt_f64_f32_e32 v[29:30], v27
	v_cvt_f64_f32_e32 v[27:28], v28
	s_waitcnt vmcnt(0)
	v_fma_f64 v[9:10], v[29:30], v[23:24], v[9:10]
	v_fma_f64 v[11:12], v[27:28], v[23:24], v[11:12]
	v_fma_f64 v[9:10], -v[27:28], v[25:26], v[9:10]
	v_fma_f64 v[11:12], v[29:30], v[25:26], v[11:12]
	s_branch .LBB574_7
.LBB574_10:
	v_lshlrev_b32_e32 v17, 4, v0
	s_and_b64 vcc, exec, s[16:17]
	ds_write_b128 v17, v[9:12]
	s_waitcnt lgkmcnt(0)
	s_barrier
	s_cbranch_vccz .LBB574_22
; %bb.11:
	v_cmp_gt_u16_e32 vcc, 15, v21
	s_and_saveexec_b64 s[0:1], vcc
	s_cbranch_execz .LBB574_13
; %bb.12:
	ds_read_b128 v[13:16], v17 offset:256
	ds_read_b128 v[22:25], v17
	s_waitcnt lgkmcnt(0)
	v_add_f64 v[13:14], v[13:14], v[22:23]
	v_add_f64 v[15:16], v[15:16], v[24:25]
	ds_write_b128 v17, v[13:16]
.LBB574_13:
	s_or_b64 exec, exec, s[0:1]
	v_cmp_gt_u16_e32 vcc, 8, v21
	s_waitcnt lgkmcnt(0)
	s_barrier
	s_and_saveexec_b64 s[0:1], vcc
	s_cbranch_execz .LBB574_15
; %bb.14:
	ds_read_b128 v[13:16], v17 offset:128
	ds_read_b128 v[22:25], v17
	s_waitcnt lgkmcnt(0)
	v_add_f64 v[13:14], v[13:14], v[22:23]
	v_add_f64 v[15:16], v[15:16], v[24:25]
	ds_write_b128 v17, v[13:16]
.LBB574_15:
	s_or_b64 exec, exec, s[0:1]
	v_cmp_gt_u16_e32 vcc, 4, v21
	s_waitcnt lgkmcnt(0)
	s_barrier
	;; [unrolled: 14-line block ×3, first 2 shown]
	s_and_saveexec_b64 s[0:1], vcc
	s_cbranch_execz .LBB574_19
; %bb.18:
	ds_read_b128 v[13:16], v17
	ds_read_b128 v[18:21], v17 offset:32
	s_waitcnt lgkmcnt(0)
	v_add_f64 v[13:14], v[18:19], v[13:14]
	v_add_f64 v[15:16], v[20:21], v[15:16]
	ds_write_b128 v17, v[13:16]
.LBB574_19:
	s_or_b64 exec, exec, s[0:1]
	v_mov_b32_e32 v16, v12
	v_mov_b32_e32 v14, v10
	v_cmp_gt_u32_e32 vcc, 31, v0
	v_mov_b32_e32 v15, v11
	v_mov_b32_e32 v13, v9
	s_waitcnt lgkmcnt(0)
	s_barrier
	s_and_saveexec_b64 s[0:1], vcc
	s_cbranch_execz .LBB574_21
; %bb.20:
	s_movk_i32 s2, 0x1e0
	v_mad_u32_u24 v18, v0, s2, v17
	ds_read_b128 v[13:16], v18
	ds_read_b128 v[18:21], v18 offset:16
	s_waitcnt lgkmcnt(0)
	v_add_f64 v[13:14], v[18:19], v[13:14]
	v_add_f64 v[15:16], v[20:21], v[15:16]
.LBB574_21:
	s_or_b64 exec, exec, s[0:1]
	s_branch .LBB574_34
.LBB574_22:
                                        ; implicit-def: $vgpr15_vgpr16
                                        ; implicit-def: $vgpr13_vgpr14
	s_cbranch_execz .LBB574_34
; %bb.23:
	s_movk_i32 s0, 0x1d1
	v_cmp_gt_u32_e32 vcc, s0, v0
	s_and_saveexec_b64 s[0:1], vcc
	s_cbranch_execz .LBB574_25
; %bb.24:
	ds_read_b128 v[13:16], v17 offset:7936
	ds_read_b128 v[18:21], v17
	s_waitcnt lgkmcnt(0)
	v_add_f64 v[13:14], v[13:14], v[18:19]
	v_add_f64 v[15:16], v[15:16], v[20:21]
	ds_write_b128 v17, v[13:16]
.LBB574_25:
	s_or_b64 exec, exec, s[0:1]
	s_movk_i32 s0, 0xf8
	v_cmp_gt_u32_e32 vcc, s0, v0
	s_waitcnt lgkmcnt(0)
	s_barrier
	s_and_saveexec_b64 s[0:1], vcc
	s_cbranch_execz .LBB574_27
; %bb.26:
	ds_read_b128 v[13:16], v17 offset:3968
	ds_read_b128 v[18:21], v17
	s_waitcnt lgkmcnt(0)
	v_add_f64 v[13:14], v[13:14], v[18:19]
	v_add_f64 v[15:16], v[15:16], v[20:21]
	ds_write_b128 v17, v[13:16]
.LBB574_27:
	s_or_b64 exec, exec, s[0:1]
	s_movk_i32 s0, 0x7c
	v_cmp_gt_u32_e32 vcc, s0, v0
	s_waitcnt lgkmcnt(0)
	s_barrier
	s_and_saveexec_b64 s[0:1], vcc
	s_cbranch_execz .LBB574_29
; %bb.28:
	ds_read_b128 v[13:16], v17 offset:1984
	ds_read_b128 v[18:21], v17
	s_waitcnt lgkmcnt(0)
	v_add_f64 v[13:14], v[13:14], v[18:19]
	v_add_f64 v[15:16], v[15:16], v[20:21]
	ds_write_b128 v17, v[13:16]
.LBB574_29:
	s_or_b64 exec, exec, s[0:1]
	v_cmp_gt_u32_e32 vcc, 62, v0
	s_waitcnt lgkmcnt(0)
	s_barrier
	s_and_saveexec_b64 s[0:1], vcc
	s_cbranch_execz .LBB574_31
; %bb.30:
	ds_read_b128 v[13:16], v17 offset:992
	ds_read_b128 v[18:21], v17
	s_waitcnt lgkmcnt(0)
	v_add_f64 v[13:14], v[13:14], v[18:19]
	v_add_f64 v[15:16], v[15:16], v[20:21]
	ds_write_b128 v17, v[13:16]
.LBB574_31:
	s_or_b64 exec, exec, s[0:1]
	v_cmp_gt_u32_e32 vcc, 31, v0
	s_waitcnt lgkmcnt(0)
	s_and_saveexec_b64 s[0:1], vcc
	s_cbranch_execz .LBB574_33
; %bb.32:
	ds_read_b128 v[9:12], v17 offset:496
	ds_read_b128 v[13:16], v17
	s_waitcnt lgkmcnt(0)
	v_add_f64 v[9:10], v[9:10], v[13:14]
	v_add_f64 v[11:12], v[11:12], v[15:16]
.LBB574_33:
	s_or_b64 exec, exec, s[0:1]
	v_mov_b32_e32 v16, v12
	v_mov_b32_e32 v14, v10
	;; [unrolled: 1-line block ×4, first 2 shown]
.LBB574_34:
	v_cmp_gt_u32_e32 vcc, 31, v0
	s_and_b64 exec, exec, vcc
	s_cbranch_execz .LBB574_39
; %bb.35:
	v_mul_f64 v[9:10], v[15:16], -v[7:8]
	v_mul_f64 v[11:12], v[5:6], v[15:16]
	v_cmp_eq_f64_e32 vcc, 0, v[1:2]
	v_cmp_eq_f64_e64 s[0:1], 0, v[3:4]
	s_mul_i32 s2, s7, 0x1f0
	s_mul_hi_u32 s3, s6, 0x1f0
	s_mul_i32 s4, s6, 0x1f0
	v_fma_f64 v[5:6], v[5:6], v[13:14], v[9:10]
	v_fma_f64 v[7:8], v[7:8], v[13:14], v[11:12]
	s_and_b64 s[0:1], vcc, s[0:1]
	s_and_saveexec_b64 s[6:7], s[0:1]
	s_xor_b64 s[0:1], exec, s[6:7]
	s_cbranch_execz .LBB574_37
; %bb.36:
	s_add_i32 s5, s3, s2
	s_add_u32 s6, s12, s4
	s_addc_u32 s7, s13, s5
	global_store_dwordx4 v17, v[5:8], s[6:7]
                                        ; implicit-def: $vgpr17
                                        ; implicit-def: $vgpr1_vgpr2
                                        ; implicit-def: $vgpr5_vgpr6
.LBB574_37:
	s_andn2_saveexec_b64 s[0:1], s[0:1]
	s_cbranch_execz .LBB574_39
; %bb.38:
	s_add_i32 s3, s3, s2
	s_add_u32 s0, s12, s4
	s_addc_u32 s1, s13, s3
	global_load_dwordx4 v[9:12], v17, s[0:1]
	s_waitcnt vmcnt(0)
	v_fma_f64 v[5:6], v[1:2], v[9:10], v[5:6]
	v_fma_f64 v[7:8], v[3:4], v[9:10], v[7:8]
	v_fma_f64 v[3:4], -v[3:4], v[11:12], v[5:6]
	v_fma_f64 v[5:6], v[1:2], v[11:12], v[7:8]
	global_store_dwordx4 v17, v[3:6], s[0:1]
.LBB574_39:
	s_endpgm
	.section	.rodata,"a",@progbits
	.p2align	6, 0x0
	.amdhsa_kernel _ZN9rocsparseL20bsrxmvn_17_32_kernelILj31E21rocsparse_complex_numIdEllS1_IfES2_S2_EEvT2_20rocsparse_direction_NS_24const_host_device_scalarIT0_EES4_PKS4_PKT1_SD_SA_PKT3_PKT4_S8_PT5_21rocsparse_index_base_b
		.amdhsa_group_segment_fixed_size 15376
		.amdhsa_private_segment_fixed_size 0
		.amdhsa_kernarg_size 120
		.amdhsa_user_sgpr_count 6
		.amdhsa_user_sgpr_private_segment_buffer 1
		.amdhsa_user_sgpr_dispatch_ptr 0
		.amdhsa_user_sgpr_queue_ptr 0
		.amdhsa_user_sgpr_kernarg_segment_ptr 1
		.amdhsa_user_sgpr_dispatch_id 0
		.amdhsa_user_sgpr_flat_scratch_init 0
		.amdhsa_user_sgpr_private_segment_size 0
		.amdhsa_uses_dynamic_stack 0
		.amdhsa_system_sgpr_private_segment_wavefront_offset 0
		.amdhsa_system_sgpr_workgroup_id_x 1
		.amdhsa_system_sgpr_workgroup_id_y 0
		.amdhsa_system_sgpr_workgroup_id_z 0
		.amdhsa_system_sgpr_workgroup_info 0
		.amdhsa_system_vgpr_workitem_id 0
		.amdhsa_next_free_vgpr 31
		.amdhsa_next_free_sgpr 61
		.amdhsa_reserve_vcc 1
		.amdhsa_reserve_flat_scratch 0
		.amdhsa_float_round_mode_32 0
		.amdhsa_float_round_mode_16_64 0
		.amdhsa_float_denorm_mode_32 3
		.amdhsa_float_denorm_mode_16_64 3
		.amdhsa_dx10_clamp 1
		.amdhsa_ieee_mode 1
		.amdhsa_fp16_overflow 0
		.amdhsa_exception_fp_ieee_invalid_op 0
		.amdhsa_exception_fp_denorm_src 0
		.amdhsa_exception_fp_ieee_div_zero 0
		.amdhsa_exception_fp_ieee_overflow 0
		.amdhsa_exception_fp_ieee_underflow 0
		.amdhsa_exception_fp_ieee_inexact 0
		.amdhsa_exception_int_div_zero 0
	.end_amdhsa_kernel
	.section	.text._ZN9rocsparseL20bsrxmvn_17_32_kernelILj31E21rocsparse_complex_numIdEllS1_IfES2_S2_EEvT2_20rocsparse_direction_NS_24const_host_device_scalarIT0_EES4_PKS4_PKT1_SD_SA_PKT3_PKT4_S8_PT5_21rocsparse_index_base_b,"axG",@progbits,_ZN9rocsparseL20bsrxmvn_17_32_kernelILj31E21rocsparse_complex_numIdEllS1_IfES2_S2_EEvT2_20rocsparse_direction_NS_24const_host_device_scalarIT0_EES4_PKS4_PKT1_SD_SA_PKT3_PKT4_S8_PT5_21rocsparse_index_base_b,comdat
.Lfunc_end574:
	.size	_ZN9rocsparseL20bsrxmvn_17_32_kernelILj31E21rocsparse_complex_numIdEllS1_IfES2_S2_EEvT2_20rocsparse_direction_NS_24const_host_device_scalarIT0_EES4_PKS4_PKT1_SD_SA_PKT3_PKT4_S8_PT5_21rocsparse_index_base_b, .Lfunc_end574-_ZN9rocsparseL20bsrxmvn_17_32_kernelILj31E21rocsparse_complex_numIdEllS1_IfES2_S2_EEvT2_20rocsparse_direction_NS_24const_host_device_scalarIT0_EES4_PKS4_PKT1_SD_SA_PKT3_PKT4_S8_PT5_21rocsparse_index_base_b
                                        ; -- End function
	.set _ZN9rocsparseL20bsrxmvn_17_32_kernelILj31E21rocsparse_complex_numIdEllS1_IfES2_S2_EEvT2_20rocsparse_direction_NS_24const_host_device_scalarIT0_EES4_PKS4_PKT1_SD_SA_PKT3_PKT4_S8_PT5_21rocsparse_index_base_b.num_vgpr, 31
	.set _ZN9rocsparseL20bsrxmvn_17_32_kernelILj31E21rocsparse_complex_numIdEllS1_IfES2_S2_EEvT2_20rocsparse_direction_NS_24const_host_device_scalarIT0_EES4_PKS4_PKT1_SD_SA_PKT3_PKT4_S8_PT5_21rocsparse_index_base_b.num_agpr, 0
	.set _ZN9rocsparseL20bsrxmvn_17_32_kernelILj31E21rocsparse_complex_numIdEllS1_IfES2_S2_EEvT2_20rocsparse_direction_NS_24const_host_device_scalarIT0_EES4_PKS4_PKT1_SD_SA_PKT3_PKT4_S8_PT5_21rocsparse_index_base_b.numbered_sgpr, 22
	.set _ZN9rocsparseL20bsrxmvn_17_32_kernelILj31E21rocsparse_complex_numIdEllS1_IfES2_S2_EEvT2_20rocsparse_direction_NS_24const_host_device_scalarIT0_EES4_PKS4_PKT1_SD_SA_PKT3_PKT4_S8_PT5_21rocsparse_index_base_b.num_named_barrier, 0
	.set _ZN9rocsparseL20bsrxmvn_17_32_kernelILj31E21rocsparse_complex_numIdEllS1_IfES2_S2_EEvT2_20rocsparse_direction_NS_24const_host_device_scalarIT0_EES4_PKS4_PKT1_SD_SA_PKT3_PKT4_S8_PT5_21rocsparse_index_base_b.private_seg_size, 0
	.set _ZN9rocsparseL20bsrxmvn_17_32_kernelILj31E21rocsparse_complex_numIdEllS1_IfES2_S2_EEvT2_20rocsparse_direction_NS_24const_host_device_scalarIT0_EES4_PKS4_PKT1_SD_SA_PKT3_PKT4_S8_PT5_21rocsparse_index_base_b.uses_vcc, 1
	.set _ZN9rocsparseL20bsrxmvn_17_32_kernelILj31E21rocsparse_complex_numIdEllS1_IfES2_S2_EEvT2_20rocsparse_direction_NS_24const_host_device_scalarIT0_EES4_PKS4_PKT1_SD_SA_PKT3_PKT4_S8_PT5_21rocsparse_index_base_b.uses_flat_scratch, 0
	.set _ZN9rocsparseL20bsrxmvn_17_32_kernelILj31E21rocsparse_complex_numIdEllS1_IfES2_S2_EEvT2_20rocsparse_direction_NS_24const_host_device_scalarIT0_EES4_PKS4_PKT1_SD_SA_PKT3_PKT4_S8_PT5_21rocsparse_index_base_b.has_dyn_sized_stack, 0
	.set _ZN9rocsparseL20bsrxmvn_17_32_kernelILj31E21rocsparse_complex_numIdEllS1_IfES2_S2_EEvT2_20rocsparse_direction_NS_24const_host_device_scalarIT0_EES4_PKS4_PKT1_SD_SA_PKT3_PKT4_S8_PT5_21rocsparse_index_base_b.has_recursion, 0
	.set _ZN9rocsparseL20bsrxmvn_17_32_kernelILj31E21rocsparse_complex_numIdEllS1_IfES2_S2_EEvT2_20rocsparse_direction_NS_24const_host_device_scalarIT0_EES4_PKS4_PKT1_SD_SA_PKT3_PKT4_S8_PT5_21rocsparse_index_base_b.has_indirect_call, 0
	.section	.AMDGPU.csdata,"",@progbits
; Kernel info:
; codeLenInByte = 1736
; TotalNumSgprs: 26
; NumVgprs: 31
; ScratchSize: 0
; MemoryBound: 0
; FloatMode: 240
; IeeeMode: 1
; LDSByteSize: 15376 bytes/workgroup (compile time only)
; SGPRBlocks: 8
; VGPRBlocks: 7
; NumSGPRsForWavesPerEU: 65
; NumVGPRsForWavesPerEU: 31
; Occupancy: 8
; WaveLimiterHint : 1
; COMPUTE_PGM_RSRC2:SCRATCH_EN: 0
; COMPUTE_PGM_RSRC2:USER_SGPR: 6
; COMPUTE_PGM_RSRC2:TRAP_HANDLER: 0
; COMPUTE_PGM_RSRC2:TGID_X_EN: 1
; COMPUTE_PGM_RSRC2:TGID_Y_EN: 0
; COMPUTE_PGM_RSRC2:TGID_Z_EN: 0
; COMPUTE_PGM_RSRC2:TIDIG_COMP_CNT: 0
	.section	.text._ZN9rocsparseL20bsrxmvn_17_32_kernelILj32E21rocsparse_complex_numIdEllS1_IfES2_S2_EEvT2_20rocsparse_direction_NS_24const_host_device_scalarIT0_EES4_PKS4_PKT1_SD_SA_PKT3_PKT4_S8_PT5_21rocsparse_index_base_b,"axG",@progbits,_ZN9rocsparseL20bsrxmvn_17_32_kernelILj32E21rocsparse_complex_numIdEllS1_IfES2_S2_EEvT2_20rocsparse_direction_NS_24const_host_device_scalarIT0_EES4_PKS4_PKT1_SD_SA_PKT3_PKT4_S8_PT5_21rocsparse_index_base_b,comdat
	.globl	_ZN9rocsparseL20bsrxmvn_17_32_kernelILj32E21rocsparse_complex_numIdEllS1_IfES2_S2_EEvT2_20rocsparse_direction_NS_24const_host_device_scalarIT0_EES4_PKS4_PKT1_SD_SA_PKT3_PKT4_S8_PT5_21rocsparse_index_base_b ; -- Begin function _ZN9rocsparseL20bsrxmvn_17_32_kernelILj32E21rocsparse_complex_numIdEllS1_IfES2_S2_EEvT2_20rocsparse_direction_NS_24const_host_device_scalarIT0_EES4_PKS4_PKT1_SD_SA_PKT3_PKT4_S8_PT5_21rocsparse_index_base_b
	.p2align	8
	.type	_ZN9rocsparseL20bsrxmvn_17_32_kernelILj32E21rocsparse_complex_numIdEllS1_IfES2_S2_EEvT2_20rocsparse_direction_NS_24const_host_device_scalarIT0_EES4_PKS4_PKT1_SD_SA_PKT3_PKT4_S8_PT5_21rocsparse_index_base_b,@function
_ZN9rocsparseL20bsrxmvn_17_32_kernelILj32E21rocsparse_complex_numIdEllS1_IfES2_S2_EEvT2_20rocsparse_direction_NS_24const_host_device_scalarIT0_EES4_PKS4_PKT1_SD_SA_PKT3_PKT4_S8_PT5_21rocsparse_index_base_b: ; @_ZN9rocsparseL20bsrxmvn_17_32_kernelILj32E21rocsparse_complex_numIdEllS1_IfES2_S2_EEvT2_20rocsparse_direction_NS_24const_host_device_scalarIT0_EES4_PKS4_PKT1_SD_SA_PKT3_PKT4_S8_PT5_21rocsparse_index_base_b
; %bb.0:
	s_load_dwordx2 s[0:1], s[4:5], 0x10
	s_load_dwordx2 s[8:9], s[4:5], 0x70
	s_add_u32 s7, s4, 16
	s_addc_u32 s10, s5, 0
	s_add_u32 s11, s4, 0x58
	s_addc_u32 s12, s5, 0
	s_waitcnt lgkmcnt(0)
	s_bitcmp1_b32 s9, 0
	s_cselect_b32 s1, s10, s1
	s_cselect_b32 s0, s7, s0
	v_mov_b32_e32 v1, s0
	v_mov_b32_e32 v2, s1
	flat_load_dwordx4 v[5:8], v[1:2]
	s_load_dwordx2 s[2:3], s[4:5], 0x58
	s_waitcnt lgkmcnt(0)
	s_cselect_b32 s0, s12, s3
	s_cselect_b32 s1, s11, s2
	v_mov_b32_e32 v1, s1
	v_mov_b32_e32 v2, s0
	flat_load_dwordx4 v[1:4], v[1:2]
	s_waitcnt vmcnt(0)
	v_cmp_eq_f64_e32 vcc, 0, v[5:6]
	v_cmp_eq_f64_e64 s[0:1], 0, v[7:8]
	s_and_b64 s[10:11], vcc, s[0:1]
	s_mov_b64 s[0:1], -1
	s_and_saveexec_b64 s[2:3], s[10:11]
	s_cbranch_execz .LBB575_2
; %bb.1:
	s_waitcnt lgkmcnt(0)
	v_cmp_neq_f64_e32 vcc, 1.0, v[1:2]
	v_cmp_neq_f64_e64 s[0:1], 0, v[3:4]
	s_or_b64 s[0:1], vcc, s[0:1]
	s_orn2_b64 s[0:1], s[0:1], exec
.LBB575_2:
	s_or_b64 exec, exec, s[2:3]
	s_and_saveexec_b64 s[2:3], s[0:1]
	s_cbranch_execz .LBB575_37
; %bb.3:
	s_load_dwordx4 s[0:3], s[4:5], 0x28
	s_load_dwordx2 s[12:13], s[4:5], 0x38
	s_mov_b32 s7, 0
	s_mov_b32 s9, s7
	s_waitcnt lgkmcnt(0)
	s_cmp_eq_u64 s[0:1], 0
	s_cbranch_scc1 .LBB575_5
; %bb.4:
	s_lshl_b64 s[6:7], s[6:7], 3
	s_add_u32 s0, s0, s6
	s_addc_u32 s1, s1, s7
	s_load_dwordx2 s[0:1], s[0:1], 0x0
	s_waitcnt lgkmcnt(0)
	s_sub_u32 s6, s0, s8
	s_subb_u32 s7, s1, 0
.LBB575_5:
	s_load_dword s10, s[4:5], 0x8
	v_mov_b32_e32 v11, 0
	v_and_b32_e32 v18, 31, v0
	v_mov_b32_e32 v12, 0
	s_waitcnt lgkmcnt(0)
	s_cmp_eq_u32 s10, 1
	s_cselect_b64 s[0:1], -1, 0
	s_cmp_lg_u32 s10, 1
	s_cselect_b64 s[10:11], -1, 0
	s_lshl_b64 s[14:15], s[6:7], 3
	s_add_u32 s16, s2, s14
	s_addc_u32 s17, s3, s15
	s_add_u32 s2, s16, 8
	s_addc_u32 s3, s17, 0
	;; [unrolled: 2-line block ×3, first 2 shown]
	s_cmp_eq_u64 s[12:13], 0
	s_cselect_b32 s19, s3, s15
	s_cselect_b32 s18, s2, s14
	s_load_dwordx2 s[14:15], s[18:19], 0x0
	s_load_dwordx2 s[12:13], s[16:17], 0x0
	;; [unrolled: 1-line block ×3, first 2 shown]
	s_waitcnt lgkmcnt(0)
	v_mov_b32_e32 v9, s14
	v_mov_b32_e32 v10, s15
	v_cmp_ge_i64_e32 vcc, s[12:13], v[9:10]
	v_mov_b32_e32 v9, 0
	v_mov_b32_e32 v10, 0
	s_cbranch_vccnz .LBB575_8
; %bb.6:
	s_load_dwordx2 s[20:21], s[4:5], 0x50
	s_load_dwordx4 s[16:19], s[4:5], 0x40
	s_sub_u32 s14, s14, s8
	v_lshrrev_b32_e32 v9, 5, v0
	s_subb_u32 s15, s15, 0
	v_cndmask_b32_e64 v9, v18, v9, s[0:1]
	s_sub_u32 s0, s12, s8
	s_subb_u32 s1, s13, 0
	v_lshlrev_b32_e32 v9, 4, v9
	s_lshl_b64 s[4:5], s[0:1], 13
	s_waitcnt lgkmcnt(0)
	v_mov_b32_e32 v10, s21
	v_add_co_u32_e32 v17, vcc, s20, v9
	s_add_u32 s4, s18, s4
	v_addc_co_u32_e32 v19, vcc, 0, v10, vcc
	s_addc_u32 s5, s19, s5
	v_lshlrev_b32_e32 v9, 3, v0
	v_mov_b32_e32 v10, s5
	v_add_co_u32_e32 v13, vcc, s4, v9
	s_lshl_b64 s[4:5], s[12:13], 3
	s_lshl_b64 s[12:13], s[8:9], 3
	s_sub_u32 s4, s4, s12
	s_subb_u32 s5, s5, s13
	v_mov_b32_e32 v11, 0
	v_addc_co_u32_e32 v14, vcc, 0, v10, vcc
	s_add_u32 s4, s16, s4
	v_mov_b32_e32 v12, 0
	v_mov_b32_e32 v16, s15
	;; [unrolled: 1-line block ×3, first 2 shown]
	s_addc_u32 s5, s17, s5
	v_mov_b32_e32 v15, s14
	v_mov_b32_e32 v10, v12
.LBB575_7:                              ; =>This Inner Loop Header: Depth=1
	s_load_dwordx2 s[12:13], s[4:5], 0x0
	global_load_dwordx2 v[24:25], v[13:14], off
	s_waitcnt lgkmcnt(0)
	s_sub_u32 s12, s12, s8
	s_subb_u32 s13, s13, 0
	s_lshl_b64 s[12:13], s[12:13], 9
	v_mov_b32_e32 v21, s13
	v_add_co_u32_e32 v20, vcc, s12, v17
	v_addc_co_u32_e32 v21, vcc, v19, v21, vcc
	global_load_dwordx4 v[20:23], v[20:21], off
	v_add_co_u32_e32 v13, vcc, 0x2000, v13
	s_add_u32 s0, s0, 1
	v_addc_co_u32_e32 v14, vcc, 0, v14, vcc
	s_addc_u32 s1, s1, 0
	v_cmp_lt_i64_e32 vcc, s[0:1], v[15:16]
	s_add_u32 s4, s4, 8
	s_addc_u32 s5, s5, 0
	s_and_b64 vcc, exec, vcc
	s_waitcnt vmcnt(1)
	v_cvt_f64_f32_e32 v[26:27], v24
	v_cvt_f64_f32_e32 v[24:25], v25
	s_waitcnt vmcnt(0)
	v_fma_f64 v[9:10], v[26:27], v[20:21], v[9:10]
	v_fma_f64 v[11:12], v[24:25], v[20:21], v[11:12]
	v_fma_f64 v[9:10], -v[24:25], v[22:23], v[9:10]
	v_fma_f64 v[11:12], v[26:27], v[22:23], v[11:12]
	s_cbranch_vccnz .LBB575_7
.LBB575_8:
	v_lshlrev_b32_e32 v17, 4, v0
	s_and_b64 vcc, exec, s[10:11]
	ds_write_b128 v17, v[9:12]
	s_waitcnt lgkmcnt(0)
	s_barrier
	s_cbranch_vccz .LBB575_20
; %bb.9:
	v_cmp_gt_u32_e32 vcc, 16, v18
	s_and_saveexec_b64 s[0:1], vcc
	s_cbranch_execz .LBB575_11
; %bb.10:
	ds_read_b128 v[13:16], v17 offset:256
	ds_read_b128 v[19:22], v17
	s_waitcnt lgkmcnt(0)
	v_add_f64 v[13:14], v[13:14], v[19:20]
	v_add_f64 v[15:16], v[15:16], v[21:22]
	ds_write_b128 v17, v[13:16]
.LBB575_11:
	s_or_b64 exec, exec, s[0:1]
	v_cmp_gt_u32_e32 vcc, 8, v18
	s_waitcnt lgkmcnt(0)
	s_barrier
	s_and_saveexec_b64 s[0:1], vcc
	s_cbranch_execz .LBB575_13
; %bb.12:
	ds_read_b128 v[13:16], v17 offset:128
	ds_read_b128 v[19:22], v17
	s_waitcnt lgkmcnt(0)
	v_add_f64 v[13:14], v[13:14], v[19:20]
	v_add_f64 v[15:16], v[15:16], v[21:22]
	ds_write_b128 v17, v[13:16]
.LBB575_13:
	s_or_b64 exec, exec, s[0:1]
	v_cmp_gt_u32_e32 vcc, 4, v18
	s_waitcnt lgkmcnt(0)
	s_barrier
	;; [unrolled: 14-line block ×3, first 2 shown]
	s_and_saveexec_b64 s[0:1], vcc
	s_cbranch_execz .LBB575_17
; %bb.16:
	ds_read_b128 v[13:16], v17
	ds_read_b128 v[18:21], v17 offset:32
	s_waitcnt lgkmcnt(0)
	v_add_f64 v[13:14], v[18:19], v[13:14]
	v_add_f64 v[15:16], v[20:21], v[15:16]
	ds_write_b128 v17, v[13:16]
.LBB575_17:
	s_or_b64 exec, exec, s[0:1]
	v_mov_b32_e32 v16, v12
	v_mov_b32_e32 v14, v10
	v_cmp_gt_u32_e32 vcc, 32, v0
	v_mov_b32_e32 v15, v11
	v_mov_b32_e32 v13, v9
	s_waitcnt lgkmcnt(0)
	s_barrier
	s_and_saveexec_b64 s[0:1], vcc
	s_cbranch_execz .LBB575_19
; %bb.18:
	s_movk_i32 s4, 0x1f0
	v_mad_u32_u24 v18, v0, s4, v17
	ds_read_b128 v[13:16], v18
	ds_read_b128 v[18:21], v18 offset:16
	s_waitcnt lgkmcnt(0)
	v_add_f64 v[13:14], v[18:19], v[13:14]
	v_add_f64 v[15:16], v[20:21], v[15:16]
.LBB575_19:
	s_or_b64 exec, exec, s[0:1]
	s_branch .LBB575_32
.LBB575_20:
                                        ; implicit-def: $vgpr15_vgpr16
                                        ; implicit-def: $vgpr13_vgpr14
	s_cbranch_execz .LBB575_32
; %bb.21:
	s_movk_i32 s0, 0x200
	v_cmp_gt_u32_e32 vcc, s0, v0
	s_and_saveexec_b64 s[0:1], vcc
	s_cbranch_execz .LBB575_23
; %bb.22:
	ds_read_b128 v[13:16], v17 offset:8192
	ds_read_b128 v[18:21], v17
	s_waitcnt lgkmcnt(0)
	v_add_f64 v[13:14], v[13:14], v[18:19]
	v_add_f64 v[15:16], v[15:16], v[20:21]
	ds_write_b128 v17, v[13:16]
.LBB575_23:
	s_or_b64 exec, exec, s[0:1]
	s_movk_i32 s0, 0x100
	v_cmp_gt_u32_e32 vcc, s0, v0
	s_waitcnt lgkmcnt(0)
	s_barrier
	s_and_saveexec_b64 s[0:1], vcc
	s_cbranch_execz .LBB575_25
; %bb.24:
	ds_read_b128 v[13:16], v17 offset:4096
	ds_read_b128 v[18:21], v17
	s_waitcnt lgkmcnt(0)
	v_add_f64 v[13:14], v[13:14], v[18:19]
	v_add_f64 v[15:16], v[15:16], v[20:21]
	ds_write_b128 v17, v[13:16]
.LBB575_25:
	s_or_b64 exec, exec, s[0:1]
	s_movk_i32 s0, 0x80
	v_cmp_gt_u32_e32 vcc, s0, v0
	s_waitcnt lgkmcnt(0)
	s_barrier
	s_and_saveexec_b64 s[0:1], vcc
	s_cbranch_execz .LBB575_27
; %bb.26:
	ds_read_b128 v[13:16], v17 offset:2048
	ds_read_b128 v[18:21], v17
	s_waitcnt lgkmcnt(0)
	v_add_f64 v[13:14], v[13:14], v[18:19]
	v_add_f64 v[15:16], v[15:16], v[20:21]
	ds_write_b128 v17, v[13:16]
.LBB575_27:
	s_or_b64 exec, exec, s[0:1]
	v_cmp_gt_u32_e32 vcc, 64, v0
	s_waitcnt lgkmcnt(0)
	s_barrier
	s_and_saveexec_b64 s[0:1], vcc
	s_cbranch_execz .LBB575_29
; %bb.28:
	ds_read_b128 v[13:16], v17 offset:1024
	ds_read_b128 v[18:21], v17
	s_waitcnt lgkmcnt(0)
	v_add_f64 v[13:14], v[13:14], v[18:19]
	v_add_f64 v[15:16], v[15:16], v[20:21]
	ds_write_b128 v17, v[13:16]
.LBB575_29:
	s_or_b64 exec, exec, s[0:1]
	v_cmp_gt_u32_e32 vcc, 32, v0
	s_waitcnt lgkmcnt(0)
	s_and_saveexec_b64 s[0:1], vcc
	s_cbranch_execz .LBB575_31
; %bb.30:
	ds_read_b128 v[9:12], v17 offset:512
	ds_read_b128 v[13:16], v17
	s_waitcnt lgkmcnt(0)
	v_add_f64 v[9:10], v[9:10], v[13:14]
	v_add_f64 v[11:12], v[11:12], v[15:16]
.LBB575_31:
	s_or_b64 exec, exec, s[0:1]
	v_mov_b32_e32 v16, v12
	v_mov_b32_e32 v14, v10
	;; [unrolled: 1-line block ×4, first 2 shown]
.LBB575_32:
	v_cmp_gt_u32_e32 vcc, 32, v0
	s_and_b64 exec, exec, vcc
	s_cbranch_execz .LBB575_37
; %bb.33:
	v_mul_f64 v[9:10], v[15:16], -v[7:8]
	v_mul_f64 v[11:12], v[5:6], v[15:16]
	v_cmp_eq_f64_e32 vcc, 0, v[1:2]
	v_cmp_eq_f64_e64 s[0:1], 0, v[3:4]
	v_fma_f64 v[5:6], v[5:6], v[13:14], v[9:10]
	v_fma_f64 v[7:8], v[7:8], v[13:14], v[11:12]
	s_and_b64 s[0:1], vcc, s[0:1]
	s_and_saveexec_b64 s[4:5], s[0:1]
	s_xor_b64 s[0:1], exec, s[4:5]
	s_cbranch_execz .LBB575_35
; %bb.34:
	s_lshl_b64 s[4:5], s[6:7], 9
	s_add_u32 s4, s2, s4
	s_addc_u32 s5, s3, s5
	global_store_dwordx4 v17, v[5:8], s[4:5]
                                        ; implicit-def: $vgpr17
                                        ; implicit-def: $vgpr1_vgpr2
                                        ; implicit-def: $vgpr5_vgpr6
.LBB575_35:
	s_andn2_saveexec_b64 s[0:1], s[0:1]
	s_cbranch_execz .LBB575_37
; %bb.36:
	s_lshl_b64 s[0:1], s[6:7], 9
	s_add_u32 s0, s2, s0
	s_addc_u32 s1, s3, s1
	global_load_dwordx4 v[9:12], v17, s[0:1]
	s_waitcnt vmcnt(0)
	v_fma_f64 v[5:6], v[1:2], v[9:10], v[5:6]
	v_fma_f64 v[7:8], v[3:4], v[9:10], v[7:8]
	v_fma_f64 v[3:4], -v[3:4], v[11:12], v[5:6]
	v_fma_f64 v[5:6], v[1:2], v[11:12], v[7:8]
	global_store_dwordx4 v17, v[3:6], s[0:1]
.LBB575_37:
	s_endpgm
	.section	.rodata,"a",@progbits
	.p2align	6, 0x0
	.amdhsa_kernel _ZN9rocsparseL20bsrxmvn_17_32_kernelILj32E21rocsparse_complex_numIdEllS1_IfES2_S2_EEvT2_20rocsparse_direction_NS_24const_host_device_scalarIT0_EES4_PKS4_PKT1_SD_SA_PKT3_PKT4_S8_PT5_21rocsparse_index_base_b
		.amdhsa_group_segment_fixed_size 16384
		.amdhsa_private_segment_fixed_size 0
		.amdhsa_kernarg_size 120
		.amdhsa_user_sgpr_count 6
		.amdhsa_user_sgpr_private_segment_buffer 1
		.amdhsa_user_sgpr_dispatch_ptr 0
		.amdhsa_user_sgpr_queue_ptr 0
		.amdhsa_user_sgpr_kernarg_segment_ptr 1
		.amdhsa_user_sgpr_dispatch_id 0
		.amdhsa_user_sgpr_flat_scratch_init 0
		.amdhsa_user_sgpr_private_segment_size 0
		.amdhsa_uses_dynamic_stack 0
		.amdhsa_system_sgpr_private_segment_wavefront_offset 0
		.amdhsa_system_sgpr_workgroup_id_x 1
		.amdhsa_system_sgpr_workgroup_id_y 0
		.amdhsa_system_sgpr_workgroup_id_z 0
		.amdhsa_system_sgpr_workgroup_info 0
		.amdhsa_system_vgpr_workitem_id 0
		.amdhsa_next_free_vgpr 29
		.amdhsa_next_free_sgpr 61
		.amdhsa_reserve_vcc 1
		.amdhsa_reserve_flat_scratch 0
		.amdhsa_float_round_mode_32 0
		.amdhsa_float_round_mode_16_64 0
		.amdhsa_float_denorm_mode_32 3
		.amdhsa_float_denorm_mode_16_64 3
		.amdhsa_dx10_clamp 1
		.amdhsa_ieee_mode 1
		.amdhsa_fp16_overflow 0
		.amdhsa_exception_fp_ieee_invalid_op 0
		.amdhsa_exception_fp_denorm_src 0
		.amdhsa_exception_fp_ieee_div_zero 0
		.amdhsa_exception_fp_ieee_overflow 0
		.amdhsa_exception_fp_ieee_underflow 0
		.amdhsa_exception_fp_ieee_inexact 0
		.amdhsa_exception_int_div_zero 0
	.end_amdhsa_kernel
	.section	.text._ZN9rocsparseL20bsrxmvn_17_32_kernelILj32E21rocsparse_complex_numIdEllS1_IfES2_S2_EEvT2_20rocsparse_direction_NS_24const_host_device_scalarIT0_EES4_PKS4_PKT1_SD_SA_PKT3_PKT4_S8_PT5_21rocsparse_index_base_b,"axG",@progbits,_ZN9rocsparseL20bsrxmvn_17_32_kernelILj32E21rocsparse_complex_numIdEllS1_IfES2_S2_EEvT2_20rocsparse_direction_NS_24const_host_device_scalarIT0_EES4_PKS4_PKT1_SD_SA_PKT3_PKT4_S8_PT5_21rocsparse_index_base_b,comdat
.Lfunc_end575:
	.size	_ZN9rocsparseL20bsrxmvn_17_32_kernelILj32E21rocsparse_complex_numIdEllS1_IfES2_S2_EEvT2_20rocsparse_direction_NS_24const_host_device_scalarIT0_EES4_PKS4_PKT1_SD_SA_PKT3_PKT4_S8_PT5_21rocsparse_index_base_b, .Lfunc_end575-_ZN9rocsparseL20bsrxmvn_17_32_kernelILj32E21rocsparse_complex_numIdEllS1_IfES2_S2_EEvT2_20rocsparse_direction_NS_24const_host_device_scalarIT0_EES4_PKS4_PKT1_SD_SA_PKT3_PKT4_S8_PT5_21rocsparse_index_base_b
                                        ; -- End function
	.set _ZN9rocsparseL20bsrxmvn_17_32_kernelILj32E21rocsparse_complex_numIdEllS1_IfES2_S2_EEvT2_20rocsparse_direction_NS_24const_host_device_scalarIT0_EES4_PKS4_PKT1_SD_SA_PKT3_PKT4_S8_PT5_21rocsparse_index_base_b.num_vgpr, 28
	.set _ZN9rocsparseL20bsrxmvn_17_32_kernelILj32E21rocsparse_complex_numIdEllS1_IfES2_S2_EEvT2_20rocsparse_direction_NS_24const_host_device_scalarIT0_EES4_PKS4_PKT1_SD_SA_PKT3_PKT4_S8_PT5_21rocsparse_index_base_b.num_agpr, 0
	.set _ZN9rocsparseL20bsrxmvn_17_32_kernelILj32E21rocsparse_complex_numIdEllS1_IfES2_S2_EEvT2_20rocsparse_direction_NS_24const_host_device_scalarIT0_EES4_PKS4_PKT1_SD_SA_PKT3_PKT4_S8_PT5_21rocsparse_index_base_b.numbered_sgpr, 22
	.set _ZN9rocsparseL20bsrxmvn_17_32_kernelILj32E21rocsparse_complex_numIdEllS1_IfES2_S2_EEvT2_20rocsparse_direction_NS_24const_host_device_scalarIT0_EES4_PKS4_PKT1_SD_SA_PKT3_PKT4_S8_PT5_21rocsparse_index_base_b.num_named_barrier, 0
	.set _ZN9rocsparseL20bsrxmvn_17_32_kernelILj32E21rocsparse_complex_numIdEllS1_IfES2_S2_EEvT2_20rocsparse_direction_NS_24const_host_device_scalarIT0_EES4_PKS4_PKT1_SD_SA_PKT3_PKT4_S8_PT5_21rocsparse_index_base_b.private_seg_size, 0
	.set _ZN9rocsparseL20bsrxmvn_17_32_kernelILj32E21rocsparse_complex_numIdEllS1_IfES2_S2_EEvT2_20rocsparse_direction_NS_24const_host_device_scalarIT0_EES4_PKS4_PKT1_SD_SA_PKT3_PKT4_S8_PT5_21rocsparse_index_base_b.uses_vcc, 1
	.set _ZN9rocsparseL20bsrxmvn_17_32_kernelILj32E21rocsparse_complex_numIdEllS1_IfES2_S2_EEvT2_20rocsparse_direction_NS_24const_host_device_scalarIT0_EES4_PKS4_PKT1_SD_SA_PKT3_PKT4_S8_PT5_21rocsparse_index_base_b.uses_flat_scratch, 0
	.set _ZN9rocsparseL20bsrxmvn_17_32_kernelILj32E21rocsparse_complex_numIdEllS1_IfES2_S2_EEvT2_20rocsparse_direction_NS_24const_host_device_scalarIT0_EES4_PKS4_PKT1_SD_SA_PKT3_PKT4_S8_PT5_21rocsparse_index_base_b.has_dyn_sized_stack, 0
	.set _ZN9rocsparseL20bsrxmvn_17_32_kernelILj32E21rocsparse_complex_numIdEllS1_IfES2_S2_EEvT2_20rocsparse_direction_NS_24const_host_device_scalarIT0_EES4_PKS4_PKT1_SD_SA_PKT3_PKT4_S8_PT5_21rocsparse_index_base_b.has_recursion, 0
	.set _ZN9rocsparseL20bsrxmvn_17_32_kernelILj32E21rocsparse_complex_numIdEllS1_IfES2_S2_EEvT2_20rocsparse_direction_NS_24const_host_device_scalarIT0_EES4_PKS4_PKT1_SD_SA_PKT3_PKT4_S8_PT5_21rocsparse_index_base_b.has_indirect_call, 0
	.section	.AMDGPU.csdata,"",@progbits
; Kernel info:
; codeLenInByte = 1556
; TotalNumSgprs: 26
; NumVgprs: 28
; ScratchSize: 0
; MemoryBound: 0
; FloatMode: 240
; IeeeMode: 1
; LDSByteSize: 16384 bytes/workgroup (compile time only)
; SGPRBlocks: 8
; VGPRBlocks: 7
; NumSGPRsForWavesPerEU: 65
; NumVGPRsForWavesPerEU: 29
; Occupancy: 8
; WaveLimiterHint : 1
; COMPUTE_PGM_RSRC2:SCRATCH_EN: 0
; COMPUTE_PGM_RSRC2:USER_SGPR: 6
; COMPUTE_PGM_RSRC2:TRAP_HANDLER: 0
; COMPUTE_PGM_RSRC2:TGID_X_EN: 1
; COMPUTE_PGM_RSRC2:TGID_Y_EN: 0
; COMPUTE_PGM_RSRC2:TGID_Z_EN: 0
; COMPUTE_PGM_RSRC2:TIDIG_COMP_CNT: 0
	.section	.AMDGPU.gpr_maximums,"",@progbits
	.set amdgpu.max_num_vgpr, 0
	.set amdgpu.max_num_agpr, 0
	.set amdgpu.max_num_sgpr, 0
	.section	.AMDGPU.csdata,"",@progbits
	.type	__hip_cuid_106124ec03611174,@object ; @__hip_cuid_106124ec03611174
	.section	.bss,"aw",@nobits
	.globl	__hip_cuid_106124ec03611174
__hip_cuid_106124ec03611174:
	.byte	0                               ; 0x0
	.size	__hip_cuid_106124ec03611174, 1

	.ident	"AMD clang version 22.0.0git (https://github.com/RadeonOpenCompute/llvm-project roc-7.2.4 26084 f58b06dce1f9c15707c5f808fd002e18c2accf7e)"
	.section	".note.GNU-stack","",@progbits
	.addrsig
	.addrsig_sym __hip_cuid_106124ec03611174
	.amdgpu_metadata
---
amdhsa.kernels:
  - .args:
      - .offset:         0
        .size:           4
        .value_kind:     by_value
      - .offset:         4
        .size:           4
        .value_kind:     by_value
      - .offset:         8
        .size:           8
        .value_kind:     by_value
      - .offset:         16
        .size:           4
        .value_kind:     by_value
      - .actual_access:  read_only
        .address_space:  global
        .offset:         24
        .size:           8
        .value_kind:     global_buffer
      - .actual_access:  read_only
        .address_space:  global
        .offset:         32
        .size:           8
        .value_kind:     global_buffer
      - .actual_access:  read_only
        .address_space:  global
        .offset:         40
        .size:           8
        .value_kind:     global_buffer
      - .actual_access:  read_only
        .address_space:  global
        .offset:         48
        .size:           8
        .value_kind:     global_buffer
      - .actual_access:  read_only
        .address_space:  global
        .offset:         56
        .size:           8
        .value_kind:     global_buffer
      - .actual_access:  read_only
        .address_space:  global
        .offset:         64
        .size:           8
        .value_kind:     global_buffer
      - .offset:         72
        .size:           8
        .value_kind:     by_value
      - .address_space:  global
        .offset:         80
        .size:           8
        .value_kind:     global_buffer
      - .offset:         88
        .size:           4
        .value_kind:     by_value
      - .offset:         92
        .size:           1
        .value_kind:     by_value
    .group_segment_fixed_size: 1156
    .kernarg_segment_align: 8
    .kernarg_segment_size: 96
    .language:       OpenCL C
    .language_version:
      - 2
      - 0
    .max_flat_workgroup_size: 289
    .name:           _ZN9rocsparseL20bsrxmvn_17_32_kernelILj17EfiifffEEvT2_20rocsparse_direction_NS_24const_host_device_scalarIT0_EES1_PKS1_PKT1_SA_S7_PKT3_PKT4_S5_PT5_21rocsparse_index_base_b
    .private_segment_fixed_size: 0
    .sgpr_count:     26
    .sgpr_spill_count: 0
    .symbol:         _ZN9rocsparseL20bsrxmvn_17_32_kernelILj17EfiifffEEvT2_20rocsparse_direction_NS_24const_host_device_scalarIT0_EES1_PKS1_PKT1_SA_S7_PKT3_PKT4_S5_PT5_21rocsparse_index_base_b.kd
    .uniform_work_group_size: 1
    .uses_dynamic_stack: false
    .vgpr_count:     12
    .vgpr_spill_count: 0
    .wavefront_size: 64
  - .args:
      - .offset:         0
        .size:           4
        .value_kind:     by_value
      - .offset:         4
        .size:           4
        .value_kind:     by_value
      - .offset:         8
        .size:           8
        .value_kind:     by_value
      - .offset:         16
        .size:           4
        .value_kind:     by_value
      - .actual_access:  read_only
        .address_space:  global
        .offset:         24
        .size:           8
        .value_kind:     global_buffer
      - .actual_access:  read_only
        .address_space:  global
        .offset:         32
        .size:           8
        .value_kind:     global_buffer
      - .actual_access:  read_only
        .address_space:  global
        .offset:         40
        .size:           8
        .value_kind:     global_buffer
      - .actual_access:  read_only
        .address_space:  global
        .offset:         48
        .size:           8
        .value_kind:     global_buffer
      - .actual_access:  read_only
        .address_space:  global
        .offset:         56
        .size:           8
        .value_kind:     global_buffer
      - .actual_access:  read_only
        .address_space:  global
        .offset:         64
        .size:           8
        .value_kind:     global_buffer
      - .offset:         72
        .size:           8
        .value_kind:     by_value
      - .address_space:  global
        .offset:         80
        .size:           8
        .value_kind:     global_buffer
      - .offset:         88
        .size:           4
        .value_kind:     by_value
      - .offset:         92
        .size:           1
        .value_kind:     by_value
    .group_segment_fixed_size: 1296
    .kernarg_segment_align: 8
    .kernarg_segment_size: 96
    .language:       OpenCL C
    .language_version:
      - 2
      - 0
    .max_flat_workgroup_size: 324
    .name:           _ZN9rocsparseL20bsrxmvn_17_32_kernelILj18EfiifffEEvT2_20rocsparse_direction_NS_24const_host_device_scalarIT0_EES1_PKS1_PKT1_SA_S7_PKT3_PKT4_S5_PT5_21rocsparse_index_base_b
    .private_segment_fixed_size: 0
    .sgpr_count:     26
    .sgpr_spill_count: 0
    .symbol:         _ZN9rocsparseL20bsrxmvn_17_32_kernelILj18EfiifffEEvT2_20rocsparse_direction_NS_24const_host_device_scalarIT0_EES1_PKS1_PKT1_SA_S7_PKT3_PKT4_S5_PT5_21rocsparse_index_base_b.kd
    .uniform_work_group_size: 1
    .uses_dynamic_stack: false
    .vgpr_count:     12
    .vgpr_spill_count: 0
    .wavefront_size: 64
  - .args:
      - .offset:         0
        .size:           4
        .value_kind:     by_value
      - .offset:         4
        .size:           4
        .value_kind:     by_value
      - .offset:         8
        .size:           8
        .value_kind:     by_value
      - .offset:         16
        .size:           4
        .value_kind:     by_value
      - .actual_access:  read_only
        .address_space:  global
        .offset:         24
        .size:           8
        .value_kind:     global_buffer
      - .actual_access:  read_only
        .address_space:  global
        .offset:         32
        .size:           8
        .value_kind:     global_buffer
      - .actual_access:  read_only
        .address_space:  global
        .offset:         40
        .size:           8
        .value_kind:     global_buffer
      - .actual_access:  read_only
        .address_space:  global
        .offset:         48
        .size:           8
        .value_kind:     global_buffer
      - .actual_access:  read_only
        .address_space:  global
        .offset:         56
        .size:           8
        .value_kind:     global_buffer
      - .actual_access:  read_only
        .address_space:  global
        .offset:         64
        .size:           8
        .value_kind:     global_buffer
      - .offset:         72
        .size:           8
        .value_kind:     by_value
      - .address_space:  global
        .offset:         80
        .size:           8
        .value_kind:     global_buffer
      - .offset:         88
        .size:           4
        .value_kind:     by_value
      - .offset:         92
        .size:           1
        .value_kind:     by_value
    .group_segment_fixed_size: 1444
    .kernarg_segment_align: 8
    .kernarg_segment_size: 96
    .language:       OpenCL C
    .language_version:
      - 2
      - 0
    .max_flat_workgroup_size: 361
    .name:           _ZN9rocsparseL20bsrxmvn_17_32_kernelILj19EfiifffEEvT2_20rocsparse_direction_NS_24const_host_device_scalarIT0_EES1_PKS1_PKT1_SA_S7_PKT3_PKT4_S5_PT5_21rocsparse_index_base_b
    .private_segment_fixed_size: 0
    .sgpr_count:     26
    .sgpr_spill_count: 0
    .symbol:         _ZN9rocsparseL20bsrxmvn_17_32_kernelILj19EfiifffEEvT2_20rocsparse_direction_NS_24const_host_device_scalarIT0_EES1_PKS1_PKT1_SA_S7_PKT3_PKT4_S5_PT5_21rocsparse_index_base_b.kd
    .uniform_work_group_size: 1
    .uses_dynamic_stack: false
    .vgpr_count:     12
    .vgpr_spill_count: 0
    .wavefront_size: 64
  - .args:
      - .offset:         0
        .size:           4
        .value_kind:     by_value
      - .offset:         4
        .size:           4
        .value_kind:     by_value
      - .offset:         8
        .size:           8
        .value_kind:     by_value
      - .offset:         16
        .size:           4
        .value_kind:     by_value
      - .actual_access:  read_only
        .address_space:  global
        .offset:         24
        .size:           8
        .value_kind:     global_buffer
      - .actual_access:  read_only
        .address_space:  global
        .offset:         32
        .size:           8
        .value_kind:     global_buffer
      - .actual_access:  read_only
        .address_space:  global
        .offset:         40
        .size:           8
        .value_kind:     global_buffer
      - .actual_access:  read_only
        .address_space:  global
        .offset:         48
        .size:           8
        .value_kind:     global_buffer
      - .actual_access:  read_only
        .address_space:  global
        .offset:         56
        .size:           8
        .value_kind:     global_buffer
      - .actual_access:  read_only
        .address_space:  global
        .offset:         64
        .size:           8
        .value_kind:     global_buffer
      - .offset:         72
        .size:           8
        .value_kind:     by_value
      - .address_space:  global
        .offset:         80
        .size:           8
        .value_kind:     global_buffer
      - .offset:         88
        .size:           4
        .value_kind:     by_value
      - .offset:         92
        .size:           1
        .value_kind:     by_value
    .group_segment_fixed_size: 1600
    .kernarg_segment_align: 8
    .kernarg_segment_size: 96
    .language:       OpenCL C
    .language_version:
      - 2
      - 0
    .max_flat_workgroup_size: 400
    .name:           _ZN9rocsparseL20bsrxmvn_17_32_kernelILj20EfiifffEEvT2_20rocsparse_direction_NS_24const_host_device_scalarIT0_EES1_PKS1_PKT1_SA_S7_PKT3_PKT4_S5_PT5_21rocsparse_index_base_b
    .private_segment_fixed_size: 0
    .sgpr_count:     26
    .sgpr_spill_count: 0
    .symbol:         _ZN9rocsparseL20bsrxmvn_17_32_kernelILj20EfiifffEEvT2_20rocsparse_direction_NS_24const_host_device_scalarIT0_EES1_PKS1_PKT1_SA_S7_PKT3_PKT4_S5_PT5_21rocsparse_index_base_b.kd
    .uniform_work_group_size: 1
    .uses_dynamic_stack: false
    .vgpr_count:     12
    .vgpr_spill_count: 0
    .wavefront_size: 64
  - .args:
      - .offset:         0
        .size:           4
        .value_kind:     by_value
      - .offset:         4
        .size:           4
        .value_kind:     by_value
      - .offset:         8
        .size:           8
        .value_kind:     by_value
      - .offset:         16
        .size:           4
        .value_kind:     by_value
      - .actual_access:  read_only
        .address_space:  global
        .offset:         24
        .size:           8
        .value_kind:     global_buffer
      - .actual_access:  read_only
        .address_space:  global
        .offset:         32
        .size:           8
        .value_kind:     global_buffer
      - .actual_access:  read_only
        .address_space:  global
        .offset:         40
        .size:           8
        .value_kind:     global_buffer
      - .actual_access:  read_only
        .address_space:  global
        .offset:         48
        .size:           8
        .value_kind:     global_buffer
      - .actual_access:  read_only
        .address_space:  global
        .offset:         56
        .size:           8
        .value_kind:     global_buffer
      - .actual_access:  read_only
        .address_space:  global
        .offset:         64
        .size:           8
        .value_kind:     global_buffer
      - .offset:         72
        .size:           8
        .value_kind:     by_value
      - .address_space:  global
        .offset:         80
        .size:           8
        .value_kind:     global_buffer
      - .offset:         88
        .size:           4
        .value_kind:     by_value
      - .offset:         92
        .size:           1
        .value_kind:     by_value
    .group_segment_fixed_size: 1764
    .kernarg_segment_align: 8
    .kernarg_segment_size: 96
    .language:       OpenCL C
    .language_version:
      - 2
      - 0
    .max_flat_workgroup_size: 441
    .name:           _ZN9rocsparseL20bsrxmvn_17_32_kernelILj21EfiifffEEvT2_20rocsparse_direction_NS_24const_host_device_scalarIT0_EES1_PKS1_PKT1_SA_S7_PKT3_PKT4_S5_PT5_21rocsparse_index_base_b
    .private_segment_fixed_size: 0
    .sgpr_count:     26
    .sgpr_spill_count: 0
    .symbol:         _ZN9rocsparseL20bsrxmvn_17_32_kernelILj21EfiifffEEvT2_20rocsparse_direction_NS_24const_host_device_scalarIT0_EES1_PKS1_PKT1_SA_S7_PKT3_PKT4_S5_PT5_21rocsparse_index_base_b.kd
    .uniform_work_group_size: 1
    .uses_dynamic_stack: false
    .vgpr_count:     12
    .vgpr_spill_count: 0
    .wavefront_size: 64
  - .args:
      - .offset:         0
        .size:           4
        .value_kind:     by_value
      - .offset:         4
        .size:           4
        .value_kind:     by_value
      - .offset:         8
        .size:           8
        .value_kind:     by_value
      - .offset:         16
        .size:           4
        .value_kind:     by_value
      - .actual_access:  read_only
        .address_space:  global
        .offset:         24
        .size:           8
        .value_kind:     global_buffer
      - .actual_access:  read_only
        .address_space:  global
        .offset:         32
        .size:           8
        .value_kind:     global_buffer
      - .actual_access:  read_only
        .address_space:  global
        .offset:         40
        .size:           8
        .value_kind:     global_buffer
      - .actual_access:  read_only
        .address_space:  global
        .offset:         48
        .size:           8
        .value_kind:     global_buffer
      - .actual_access:  read_only
        .address_space:  global
        .offset:         56
        .size:           8
        .value_kind:     global_buffer
      - .actual_access:  read_only
        .address_space:  global
        .offset:         64
        .size:           8
        .value_kind:     global_buffer
      - .offset:         72
        .size:           8
        .value_kind:     by_value
      - .address_space:  global
        .offset:         80
        .size:           8
        .value_kind:     global_buffer
      - .offset:         88
        .size:           4
        .value_kind:     by_value
      - .offset:         92
        .size:           1
        .value_kind:     by_value
    .group_segment_fixed_size: 1936
    .kernarg_segment_align: 8
    .kernarg_segment_size: 96
    .language:       OpenCL C
    .language_version:
      - 2
      - 0
    .max_flat_workgroup_size: 484
    .name:           _ZN9rocsparseL20bsrxmvn_17_32_kernelILj22EfiifffEEvT2_20rocsparse_direction_NS_24const_host_device_scalarIT0_EES1_PKS1_PKT1_SA_S7_PKT3_PKT4_S5_PT5_21rocsparse_index_base_b
    .private_segment_fixed_size: 0
    .sgpr_count:     26
    .sgpr_spill_count: 0
    .symbol:         _ZN9rocsparseL20bsrxmvn_17_32_kernelILj22EfiifffEEvT2_20rocsparse_direction_NS_24const_host_device_scalarIT0_EES1_PKS1_PKT1_SA_S7_PKT3_PKT4_S5_PT5_21rocsparse_index_base_b.kd
    .uniform_work_group_size: 1
    .uses_dynamic_stack: false
    .vgpr_count:     12
    .vgpr_spill_count: 0
    .wavefront_size: 64
  - .args:
      - .offset:         0
        .size:           4
        .value_kind:     by_value
      - .offset:         4
        .size:           4
        .value_kind:     by_value
      - .offset:         8
        .size:           8
        .value_kind:     by_value
      - .offset:         16
        .size:           4
        .value_kind:     by_value
      - .actual_access:  read_only
        .address_space:  global
        .offset:         24
        .size:           8
        .value_kind:     global_buffer
      - .actual_access:  read_only
        .address_space:  global
        .offset:         32
        .size:           8
        .value_kind:     global_buffer
      - .actual_access:  read_only
        .address_space:  global
        .offset:         40
        .size:           8
        .value_kind:     global_buffer
      - .actual_access:  read_only
        .address_space:  global
        .offset:         48
        .size:           8
        .value_kind:     global_buffer
      - .actual_access:  read_only
        .address_space:  global
        .offset:         56
        .size:           8
        .value_kind:     global_buffer
      - .actual_access:  read_only
        .address_space:  global
        .offset:         64
        .size:           8
        .value_kind:     global_buffer
      - .offset:         72
        .size:           8
        .value_kind:     by_value
      - .address_space:  global
        .offset:         80
        .size:           8
        .value_kind:     global_buffer
      - .offset:         88
        .size:           4
        .value_kind:     by_value
      - .offset:         92
        .size:           1
        .value_kind:     by_value
    .group_segment_fixed_size: 2116
    .kernarg_segment_align: 8
    .kernarg_segment_size: 96
    .language:       OpenCL C
    .language_version:
      - 2
      - 0
    .max_flat_workgroup_size: 529
    .name:           _ZN9rocsparseL20bsrxmvn_17_32_kernelILj23EfiifffEEvT2_20rocsparse_direction_NS_24const_host_device_scalarIT0_EES1_PKS1_PKT1_SA_S7_PKT3_PKT4_S5_PT5_21rocsparse_index_base_b
    .private_segment_fixed_size: 0
    .sgpr_count:     26
    .sgpr_spill_count: 0
    .symbol:         _ZN9rocsparseL20bsrxmvn_17_32_kernelILj23EfiifffEEvT2_20rocsparse_direction_NS_24const_host_device_scalarIT0_EES1_PKS1_PKT1_SA_S7_PKT3_PKT4_S5_PT5_21rocsparse_index_base_b.kd
    .uniform_work_group_size: 1
    .uses_dynamic_stack: false
    .vgpr_count:     12
    .vgpr_spill_count: 0
    .wavefront_size: 64
  - .args:
      - .offset:         0
        .size:           4
        .value_kind:     by_value
      - .offset:         4
        .size:           4
        .value_kind:     by_value
      - .offset:         8
        .size:           8
        .value_kind:     by_value
      - .offset:         16
        .size:           4
        .value_kind:     by_value
      - .actual_access:  read_only
        .address_space:  global
        .offset:         24
        .size:           8
        .value_kind:     global_buffer
      - .actual_access:  read_only
        .address_space:  global
        .offset:         32
        .size:           8
        .value_kind:     global_buffer
      - .actual_access:  read_only
        .address_space:  global
        .offset:         40
        .size:           8
        .value_kind:     global_buffer
      - .actual_access:  read_only
        .address_space:  global
        .offset:         48
        .size:           8
        .value_kind:     global_buffer
      - .actual_access:  read_only
        .address_space:  global
        .offset:         56
        .size:           8
        .value_kind:     global_buffer
      - .actual_access:  read_only
        .address_space:  global
        .offset:         64
        .size:           8
        .value_kind:     global_buffer
      - .offset:         72
        .size:           8
        .value_kind:     by_value
      - .address_space:  global
        .offset:         80
        .size:           8
        .value_kind:     global_buffer
      - .offset:         88
        .size:           4
        .value_kind:     by_value
      - .offset:         92
        .size:           1
        .value_kind:     by_value
    .group_segment_fixed_size: 2304
    .kernarg_segment_align: 8
    .kernarg_segment_size: 96
    .language:       OpenCL C
    .language_version:
      - 2
      - 0
    .max_flat_workgroup_size: 576
    .name:           _ZN9rocsparseL20bsrxmvn_17_32_kernelILj24EfiifffEEvT2_20rocsparse_direction_NS_24const_host_device_scalarIT0_EES1_PKS1_PKT1_SA_S7_PKT3_PKT4_S5_PT5_21rocsparse_index_base_b
    .private_segment_fixed_size: 0
    .sgpr_count:     26
    .sgpr_spill_count: 0
    .symbol:         _ZN9rocsparseL20bsrxmvn_17_32_kernelILj24EfiifffEEvT2_20rocsparse_direction_NS_24const_host_device_scalarIT0_EES1_PKS1_PKT1_SA_S7_PKT3_PKT4_S5_PT5_21rocsparse_index_base_b.kd
    .uniform_work_group_size: 1
    .uses_dynamic_stack: false
    .vgpr_count:     12
    .vgpr_spill_count: 0
    .wavefront_size: 64
  - .args:
      - .offset:         0
        .size:           4
        .value_kind:     by_value
      - .offset:         4
        .size:           4
        .value_kind:     by_value
      - .offset:         8
        .size:           8
        .value_kind:     by_value
      - .offset:         16
        .size:           4
        .value_kind:     by_value
      - .actual_access:  read_only
        .address_space:  global
        .offset:         24
        .size:           8
        .value_kind:     global_buffer
      - .actual_access:  read_only
        .address_space:  global
        .offset:         32
        .size:           8
        .value_kind:     global_buffer
      - .actual_access:  read_only
        .address_space:  global
        .offset:         40
        .size:           8
        .value_kind:     global_buffer
      - .actual_access:  read_only
        .address_space:  global
        .offset:         48
        .size:           8
        .value_kind:     global_buffer
      - .actual_access:  read_only
        .address_space:  global
        .offset:         56
        .size:           8
        .value_kind:     global_buffer
      - .actual_access:  read_only
        .address_space:  global
        .offset:         64
        .size:           8
        .value_kind:     global_buffer
      - .offset:         72
        .size:           8
        .value_kind:     by_value
      - .address_space:  global
        .offset:         80
        .size:           8
        .value_kind:     global_buffer
      - .offset:         88
        .size:           4
        .value_kind:     by_value
      - .offset:         92
        .size:           1
        .value_kind:     by_value
    .group_segment_fixed_size: 2500
    .kernarg_segment_align: 8
    .kernarg_segment_size: 96
    .language:       OpenCL C
    .language_version:
      - 2
      - 0
    .max_flat_workgroup_size: 625
    .name:           _ZN9rocsparseL20bsrxmvn_17_32_kernelILj25EfiifffEEvT2_20rocsparse_direction_NS_24const_host_device_scalarIT0_EES1_PKS1_PKT1_SA_S7_PKT3_PKT4_S5_PT5_21rocsparse_index_base_b
    .private_segment_fixed_size: 0
    .sgpr_count:     26
    .sgpr_spill_count: 0
    .symbol:         _ZN9rocsparseL20bsrxmvn_17_32_kernelILj25EfiifffEEvT2_20rocsparse_direction_NS_24const_host_device_scalarIT0_EES1_PKS1_PKT1_SA_S7_PKT3_PKT4_S5_PT5_21rocsparse_index_base_b.kd
    .uniform_work_group_size: 1
    .uses_dynamic_stack: false
    .vgpr_count:     12
    .vgpr_spill_count: 0
    .wavefront_size: 64
  - .args:
      - .offset:         0
        .size:           4
        .value_kind:     by_value
      - .offset:         4
        .size:           4
        .value_kind:     by_value
      - .offset:         8
        .size:           8
        .value_kind:     by_value
      - .offset:         16
        .size:           4
        .value_kind:     by_value
      - .actual_access:  read_only
        .address_space:  global
        .offset:         24
        .size:           8
        .value_kind:     global_buffer
      - .actual_access:  read_only
        .address_space:  global
        .offset:         32
        .size:           8
        .value_kind:     global_buffer
      - .actual_access:  read_only
        .address_space:  global
        .offset:         40
        .size:           8
        .value_kind:     global_buffer
      - .actual_access:  read_only
        .address_space:  global
        .offset:         48
        .size:           8
        .value_kind:     global_buffer
      - .actual_access:  read_only
        .address_space:  global
        .offset:         56
        .size:           8
        .value_kind:     global_buffer
      - .actual_access:  read_only
        .address_space:  global
        .offset:         64
        .size:           8
        .value_kind:     global_buffer
      - .offset:         72
        .size:           8
        .value_kind:     by_value
      - .address_space:  global
        .offset:         80
        .size:           8
        .value_kind:     global_buffer
      - .offset:         88
        .size:           4
        .value_kind:     by_value
      - .offset:         92
        .size:           1
        .value_kind:     by_value
    .group_segment_fixed_size: 2704
    .kernarg_segment_align: 8
    .kernarg_segment_size: 96
    .language:       OpenCL C
    .language_version:
      - 2
      - 0
    .max_flat_workgroup_size: 676
    .name:           _ZN9rocsparseL20bsrxmvn_17_32_kernelILj26EfiifffEEvT2_20rocsparse_direction_NS_24const_host_device_scalarIT0_EES1_PKS1_PKT1_SA_S7_PKT3_PKT4_S5_PT5_21rocsparse_index_base_b
    .private_segment_fixed_size: 0
    .sgpr_count:     26
    .sgpr_spill_count: 0
    .symbol:         _ZN9rocsparseL20bsrxmvn_17_32_kernelILj26EfiifffEEvT2_20rocsparse_direction_NS_24const_host_device_scalarIT0_EES1_PKS1_PKT1_SA_S7_PKT3_PKT4_S5_PT5_21rocsparse_index_base_b.kd
    .uniform_work_group_size: 1
    .uses_dynamic_stack: false
    .vgpr_count:     12
    .vgpr_spill_count: 0
    .wavefront_size: 64
  - .args:
      - .offset:         0
        .size:           4
        .value_kind:     by_value
      - .offset:         4
        .size:           4
        .value_kind:     by_value
      - .offset:         8
        .size:           8
        .value_kind:     by_value
      - .offset:         16
        .size:           4
        .value_kind:     by_value
      - .actual_access:  read_only
        .address_space:  global
        .offset:         24
        .size:           8
        .value_kind:     global_buffer
      - .actual_access:  read_only
        .address_space:  global
        .offset:         32
        .size:           8
        .value_kind:     global_buffer
      - .actual_access:  read_only
        .address_space:  global
        .offset:         40
        .size:           8
        .value_kind:     global_buffer
      - .actual_access:  read_only
        .address_space:  global
        .offset:         48
        .size:           8
        .value_kind:     global_buffer
      - .actual_access:  read_only
        .address_space:  global
        .offset:         56
        .size:           8
        .value_kind:     global_buffer
      - .actual_access:  read_only
        .address_space:  global
        .offset:         64
        .size:           8
        .value_kind:     global_buffer
      - .offset:         72
        .size:           8
        .value_kind:     by_value
      - .address_space:  global
        .offset:         80
        .size:           8
        .value_kind:     global_buffer
      - .offset:         88
        .size:           4
        .value_kind:     by_value
      - .offset:         92
        .size:           1
        .value_kind:     by_value
    .group_segment_fixed_size: 2916
    .kernarg_segment_align: 8
    .kernarg_segment_size: 96
    .language:       OpenCL C
    .language_version:
      - 2
      - 0
    .max_flat_workgroup_size: 729
    .name:           _ZN9rocsparseL20bsrxmvn_17_32_kernelILj27EfiifffEEvT2_20rocsparse_direction_NS_24const_host_device_scalarIT0_EES1_PKS1_PKT1_SA_S7_PKT3_PKT4_S5_PT5_21rocsparse_index_base_b
    .private_segment_fixed_size: 0
    .sgpr_count:     26
    .sgpr_spill_count: 0
    .symbol:         _ZN9rocsparseL20bsrxmvn_17_32_kernelILj27EfiifffEEvT2_20rocsparse_direction_NS_24const_host_device_scalarIT0_EES1_PKS1_PKT1_SA_S7_PKT3_PKT4_S5_PT5_21rocsparse_index_base_b.kd
    .uniform_work_group_size: 1
    .uses_dynamic_stack: false
    .vgpr_count:     12
    .vgpr_spill_count: 0
    .wavefront_size: 64
  - .args:
      - .offset:         0
        .size:           4
        .value_kind:     by_value
      - .offset:         4
        .size:           4
        .value_kind:     by_value
      - .offset:         8
        .size:           8
        .value_kind:     by_value
      - .offset:         16
        .size:           4
        .value_kind:     by_value
      - .actual_access:  read_only
        .address_space:  global
        .offset:         24
        .size:           8
        .value_kind:     global_buffer
      - .actual_access:  read_only
        .address_space:  global
        .offset:         32
        .size:           8
        .value_kind:     global_buffer
      - .actual_access:  read_only
        .address_space:  global
        .offset:         40
        .size:           8
        .value_kind:     global_buffer
      - .actual_access:  read_only
        .address_space:  global
        .offset:         48
        .size:           8
        .value_kind:     global_buffer
      - .actual_access:  read_only
        .address_space:  global
        .offset:         56
        .size:           8
        .value_kind:     global_buffer
      - .actual_access:  read_only
        .address_space:  global
        .offset:         64
        .size:           8
        .value_kind:     global_buffer
      - .offset:         72
        .size:           8
        .value_kind:     by_value
      - .address_space:  global
        .offset:         80
        .size:           8
        .value_kind:     global_buffer
      - .offset:         88
        .size:           4
        .value_kind:     by_value
      - .offset:         92
        .size:           1
        .value_kind:     by_value
    .group_segment_fixed_size: 3136
    .kernarg_segment_align: 8
    .kernarg_segment_size: 96
    .language:       OpenCL C
    .language_version:
      - 2
      - 0
    .max_flat_workgroup_size: 784
    .name:           _ZN9rocsparseL20bsrxmvn_17_32_kernelILj28EfiifffEEvT2_20rocsparse_direction_NS_24const_host_device_scalarIT0_EES1_PKS1_PKT1_SA_S7_PKT3_PKT4_S5_PT5_21rocsparse_index_base_b
    .private_segment_fixed_size: 0
    .sgpr_count:     26
    .sgpr_spill_count: 0
    .symbol:         _ZN9rocsparseL20bsrxmvn_17_32_kernelILj28EfiifffEEvT2_20rocsparse_direction_NS_24const_host_device_scalarIT0_EES1_PKS1_PKT1_SA_S7_PKT3_PKT4_S5_PT5_21rocsparse_index_base_b.kd
    .uniform_work_group_size: 1
    .uses_dynamic_stack: false
    .vgpr_count:     12
    .vgpr_spill_count: 0
    .wavefront_size: 64
  - .args:
      - .offset:         0
        .size:           4
        .value_kind:     by_value
      - .offset:         4
        .size:           4
        .value_kind:     by_value
      - .offset:         8
        .size:           8
        .value_kind:     by_value
      - .offset:         16
        .size:           4
        .value_kind:     by_value
      - .actual_access:  read_only
        .address_space:  global
        .offset:         24
        .size:           8
        .value_kind:     global_buffer
      - .actual_access:  read_only
        .address_space:  global
        .offset:         32
        .size:           8
        .value_kind:     global_buffer
      - .actual_access:  read_only
        .address_space:  global
        .offset:         40
        .size:           8
        .value_kind:     global_buffer
      - .actual_access:  read_only
        .address_space:  global
        .offset:         48
        .size:           8
        .value_kind:     global_buffer
      - .actual_access:  read_only
        .address_space:  global
        .offset:         56
        .size:           8
        .value_kind:     global_buffer
      - .actual_access:  read_only
        .address_space:  global
        .offset:         64
        .size:           8
        .value_kind:     global_buffer
      - .offset:         72
        .size:           8
        .value_kind:     by_value
      - .address_space:  global
        .offset:         80
        .size:           8
        .value_kind:     global_buffer
      - .offset:         88
        .size:           4
        .value_kind:     by_value
      - .offset:         92
        .size:           1
        .value_kind:     by_value
    .group_segment_fixed_size: 3364
    .kernarg_segment_align: 8
    .kernarg_segment_size: 96
    .language:       OpenCL C
    .language_version:
      - 2
      - 0
    .max_flat_workgroup_size: 841
    .name:           _ZN9rocsparseL20bsrxmvn_17_32_kernelILj29EfiifffEEvT2_20rocsparse_direction_NS_24const_host_device_scalarIT0_EES1_PKS1_PKT1_SA_S7_PKT3_PKT4_S5_PT5_21rocsparse_index_base_b
    .private_segment_fixed_size: 0
    .sgpr_count:     26
    .sgpr_spill_count: 0
    .symbol:         _ZN9rocsparseL20bsrxmvn_17_32_kernelILj29EfiifffEEvT2_20rocsparse_direction_NS_24const_host_device_scalarIT0_EES1_PKS1_PKT1_SA_S7_PKT3_PKT4_S5_PT5_21rocsparse_index_base_b.kd
    .uniform_work_group_size: 1
    .uses_dynamic_stack: false
    .vgpr_count:     12
    .vgpr_spill_count: 0
    .wavefront_size: 64
  - .args:
      - .offset:         0
        .size:           4
        .value_kind:     by_value
      - .offset:         4
        .size:           4
        .value_kind:     by_value
      - .offset:         8
        .size:           8
        .value_kind:     by_value
      - .offset:         16
        .size:           4
        .value_kind:     by_value
      - .actual_access:  read_only
        .address_space:  global
        .offset:         24
        .size:           8
        .value_kind:     global_buffer
      - .actual_access:  read_only
        .address_space:  global
        .offset:         32
        .size:           8
        .value_kind:     global_buffer
      - .actual_access:  read_only
        .address_space:  global
        .offset:         40
        .size:           8
        .value_kind:     global_buffer
      - .actual_access:  read_only
        .address_space:  global
        .offset:         48
        .size:           8
        .value_kind:     global_buffer
      - .actual_access:  read_only
        .address_space:  global
        .offset:         56
        .size:           8
        .value_kind:     global_buffer
      - .actual_access:  read_only
        .address_space:  global
        .offset:         64
        .size:           8
        .value_kind:     global_buffer
      - .offset:         72
        .size:           8
        .value_kind:     by_value
      - .address_space:  global
        .offset:         80
        .size:           8
        .value_kind:     global_buffer
      - .offset:         88
        .size:           4
        .value_kind:     by_value
      - .offset:         92
        .size:           1
        .value_kind:     by_value
    .group_segment_fixed_size: 3600
    .kernarg_segment_align: 8
    .kernarg_segment_size: 96
    .language:       OpenCL C
    .language_version:
      - 2
      - 0
    .max_flat_workgroup_size: 900
    .name:           _ZN9rocsparseL20bsrxmvn_17_32_kernelILj30EfiifffEEvT2_20rocsparse_direction_NS_24const_host_device_scalarIT0_EES1_PKS1_PKT1_SA_S7_PKT3_PKT4_S5_PT5_21rocsparse_index_base_b
    .private_segment_fixed_size: 0
    .sgpr_count:     26
    .sgpr_spill_count: 0
    .symbol:         _ZN9rocsparseL20bsrxmvn_17_32_kernelILj30EfiifffEEvT2_20rocsparse_direction_NS_24const_host_device_scalarIT0_EES1_PKS1_PKT1_SA_S7_PKT3_PKT4_S5_PT5_21rocsparse_index_base_b.kd
    .uniform_work_group_size: 1
    .uses_dynamic_stack: false
    .vgpr_count:     12
    .vgpr_spill_count: 0
    .wavefront_size: 64
  - .args:
      - .offset:         0
        .size:           4
        .value_kind:     by_value
      - .offset:         4
        .size:           4
        .value_kind:     by_value
      - .offset:         8
        .size:           8
        .value_kind:     by_value
      - .offset:         16
        .size:           4
        .value_kind:     by_value
      - .actual_access:  read_only
        .address_space:  global
        .offset:         24
        .size:           8
        .value_kind:     global_buffer
      - .actual_access:  read_only
        .address_space:  global
        .offset:         32
        .size:           8
        .value_kind:     global_buffer
      - .actual_access:  read_only
        .address_space:  global
        .offset:         40
        .size:           8
        .value_kind:     global_buffer
      - .actual_access:  read_only
        .address_space:  global
        .offset:         48
        .size:           8
        .value_kind:     global_buffer
      - .actual_access:  read_only
        .address_space:  global
        .offset:         56
        .size:           8
        .value_kind:     global_buffer
      - .actual_access:  read_only
        .address_space:  global
        .offset:         64
        .size:           8
        .value_kind:     global_buffer
      - .offset:         72
        .size:           8
        .value_kind:     by_value
      - .address_space:  global
        .offset:         80
        .size:           8
        .value_kind:     global_buffer
      - .offset:         88
        .size:           4
        .value_kind:     by_value
      - .offset:         92
        .size:           1
        .value_kind:     by_value
    .group_segment_fixed_size: 3844
    .kernarg_segment_align: 8
    .kernarg_segment_size: 96
    .language:       OpenCL C
    .language_version:
      - 2
      - 0
    .max_flat_workgroup_size: 961
    .name:           _ZN9rocsparseL20bsrxmvn_17_32_kernelILj31EfiifffEEvT2_20rocsparse_direction_NS_24const_host_device_scalarIT0_EES1_PKS1_PKT1_SA_S7_PKT3_PKT4_S5_PT5_21rocsparse_index_base_b
    .private_segment_fixed_size: 0
    .sgpr_count:     26
    .sgpr_spill_count: 0
    .symbol:         _ZN9rocsparseL20bsrxmvn_17_32_kernelILj31EfiifffEEvT2_20rocsparse_direction_NS_24const_host_device_scalarIT0_EES1_PKS1_PKT1_SA_S7_PKT3_PKT4_S5_PT5_21rocsparse_index_base_b.kd
    .uniform_work_group_size: 1
    .uses_dynamic_stack: false
    .vgpr_count:     12
    .vgpr_spill_count: 0
    .wavefront_size: 64
  - .args:
      - .offset:         0
        .size:           4
        .value_kind:     by_value
      - .offset:         4
        .size:           4
        .value_kind:     by_value
      - .offset:         8
        .size:           8
        .value_kind:     by_value
      - .offset:         16
        .size:           4
        .value_kind:     by_value
      - .actual_access:  read_only
        .address_space:  global
        .offset:         24
        .size:           8
        .value_kind:     global_buffer
      - .actual_access:  read_only
        .address_space:  global
        .offset:         32
        .size:           8
        .value_kind:     global_buffer
      - .actual_access:  read_only
        .address_space:  global
        .offset:         40
        .size:           8
        .value_kind:     global_buffer
      - .actual_access:  read_only
        .address_space:  global
        .offset:         48
        .size:           8
        .value_kind:     global_buffer
      - .actual_access:  read_only
        .address_space:  global
        .offset:         56
        .size:           8
        .value_kind:     global_buffer
      - .actual_access:  read_only
        .address_space:  global
        .offset:         64
        .size:           8
        .value_kind:     global_buffer
      - .offset:         72
        .size:           8
        .value_kind:     by_value
      - .address_space:  global
        .offset:         80
        .size:           8
        .value_kind:     global_buffer
      - .offset:         88
        .size:           4
        .value_kind:     by_value
      - .offset:         92
        .size:           1
        .value_kind:     by_value
    .group_segment_fixed_size: 4096
    .kernarg_segment_align: 8
    .kernarg_segment_size: 96
    .language:       OpenCL C
    .language_version:
      - 2
      - 0
    .max_flat_workgroup_size: 1024
    .name:           _ZN9rocsparseL20bsrxmvn_17_32_kernelILj32EfiifffEEvT2_20rocsparse_direction_NS_24const_host_device_scalarIT0_EES1_PKS1_PKT1_SA_S7_PKT3_PKT4_S5_PT5_21rocsparse_index_base_b
    .private_segment_fixed_size: 0
    .sgpr_count:     26
    .sgpr_spill_count: 0
    .symbol:         _ZN9rocsparseL20bsrxmvn_17_32_kernelILj32EfiifffEEvT2_20rocsparse_direction_NS_24const_host_device_scalarIT0_EES1_PKS1_PKT1_SA_S7_PKT3_PKT4_S5_PT5_21rocsparse_index_base_b.kd
    .uniform_work_group_size: 1
    .uses_dynamic_stack: false
    .vgpr_count:     11
    .vgpr_spill_count: 0
    .wavefront_size: 64
  - .args:
      - .offset:         0
        .size:           4
        .value_kind:     by_value
      - .offset:         4
        .size:           4
        .value_kind:     by_value
      - .offset:         8
        .size:           8
        .value_kind:     by_value
      - .offset:         16
        .size:           4
        .value_kind:     by_value
      - .actual_access:  read_only
        .address_space:  global
        .offset:         24
        .size:           8
        .value_kind:     global_buffer
      - .actual_access:  read_only
        .address_space:  global
        .offset:         32
        .size:           8
        .value_kind:     global_buffer
      - .actual_access:  read_only
        .address_space:  global
        .offset:         40
        .size:           8
        .value_kind:     global_buffer
      - .actual_access:  read_only
        .address_space:  global
        .offset:         48
        .size:           8
        .value_kind:     global_buffer
      - .actual_access:  read_only
        .address_space:  global
        .offset:         56
        .size:           8
        .value_kind:     global_buffer
      - .actual_access:  read_only
        .address_space:  global
        .offset:         64
        .size:           8
        .value_kind:     global_buffer
      - .offset:         72
        .size:           8
        .value_kind:     by_value
      - .address_space:  global
        .offset:         80
        .size:           8
        .value_kind:     global_buffer
      - .offset:         88
        .size:           4
        .value_kind:     by_value
      - .offset:         92
        .size:           1
        .value_kind:     by_value
    .group_segment_fixed_size: 2312
    .kernarg_segment_align: 8
    .kernarg_segment_size: 96
    .language:       OpenCL C
    .language_version:
      - 2
      - 0
    .max_flat_workgroup_size: 289
    .name:           _ZN9rocsparseL20bsrxmvn_17_32_kernelILj17EdiidddEEvT2_20rocsparse_direction_NS_24const_host_device_scalarIT0_EES1_PKS1_PKT1_SA_S7_PKT3_PKT4_S5_PT5_21rocsparse_index_base_b
    .private_segment_fixed_size: 0
    .sgpr_count:     22
    .sgpr_spill_count: 0
    .symbol:         _ZN9rocsparseL20bsrxmvn_17_32_kernelILj17EdiidddEEvT2_20rocsparse_direction_NS_24const_host_device_scalarIT0_EES1_PKS1_PKT1_SA_S7_PKT3_PKT4_S5_PT5_21rocsparse_index_base_b.kd
    .uniform_work_group_size: 1
    .uses_dynamic_stack: false
    .vgpr_count:     18
    .vgpr_spill_count: 0
    .wavefront_size: 64
  - .args:
      - .offset:         0
        .size:           4
        .value_kind:     by_value
      - .offset:         4
        .size:           4
        .value_kind:     by_value
      - .offset:         8
        .size:           8
        .value_kind:     by_value
      - .offset:         16
        .size:           4
        .value_kind:     by_value
      - .actual_access:  read_only
        .address_space:  global
        .offset:         24
        .size:           8
        .value_kind:     global_buffer
      - .actual_access:  read_only
        .address_space:  global
        .offset:         32
        .size:           8
        .value_kind:     global_buffer
      - .actual_access:  read_only
        .address_space:  global
        .offset:         40
        .size:           8
        .value_kind:     global_buffer
      - .actual_access:  read_only
        .address_space:  global
        .offset:         48
        .size:           8
        .value_kind:     global_buffer
      - .actual_access:  read_only
        .address_space:  global
        .offset:         56
        .size:           8
        .value_kind:     global_buffer
      - .actual_access:  read_only
        .address_space:  global
        .offset:         64
        .size:           8
        .value_kind:     global_buffer
      - .offset:         72
        .size:           8
        .value_kind:     by_value
      - .address_space:  global
        .offset:         80
        .size:           8
        .value_kind:     global_buffer
      - .offset:         88
        .size:           4
        .value_kind:     by_value
      - .offset:         92
        .size:           1
        .value_kind:     by_value
    .group_segment_fixed_size: 2592
    .kernarg_segment_align: 8
    .kernarg_segment_size: 96
    .language:       OpenCL C
    .language_version:
      - 2
      - 0
    .max_flat_workgroup_size: 324
    .name:           _ZN9rocsparseL20bsrxmvn_17_32_kernelILj18EdiidddEEvT2_20rocsparse_direction_NS_24const_host_device_scalarIT0_EES1_PKS1_PKT1_SA_S7_PKT3_PKT4_S5_PT5_21rocsparse_index_base_b
    .private_segment_fixed_size: 0
    .sgpr_count:     22
    .sgpr_spill_count: 0
    .symbol:         _ZN9rocsparseL20bsrxmvn_17_32_kernelILj18EdiidddEEvT2_20rocsparse_direction_NS_24const_host_device_scalarIT0_EES1_PKS1_PKT1_SA_S7_PKT3_PKT4_S5_PT5_21rocsparse_index_base_b.kd
    .uniform_work_group_size: 1
    .uses_dynamic_stack: false
    .vgpr_count:     18
    .vgpr_spill_count: 0
    .wavefront_size: 64
  - .args:
      - .offset:         0
        .size:           4
        .value_kind:     by_value
      - .offset:         4
        .size:           4
        .value_kind:     by_value
      - .offset:         8
        .size:           8
        .value_kind:     by_value
      - .offset:         16
        .size:           4
        .value_kind:     by_value
      - .actual_access:  read_only
        .address_space:  global
        .offset:         24
        .size:           8
        .value_kind:     global_buffer
      - .actual_access:  read_only
        .address_space:  global
        .offset:         32
        .size:           8
        .value_kind:     global_buffer
      - .actual_access:  read_only
        .address_space:  global
        .offset:         40
        .size:           8
        .value_kind:     global_buffer
      - .actual_access:  read_only
        .address_space:  global
        .offset:         48
        .size:           8
        .value_kind:     global_buffer
      - .actual_access:  read_only
        .address_space:  global
        .offset:         56
        .size:           8
        .value_kind:     global_buffer
      - .actual_access:  read_only
        .address_space:  global
        .offset:         64
        .size:           8
        .value_kind:     global_buffer
      - .offset:         72
        .size:           8
        .value_kind:     by_value
      - .address_space:  global
        .offset:         80
        .size:           8
        .value_kind:     global_buffer
      - .offset:         88
        .size:           4
        .value_kind:     by_value
      - .offset:         92
        .size:           1
        .value_kind:     by_value
    .group_segment_fixed_size: 2888
    .kernarg_segment_align: 8
    .kernarg_segment_size: 96
    .language:       OpenCL C
    .language_version:
      - 2
      - 0
    .max_flat_workgroup_size: 361
    .name:           _ZN9rocsparseL20bsrxmvn_17_32_kernelILj19EdiidddEEvT2_20rocsparse_direction_NS_24const_host_device_scalarIT0_EES1_PKS1_PKT1_SA_S7_PKT3_PKT4_S5_PT5_21rocsparse_index_base_b
    .private_segment_fixed_size: 0
    .sgpr_count:     22
    .sgpr_spill_count: 0
    .symbol:         _ZN9rocsparseL20bsrxmvn_17_32_kernelILj19EdiidddEEvT2_20rocsparse_direction_NS_24const_host_device_scalarIT0_EES1_PKS1_PKT1_SA_S7_PKT3_PKT4_S5_PT5_21rocsparse_index_base_b.kd
    .uniform_work_group_size: 1
    .uses_dynamic_stack: false
    .vgpr_count:     18
    .vgpr_spill_count: 0
    .wavefront_size: 64
  - .args:
      - .offset:         0
        .size:           4
        .value_kind:     by_value
      - .offset:         4
        .size:           4
        .value_kind:     by_value
      - .offset:         8
        .size:           8
        .value_kind:     by_value
      - .offset:         16
        .size:           4
        .value_kind:     by_value
      - .actual_access:  read_only
        .address_space:  global
        .offset:         24
        .size:           8
        .value_kind:     global_buffer
      - .actual_access:  read_only
        .address_space:  global
        .offset:         32
        .size:           8
        .value_kind:     global_buffer
      - .actual_access:  read_only
        .address_space:  global
        .offset:         40
        .size:           8
        .value_kind:     global_buffer
      - .actual_access:  read_only
        .address_space:  global
        .offset:         48
        .size:           8
        .value_kind:     global_buffer
      - .actual_access:  read_only
        .address_space:  global
        .offset:         56
        .size:           8
        .value_kind:     global_buffer
      - .actual_access:  read_only
        .address_space:  global
        .offset:         64
        .size:           8
        .value_kind:     global_buffer
      - .offset:         72
        .size:           8
        .value_kind:     by_value
      - .address_space:  global
        .offset:         80
        .size:           8
        .value_kind:     global_buffer
      - .offset:         88
        .size:           4
        .value_kind:     by_value
      - .offset:         92
        .size:           1
        .value_kind:     by_value
    .group_segment_fixed_size: 3200
    .kernarg_segment_align: 8
    .kernarg_segment_size: 96
    .language:       OpenCL C
    .language_version:
      - 2
      - 0
    .max_flat_workgroup_size: 400
    .name:           _ZN9rocsparseL20bsrxmvn_17_32_kernelILj20EdiidddEEvT2_20rocsparse_direction_NS_24const_host_device_scalarIT0_EES1_PKS1_PKT1_SA_S7_PKT3_PKT4_S5_PT5_21rocsparse_index_base_b
    .private_segment_fixed_size: 0
    .sgpr_count:     22
    .sgpr_spill_count: 0
    .symbol:         _ZN9rocsparseL20bsrxmvn_17_32_kernelILj20EdiidddEEvT2_20rocsparse_direction_NS_24const_host_device_scalarIT0_EES1_PKS1_PKT1_SA_S7_PKT3_PKT4_S5_PT5_21rocsparse_index_base_b.kd
    .uniform_work_group_size: 1
    .uses_dynamic_stack: false
    .vgpr_count:     18
    .vgpr_spill_count: 0
    .wavefront_size: 64
  - .args:
      - .offset:         0
        .size:           4
        .value_kind:     by_value
      - .offset:         4
        .size:           4
        .value_kind:     by_value
      - .offset:         8
        .size:           8
        .value_kind:     by_value
      - .offset:         16
        .size:           4
        .value_kind:     by_value
      - .actual_access:  read_only
        .address_space:  global
        .offset:         24
        .size:           8
        .value_kind:     global_buffer
      - .actual_access:  read_only
        .address_space:  global
        .offset:         32
        .size:           8
        .value_kind:     global_buffer
      - .actual_access:  read_only
        .address_space:  global
        .offset:         40
        .size:           8
        .value_kind:     global_buffer
      - .actual_access:  read_only
        .address_space:  global
        .offset:         48
        .size:           8
        .value_kind:     global_buffer
      - .actual_access:  read_only
        .address_space:  global
        .offset:         56
        .size:           8
        .value_kind:     global_buffer
      - .actual_access:  read_only
        .address_space:  global
        .offset:         64
        .size:           8
        .value_kind:     global_buffer
      - .offset:         72
        .size:           8
        .value_kind:     by_value
      - .address_space:  global
        .offset:         80
        .size:           8
        .value_kind:     global_buffer
      - .offset:         88
        .size:           4
        .value_kind:     by_value
      - .offset:         92
        .size:           1
        .value_kind:     by_value
    .group_segment_fixed_size: 3528
    .kernarg_segment_align: 8
    .kernarg_segment_size: 96
    .language:       OpenCL C
    .language_version:
      - 2
      - 0
    .max_flat_workgroup_size: 441
    .name:           _ZN9rocsparseL20bsrxmvn_17_32_kernelILj21EdiidddEEvT2_20rocsparse_direction_NS_24const_host_device_scalarIT0_EES1_PKS1_PKT1_SA_S7_PKT3_PKT4_S5_PT5_21rocsparse_index_base_b
    .private_segment_fixed_size: 0
    .sgpr_count:     22
    .sgpr_spill_count: 0
    .symbol:         _ZN9rocsparseL20bsrxmvn_17_32_kernelILj21EdiidddEEvT2_20rocsparse_direction_NS_24const_host_device_scalarIT0_EES1_PKS1_PKT1_SA_S7_PKT3_PKT4_S5_PT5_21rocsparse_index_base_b.kd
    .uniform_work_group_size: 1
    .uses_dynamic_stack: false
    .vgpr_count:     18
    .vgpr_spill_count: 0
    .wavefront_size: 64
  - .args:
      - .offset:         0
        .size:           4
        .value_kind:     by_value
      - .offset:         4
        .size:           4
        .value_kind:     by_value
      - .offset:         8
        .size:           8
        .value_kind:     by_value
      - .offset:         16
        .size:           4
        .value_kind:     by_value
      - .actual_access:  read_only
        .address_space:  global
        .offset:         24
        .size:           8
        .value_kind:     global_buffer
      - .actual_access:  read_only
        .address_space:  global
        .offset:         32
        .size:           8
        .value_kind:     global_buffer
      - .actual_access:  read_only
        .address_space:  global
        .offset:         40
        .size:           8
        .value_kind:     global_buffer
      - .actual_access:  read_only
        .address_space:  global
        .offset:         48
        .size:           8
        .value_kind:     global_buffer
      - .actual_access:  read_only
        .address_space:  global
        .offset:         56
        .size:           8
        .value_kind:     global_buffer
      - .actual_access:  read_only
        .address_space:  global
        .offset:         64
        .size:           8
        .value_kind:     global_buffer
      - .offset:         72
        .size:           8
        .value_kind:     by_value
      - .address_space:  global
        .offset:         80
        .size:           8
        .value_kind:     global_buffer
      - .offset:         88
        .size:           4
        .value_kind:     by_value
      - .offset:         92
        .size:           1
        .value_kind:     by_value
    .group_segment_fixed_size: 3872
    .kernarg_segment_align: 8
    .kernarg_segment_size: 96
    .language:       OpenCL C
    .language_version:
      - 2
      - 0
    .max_flat_workgroup_size: 484
    .name:           _ZN9rocsparseL20bsrxmvn_17_32_kernelILj22EdiidddEEvT2_20rocsparse_direction_NS_24const_host_device_scalarIT0_EES1_PKS1_PKT1_SA_S7_PKT3_PKT4_S5_PT5_21rocsparse_index_base_b
    .private_segment_fixed_size: 0
    .sgpr_count:     22
    .sgpr_spill_count: 0
    .symbol:         _ZN9rocsparseL20bsrxmvn_17_32_kernelILj22EdiidddEEvT2_20rocsparse_direction_NS_24const_host_device_scalarIT0_EES1_PKS1_PKT1_SA_S7_PKT3_PKT4_S5_PT5_21rocsparse_index_base_b.kd
    .uniform_work_group_size: 1
    .uses_dynamic_stack: false
    .vgpr_count:     18
    .vgpr_spill_count: 0
    .wavefront_size: 64
  - .args:
      - .offset:         0
        .size:           4
        .value_kind:     by_value
      - .offset:         4
        .size:           4
        .value_kind:     by_value
      - .offset:         8
        .size:           8
        .value_kind:     by_value
      - .offset:         16
        .size:           4
        .value_kind:     by_value
      - .actual_access:  read_only
        .address_space:  global
        .offset:         24
        .size:           8
        .value_kind:     global_buffer
      - .actual_access:  read_only
        .address_space:  global
        .offset:         32
        .size:           8
        .value_kind:     global_buffer
      - .actual_access:  read_only
        .address_space:  global
        .offset:         40
        .size:           8
        .value_kind:     global_buffer
      - .actual_access:  read_only
        .address_space:  global
        .offset:         48
        .size:           8
        .value_kind:     global_buffer
      - .actual_access:  read_only
        .address_space:  global
        .offset:         56
        .size:           8
        .value_kind:     global_buffer
      - .actual_access:  read_only
        .address_space:  global
        .offset:         64
        .size:           8
        .value_kind:     global_buffer
      - .offset:         72
        .size:           8
        .value_kind:     by_value
      - .address_space:  global
        .offset:         80
        .size:           8
        .value_kind:     global_buffer
      - .offset:         88
        .size:           4
        .value_kind:     by_value
      - .offset:         92
        .size:           1
        .value_kind:     by_value
    .group_segment_fixed_size: 4232
    .kernarg_segment_align: 8
    .kernarg_segment_size: 96
    .language:       OpenCL C
    .language_version:
      - 2
      - 0
    .max_flat_workgroup_size: 529
    .name:           _ZN9rocsparseL20bsrxmvn_17_32_kernelILj23EdiidddEEvT2_20rocsparse_direction_NS_24const_host_device_scalarIT0_EES1_PKS1_PKT1_SA_S7_PKT3_PKT4_S5_PT5_21rocsparse_index_base_b
    .private_segment_fixed_size: 0
    .sgpr_count:     22
    .sgpr_spill_count: 0
    .symbol:         _ZN9rocsparseL20bsrxmvn_17_32_kernelILj23EdiidddEEvT2_20rocsparse_direction_NS_24const_host_device_scalarIT0_EES1_PKS1_PKT1_SA_S7_PKT3_PKT4_S5_PT5_21rocsparse_index_base_b.kd
    .uniform_work_group_size: 1
    .uses_dynamic_stack: false
    .vgpr_count:     18
    .vgpr_spill_count: 0
    .wavefront_size: 64
  - .args:
      - .offset:         0
        .size:           4
        .value_kind:     by_value
      - .offset:         4
        .size:           4
        .value_kind:     by_value
      - .offset:         8
        .size:           8
        .value_kind:     by_value
      - .offset:         16
        .size:           4
        .value_kind:     by_value
      - .actual_access:  read_only
        .address_space:  global
        .offset:         24
        .size:           8
        .value_kind:     global_buffer
      - .actual_access:  read_only
        .address_space:  global
        .offset:         32
        .size:           8
        .value_kind:     global_buffer
      - .actual_access:  read_only
        .address_space:  global
        .offset:         40
        .size:           8
        .value_kind:     global_buffer
      - .actual_access:  read_only
        .address_space:  global
        .offset:         48
        .size:           8
        .value_kind:     global_buffer
      - .actual_access:  read_only
        .address_space:  global
        .offset:         56
        .size:           8
        .value_kind:     global_buffer
      - .actual_access:  read_only
        .address_space:  global
        .offset:         64
        .size:           8
        .value_kind:     global_buffer
      - .offset:         72
        .size:           8
        .value_kind:     by_value
      - .address_space:  global
        .offset:         80
        .size:           8
        .value_kind:     global_buffer
      - .offset:         88
        .size:           4
        .value_kind:     by_value
      - .offset:         92
        .size:           1
        .value_kind:     by_value
    .group_segment_fixed_size: 4608
    .kernarg_segment_align: 8
    .kernarg_segment_size: 96
    .language:       OpenCL C
    .language_version:
      - 2
      - 0
    .max_flat_workgroup_size: 576
    .name:           _ZN9rocsparseL20bsrxmvn_17_32_kernelILj24EdiidddEEvT2_20rocsparse_direction_NS_24const_host_device_scalarIT0_EES1_PKS1_PKT1_SA_S7_PKT3_PKT4_S5_PT5_21rocsparse_index_base_b
    .private_segment_fixed_size: 0
    .sgpr_count:     22
    .sgpr_spill_count: 0
    .symbol:         _ZN9rocsparseL20bsrxmvn_17_32_kernelILj24EdiidddEEvT2_20rocsparse_direction_NS_24const_host_device_scalarIT0_EES1_PKS1_PKT1_SA_S7_PKT3_PKT4_S5_PT5_21rocsparse_index_base_b.kd
    .uniform_work_group_size: 1
    .uses_dynamic_stack: false
    .vgpr_count:     18
    .vgpr_spill_count: 0
    .wavefront_size: 64
  - .args:
      - .offset:         0
        .size:           4
        .value_kind:     by_value
      - .offset:         4
        .size:           4
        .value_kind:     by_value
      - .offset:         8
        .size:           8
        .value_kind:     by_value
      - .offset:         16
        .size:           4
        .value_kind:     by_value
      - .actual_access:  read_only
        .address_space:  global
        .offset:         24
        .size:           8
        .value_kind:     global_buffer
      - .actual_access:  read_only
        .address_space:  global
        .offset:         32
        .size:           8
        .value_kind:     global_buffer
      - .actual_access:  read_only
        .address_space:  global
        .offset:         40
        .size:           8
        .value_kind:     global_buffer
      - .actual_access:  read_only
        .address_space:  global
        .offset:         48
        .size:           8
        .value_kind:     global_buffer
      - .actual_access:  read_only
        .address_space:  global
        .offset:         56
        .size:           8
        .value_kind:     global_buffer
      - .actual_access:  read_only
        .address_space:  global
        .offset:         64
        .size:           8
        .value_kind:     global_buffer
      - .offset:         72
        .size:           8
        .value_kind:     by_value
      - .address_space:  global
        .offset:         80
        .size:           8
        .value_kind:     global_buffer
      - .offset:         88
        .size:           4
        .value_kind:     by_value
      - .offset:         92
        .size:           1
        .value_kind:     by_value
    .group_segment_fixed_size: 5000
    .kernarg_segment_align: 8
    .kernarg_segment_size: 96
    .language:       OpenCL C
    .language_version:
      - 2
      - 0
    .max_flat_workgroup_size: 625
    .name:           _ZN9rocsparseL20bsrxmvn_17_32_kernelILj25EdiidddEEvT2_20rocsparse_direction_NS_24const_host_device_scalarIT0_EES1_PKS1_PKT1_SA_S7_PKT3_PKT4_S5_PT5_21rocsparse_index_base_b
    .private_segment_fixed_size: 0
    .sgpr_count:     22
    .sgpr_spill_count: 0
    .symbol:         _ZN9rocsparseL20bsrxmvn_17_32_kernelILj25EdiidddEEvT2_20rocsparse_direction_NS_24const_host_device_scalarIT0_EES1_PKS1_PKT1_SA_S7_PKT3_PKT4_S5_PT5_21rocsparse_index_base_b.kd
    .uniform_work_group_size: 1
    .uses_dynamic_stack: false
    .vgpr_count:     18
    .vgpr_spill_count: 0
    .wavefront_size: 64
  - .args:
      - .offset:         0
        .size:           4
        .value_kind:     by_value
      - .offset:         4
        .size:           4
        .value_kind:     by_value
      - .offset:         8
        .size:           8
        .value_kind:     by_value
      - .offset:         16
        .size:           4
        .value_kind:     by_value
      - .actual_access:  read_only
        .address_space:  global
        .offset:         24
        .size:           8
        .value_kind:     global_buffer
      - .actual_access:  read_only
        .address_space:  global
        .offset:         32
        .size:           8
        .value_kind:     global_buffer
      - .actual_access:  read_only
        .address_space:  global
        .offset:         40
        .size:           8
        .value_kind:     global_buffer
      - .actual_access:  read_only
        .address_space:  global
        .offset:         48
        .size:           8
        .value_kind:     global_buffer
      - .actual_access:  read_only
        .address_space:  global
        .offset:         56
        .size:           8
        .value_kind:     global_buffer
      - .actual_access:  read_only
        .address_space:  global
        .offset:         64
        .size:           8
        .value_kind:     global_buffer
      - .offset:         72
        .size:           8
        .value_kind:     by_value
      - .address_space:  global
        .offset:         80
        .size:           8
        .value_kind:     global_buffer
      - .offset:         88
        .size:           4
        .value_kind:     by_value
      - .offset:         92
        .size:           1
        .value_kind:     by_value
    .group_segment_fixed_size: 5408
    .kernarg_segment_align: 8
    .kernarg_segment_size: 96
    .language:       OpenCL C
    .language_version:
      - 2
      - 0
    .max_flat_workgroup_size: 676
    .name:           _ZN9rocsparseL20bsrxmvn_17_32_kernelILj26EdiidddEEvT2_20rocsparse_direction_NS_24const_host_device_scalarIT0_EES1_PKS1_PKT1_SA_S7_PKT3_PKT4_S5_PT5_21rocsparse_index_base_b
    .private_segment_fixed_size: 0
    .sgpr_count:     22
    .sgpr_spill_count: 0
    .symbol:         _ZN9rocsparseL20bsrxmvn_17_32_kernelILj26EdiidddEEvT2_20rocsparse_direction_NS_24const_host_device_scalarIT0_EES1_PKS1_PKT1_SA_S7_PKT3_PKT4_S5_PT5_21rocsparse_index_base_b.kd
    .uniform_work_group_size: 1
    .uses_dynamic_stack: false
    .vgpr_count:     18
    .vgpr_spill_count: 0
    .wavefront_size: 64
  - .args:
      - .offset:         0
        .size:           4
        .value_kind:     by_value
      - .offset:         4
        .size:           4
        .value_kind:     by_value
      - .offset:         8
        .size:           8
        .value_kind:     by_value
      - .offset:         16
        .size:           4
        .value_kind:     by_value
      - .actual_access:  read_only
        .address_space:  global
        .offset:         24
        .size:           8
        .value_kind:     global_buffer
      - .actual_access:  read_only
        .address_space:  global
        .offset:         32
        .size:           8
        .value_kind:     global_buffer
      - .actual_access:  read_only
        .address_space:  global
        .offset:         40
        .size:           8
        .value_kind:     global_buffer
      - .actual_access:  read_only
        .address_space:  global
        .offset:         48
        .size:           8
        .value_kind:     global_buffer
      - .actual_access:  read_only
        .address_space:  global
        .offset:         56
        .size:           8
        .value_kind:     global_buffer
      - .actual_access:  read_only
        .address_space:  global
        .offset:         64
        .size:           8
        .value_kind:     global_buffer
      - .offset:         72
        .size:           8
        .value_kind:     by_value
      - .address_space:  global
        .offset:         80
        .size:           8
        .value_kind:     global_buffer
      - .offset:         88
        .size:           4
        .value_kind:     by_value
      - .offset:         92
        .size:           1
        .value_kind:     by_value
    .group_segment_fixed_size: 5832
    .kernarg_segment_align: 8
    .kernarg_segment_size: 96
    .language:       OpenCL C
    .language_version:
      - 2
      - 0
    .max_flat_workgroup_size: 729
    .name:           _ZN9rocsparseL20bsrxmvn_17_32_kernelILj27EdiidddEEvT2_20rocsparse_direction_NS_24const_host_device_scalarIT0_EES1_PKS1_PKT1_SA_S7_PKT3_PKT4_S5_PT5_21rocsparse_index_base_b
    .private_segment_fixed_size: 0
    .sgpr_count:     22
    .sgpr_spill_count: 0
    .symbol:         _ZN9rocsparseL20bsrxmvn_17_32_kernelILj27EdiidddEEvT2_20rocsparse_direction_NS_24const_host_device_scalarIT0_EES1_PKS1_PKT1_SA_S7_PKT3_PKT4_S5_PT5_21rocsparse_index_base_b.kd
    .uniform_work_group_size: 1
    .uses_dynamic_stack: false
    .vgpr_count:     18
    .vgpr_spill_count: 0
    .wavefront_size: 64
  - .args:
      - .offset:         0
        .size:           4
        .value_kind:     by_value
      - .offset:         4
        .size:           4
        .value_kind:     by_value
      - .offset:         8
        .size:           8
        .value_kind:     by_value
      - .offset:         16
        .size:           4
        .value_kind:     by_value
      - .actual_access:  read_only
        .address_space:  global
        .offset:         24
        .size:           8
        .value_kind:     global_buffer
      - .actual_access:  read_only
        .address_space:  global
        .offset:         32
        .size:           8
        .value_kind:     global_buffer
      - .actual_access:  read_only
        .address_space:  global
        .offset:         40
        .size:           8
        .value_kind:     global_buffer
      - .actual_access:  read_only
        .address_space:  global
        .offset:         48
        .size:           8
        .value_kind:     global_buffer
      - .actual_access:  read_only
        .address_space:  global
        .offset:         56
        .size:           8
        .value_kind:     global_buffer
      - .actual_access:  read_only
        .address_space:  global
        .offset:         64
        .size:           8
        .value_kind:     global_buffer
      - .offset:         72
        .size:           8
        .value_kind:     by_value
      - .address_space:  global
        .offset:         80
        .size:           8
        .value_kind:     global_buffer
      - .offset:         88
        .size:           4
        .value_kind:     by_value
      - .offset:         92
        .size:           1
        .value_kind:     by_value
    .group_segment_fixed_size: 6272
    .kernarg_segment_align: 8
    .kernarg_segment_size: 96
    .language:       OpenCL C
    .language_version:
      - 2
      - 0
    .max_flat_workgroup_size: 784
    .name:           _ZN9rocsparseL20bsrxmvn_17_32_kernelILj28EdiidddEEvT2_20rocsparse_direction_NS_24const_host_device_scalarIT0_EES1_PKS1_PKT1_SA_S7_PKT3_PKT4_S5_PT5_21rocsparse_index_base_b
    .private_segment_fixed_size: 0
    .sgpr_count:     22
    .sgpr_spill_count: 0
    .symbol:         _ZN9rocsparseL20bsrxmvn_17_32_kernelILj28EdiidddEEvT2_20rocsparse_direction_NS_24const_host_device_scalarIT0_EES1_PKS1_PKT1_SA_S7_PKT3_PKT4_S5_PT5_21rocsparse_index_base_b.kd
    .uniform_work_group_size: 1
    .uses_dynamic_stack: false
    .vgpr_count:     18
    .vgpr_spill_count: 0
    .wavefront_size: 64
  - .args:
      - .offset:         0
        .size:           4
        .value_kind:     by_value
      - .offset:         4
        .size:           4
        .value_kind:     by_value
      - .offset:         8
        .size:           8
        .value_kind:     by_value
      - .offset:         16
        .size:           4
        .value_kind:     by_value
      - .actual_access:  read_only
        .address_space:  global
        .offset:         24
        .size:           8
        .value_kind:     global_buffer
      - .actual_access:  read_only
        .address_space:  global
        .offset:         32
        .size:           8
        .value_kind:     global_buffer
      - .actual_access:  read_only
        .address_space:  global
        .offset:         40
        .size:           8
        .value_kind:     global_buffer
      - .actual_access:  read_only
        .address_space:  global
        .offset:         48
        .size:           8
        .value_kind:     global_buffer
      - .actual_access:  read_only
        .address_space:  global
        .offset:         56
        .size:           8
        .value_kind:     global_buffer
      - .actual_access:  read_only
        .address_space:  global
        .offset:         64
        .size:           8
        .value_kind:     global_buffer
      - .offset:         72
        .size:           8
        .value_kind:     by_value
      - .address_space:  global
        .offset:         80
        .size:           8
        .value_kind:     global_buffer
      - .offset:         88
        .size:           4
        .value_kind:     by_value
      - .offset:         92
        .size:           1
        .value_kind:     by_value
    .group_segment_fixed_size: 6728
    .kernarg_segment_align: 8
    .kernarg_segment_size: 96
    .language:       OpenCL C
    .language_version:
      - 2
      - 0
    .max_flat_workgroup_size: 841
    .name:           _ZN9rocsparseL20bsrxmvn_17_32_kernelILj29EdiidddEEvT2_20rocsparse_direction_NS_24const_host_device_scalarIT0_EES1_PKS1_PKT1_SA_S7_PKT3_PKT4_S5_PT5_21rocsparse_index_base_b
    .private_segment_fixed_size: 0
    .sgpr_count:     22
    .sgpr_spill_count: 0
    .symbol:         _ZN9rocsparseL20bsrxmvn_17_32_kernelILj29EdiidddEEvT2_20rocsparse_direction_NS_24const_host_device_scalarIT0_EES1_PKS1_PKT1_SA_S7_PKT3_PKT4_S5_PT5_21rocsparse_index_base_b.kd
    .uniform_work_group_size: 1
    .uses_dynamic_stack: false
    .vgpr_count:     18
    .vgpr_spill_count: 0
    .wavefront_size: 64
  - .args:
      - .offset:         0
        .size:           4
        .value_kind:     by_value
      - .offset:         4
        .size:           4
        .value_kind:     by_value
      - .offset:         8
        .size:           8
        .value_kind:     by_value
      - .offset:         16
        .size:           4
        .value_kind:     by_value
      - .actual_access:  read_only
        .address_space:  global
        .offset:         24
        .size:           8
        .value_kind:     global_buffer
      - .actual_access:  read_only
        .address_space:  global
        .offset:         32
        .size:           8
        .value_kind:     global_buffer
      - .actual_access:  read_only
        .address_space:  global
        .offset:         40
        .size:           8
        .value_kind:     global_buffer
      - .actual_access:  read_only
        .address_space:  global
        .offset:         48
        .size:           8
        .value_kind:     global_buffer
      - .actual_access:  read_only
        .address_space:  global
        .offset:         56
        .size:           8
        .value_kind:     global_buffer
      - .actual_access:  read_only
        .address_space:  global
        .offset:         64
        .size:           8
        .value_kind:     global_buffer
      - .offset:         72
        .size:           8
        .value_kind:     by_value
      - .address_space:  global
        .offset:         80
        .size:           8
        .value_kind:     global_buffer
      - .offset:         88
        .size:           4
        .value_kind:     by_value
      - .offset:         92
        .size:           1
        .value_kind:     by_value
    .group_segment_fixed_size: 7200
    .kernarg_segment_align: 8
    .kernarg_segment_size: 96
    .language:       OpenCL C
    .language_version:
      - 2
      - 0
    .max_flat_workgroup_size: 900
    .name:           _ZN9rocsparseL20bsrxmvn_17_32_kernelILj30EdiidddEEvT2_20rocsparse_direction_NS_24const_host_device_scalarIT0_EES1_PKS1_PKT1_SA_S7_PKT3_PKT4_S5_PT5_21rocsparse_index_base_b
    .private_segment_fixed_size: 0
    .sgpr_count:     22
    .sgpr_spill_count: 0
    .symbol:         _ZN9rocsparseL20bsrxmvn_17_32_kernelILj30EdiidddEEvT2_20rocsparse_direction_NS_24const_host_device_scalarIT0_EES1_PKS1_PKT1_SA_S7_PKT3_PKT4_S5_PT5_21rocsparse_index_base_b.kd
    .uniform_work_group_size: 1
    .uses_dynamic_stack: false
    .vgpr_count:     18
    .vgpr_spill_count: 0
    .wavefront_size: 64
  - .args:
      - .offset:         0
        .size:           4
        .value_kind:     by_value
      - .offset:         4
        .size:           4
        .value_kind:     by_value
      - .offset:         8
        .size:           8
        .value_kind:     by_value
      - .offset:         16
        .size:           4
        .value_kind:     by_value
      - .actual_access:  read_only
        .address_space:  global
        .offset:         24
        .size:           8
        .value_kind:     global_buffer
      - .actual_access:  read_only
        .address_space:  global
        .offset:         32
        .size:           8
        .value_kind:     global_buffer
      - .actual_access:  read_only
        .address_space:  global
        .offset:         40
        .size:           8
        .value_kind:     global_buffer
      - .actual_access:  read_only
        .address_space:  global
        .offset:         48
        .size:           8
        .value_kind:     global_buffer
      - .actual_access:  read_only
        .address_space:  global
        .offset:         56
        .size:           8
        .value_kind:     global_buffer
      - .actual_access:  read_only
        .address_space:  global
        .offset:         64
        .size:           8
        .value_kind:     global_buffer
      - .offset:         72
        .size:           8
        .value_kind:     by_value
      - .address_space:  global
        .offset:         80
        .size:           8
        .value_kind:     global_buffer
      - .offset:         88
        .size:           4
        .value_kind:     by_value
      - .offset:         92
        .size:           1
        .value_kind:     by_value
    .group_segment_fixed_size: 7688
    .kernarg_segment_align: 8
    .kernarg_segment_size: 96
    .language:       OpenCL C
    .language_version:
      - 2
      - 0
    .max_flat_workgroup_size: 961
    .name:           _ZN9rocsparseL20bsrxmvn_17_32_kernelILj31EdiidddEEvT2_20rocsparse_direction_NS_24const_host_device_scalarIT0_EES1_PKS1_PKT1_SA_S7_PKT3_PKT4_S5_PT5_21rocsparse_index_base_b
    .private_segment_fixed_size: 0
    .sgpr_count:     22
    .sgpr_spill_count: 0
    .symbol:         _ZN9rocsparseL20bsrxmvn_17_32_kernelILj31EdiidddEEvT2_20rocsparse_direction_NS_24const_host_device_scalarIT0_EES1_PKS1_PKT1_SA_S7_PKT3_PKT4_S5_PT5_21rocsparse_index_base_b.kd
    .uniform_work_group_size: 1
    .uses_dynamic_stack: false
    .vgpr_count:     18
    .vgpr_spill_count: 0
    .wavefront_size: 64
  - .args:
      - .offset:         0
        .size:           4
        .value_kind:     by_value
      - .offset:         4
        .size:           4
        .value_kind:     by_value
      - .offset:         8
        .size:           8
        .value_kind:     by_value
      - .offset:         16
        .size:           4
        .value_kind:     by_value
      - .actual_access:  read_only
        .address_space:  global
        .offset:         24
        .size:           8
        .value_kind:     global_buffer
      - .actual_access:  read_only
        .address_space:  global
        .offset:         32
        .size:           8
        .value_kind:     global_buffer
      - .actual_access:  read_only
        .address_space:  global
        .offset:         40
        .size:           8
        .value_kind:     global_buffer
      - .actual_access:  read_only
        .address_space:  global
        .offset:         48
        .size:           8
        .value_kind:     global_buffer
      - .actual_access:  read_only
        .address_space:  global
        .offset:         56
        .size:           8
        .value_kind:     global_buffer
      - .actual_access:  read_only
        .address_space:  global
        .offset:         64
        .size:           8
        .value_kind:     global_buffer
      - .offset:         72
        .size:           8
        .value_kind:     by_value
      - .address_space:  global
        .offset:         80
        .size:           8
        .value_kind:     global_buffer
      - .offset:         88
        .size:           4
        .value_kind:     by_value
      - .offset:         92
        .size:           1
        .value_kind:     by_value
    .group_segment_fixed_size: 8192
    .kernarg_segment_align: 8
    .kernarg_segment_size: 96
    .language:       OpenCL C
    .language_version:
      - 2
      - 0
    .max_flat_workgroup_size: 1024
    .name:           _ZN9rocsparseL20bsrxmvn_17_32_kernelILj32EdiidddEEvT2_20rocsparse_direction_NS_24const_host_device_scalarIT0_EES1_PKS1_PKT1_SA_S7_PKT3_PKT4_S5_PT5_21rocsparse_index_base_b
    .private_segment_fixed_size: 0
    .sgpr_count:     22
    .sgpr_spill_count: 0
    .symbol:         _ZN9rocsparseL20bsrxmvn_17_32_kernelILj32EdiidddEEvT2_20rocsparse_direction_NS_24const_host_device_scalarIT0_EES1_PKS1_PKT1_SA_S7_PKT3_PKT4_S5_PT5_21rocsparse_index_base_b.kd
    .uniform_work_group_size: 1
    .uses_dynamic_stack: false
    .vgpr_count:     17
    .vgpr_spill_count: 0
    .wavefront_size: 64
  - .args:
      - .offset:         0
        .size:           4
        .value_kind:     by_value
      - .offset:         4
        .size:           4
        .value_kind:     by_value
      - .offset:         8
        .size:           8
        .value_kind:     by_value
      - .offset:         16
        .size:           4
        .value_kind:     by_value
      - .actual_access:  read_only
        .address_space:  global
        .offset:         24
        .size:           8
        .value_kind:     global_buffer
      - .actual_access:  read_only
        .address_space:  global
        .offset:         32
        .size:           8
        .value_kind:     global_buffer
      - .actual_access:  read_only
        .address_space:  global
        .offset:         40
        .size:           8
        .value_kind:     global_buffer
      - .actual_access:  read_only
        .address_space:  global
        .offset:         48
        .size:           8
        .value_kind:     global_buffer
      - .actual_access:  read_only
        .address_space:  global
        .offset:         56
        .size:           8
        .value_kind:     global_buffer
      - .actual_access:  read_only
        .address_space:  global
        .offset:         64
        .size:           8
        .value_kind:     global_buffer
      - .offset:         72
        .size:           8
        .value_kind:     by_value
      - .address_space:  global
        .offset:         80
        .size:           8
        .value_kind:     global_buffer
      - .offset:         88
        .size:           4
        .value_kind:     by_value
      - .offset:         92
        .size:           1
        .value_kind:     by_value
    .group_segment_fixed_size: 2312
    .kernarg_segment_align: 8
    .kernarg_segment_size: 96
    .language:       OpenCL C
    .language_version:
      - 2
      - 0
    .max_flat_workgroup_size: 289
    .name:           _ZN9rocsparseL20bsrxmvn_17_32_kernelILj17E21rocsparse_complex_numIfEiiS2_S2_S2_EEvT2_20rocsparse_direction_NS_24const_host_device_scalarIT0_EES3_PKS3_PKT1_SC_S9_PKT3_PKT4_S7_PT5_21rocsparse_index_base_b
    .private_segment_fixed_size: 0
    .sgpr_count:     22
    .sgpr_spill_count: 0
    .symbol:         _ZN9rocsparseL20bsrxmvn_17_32_kernelILj17E21rocsparse_complex_numIfEiiS2_S2_S2_EEvT2_20rocsparse_direction_NS_24const_host_device_scalarIT0_EES3_PKS3_PKT1_SC_S9_PKT3_PKT4_S7_PT5_21rocsparse_index_base_b.kd
    .uniform_work_group_size: 1
    .uses_dynamic_stack: false
    .vgpr_count:     18
    .vgpr_spill_count: 0
    .wavefront_size: 64
  - .args:
      - .offset:         0
        .size:           4
        .value_kind:     by_value
      - .offset:         4
        .size:           4
        .value_kind:     by_value
      - .offset:         8
        .size:           8
        .value_kind:     by_value
      - .offset:         16
        .size:           4
        .value_kind:     by_value
      - .actual_access:  read_only
        .address_space:  global
        .offset:         24
        .size:           8
        .value_kind:     global_buffer
      - .actual_access:  read_only
        .address_space:  global
        .offset:         32
        .size:           8
        .value_kind:     global_buffer
      - .actual_access:  read_only
        .address_space:  global
        .offset:         40
        .size:           8
        .value_kind:     global_buffer
      - .actual_access:  read_only
        .address_space:  global
        .offset:         48
        .size:           8
        .value_kind:     global_buffer
      - .actual_access:  read_only
        .address_space:  global
        .offset:         56
        .size:           8
        .value_kind:     global_buffer
      - .actual_access:  read_only
        .address_space:  global
        .offset:         64
        .size:           8
        .value_kind:     global_buffer
      - .offset:         72
        .size:           8
        .value_kind:     by_value
      - .address_space:  global
        .offset:         80
        .size:           8
        .value_kind:     global_buffer
      - .offset:         88
        .size:           4
        .value_kind:     by_value
      - .offset:         92
        .size:           1
        .value_kind:     by_value
    .group_segment_fixed_size: 2592
    .kernarg_segment_align: 8
    .kernarg_segment_size: 96
    .language:       OpenCL C
    .language_version:
      - 2
      - 0
    .max_flat_workgroup_size: 324
    .name:           _ZN9rocsparseL20bsrxmvn_17_32_kernelILj18E21rocsparse_complex_numIfEiiS2_S2_S2_EEvT2_20rocsparse_direction_NS_24const_host_device_scalarIT0_EES3_PKS3_PKT1_SC_S9_PKT3_PKT4_S7_PT5_21rocsparse_index_base_b
    .private_segment_fixed_size: 0
    .sgpr_count:     22
    .sgpr_spill_count: 0
    .symbol:         _ZN9rocsparseL20bsrxmvn_17_32_kernelILj18E21rocsparse_complex_numIfEiiS2_S2_S2_EEvT2_20rocsparse_direction_NS_24const_host_device_scalarIT0_EES3_PKS3_PKT1_SC_S9_PKT3_PKT4_S7_PT5_21rocsparse_index_base_b.kd
    .uniform_work_group_size: 1
    .uses_dynamic_stack: false
    .vgpr_count:     18
    .vgpr_spill_count: 0
    .wavefront_size: 64
  - .args:
      - .offset:         0
        .size:           4
        .value_kind:     by_value
      - .offset:         4
        .size:           4
        .value_kind:     by_value
      - .offset:         8
        .size:           8
        .value_kind:     by_value
      - .offset:         16
        .size:           4
        .value_kind:     by_value
      - .actual_access:  read_only
        .address_space:  global
        .offset:         24
        .size:           8
        .value_kind:     global_buffer
      - .actual_access:  read_only
        .address_space:  global
        .offset:         32
        .size:           8
        .value_kind:     global_buffer
      - .actual_access:  read_only
        .address_space:  global
        .offset:         40
        .size:           8
        .value_kind:     global_buffer
      - .actual_access:  read_only
        .address_space:  global
        .offset:         48
        .size:           8
        .value_kind:     global_buffer
      - .actual_access:  read_only
        .address_space:  global
        .offset:         56
        .size:           8
        .value_kind:     global_buffer
      - .actual_access:  read_only
        .address_space:  global
        .offset:         64
        .size:           8
        .value_kind:     global_buffer
      - .offset:         72
        .size:           8
        .value_kind:     by_value
      - .address_space:  global
        .offset:         80
        .size:           8
        .value_kind:     global_buffer
      - .offset:         88
        .size:           4
        .value_kind:     by_value
      - .offset:         92
        .size:           1
        .value_kind:     by_value
    .group_segment_fixed_size: 2888
    .kernarg_segment_align: 8
    .kernarg_segment_size: 96
    .language:       OpenCL C
    .language_version:
      - 2
      - 0
    .max_flat_workgroup_size: 361
    .name:           _ZN9rocsparseL20bsrxmvn_17_32_kernelILj19E21rocsparse_complex_numIfEiiS2_S2_S2_EEvT2_20rocsparse_direction_NS_24const_host_device_scalarIT0_EES3_PKS3_PKT1_SC_S9_PKT3_PKT4_S7_PT5_21rocsparse_index_base_b
    .private_segment_fixed_size: 0
    .sgpr_count:     22
    .sgpr_spill_count: 0
    .symbol:         _ZN9rocsparseL20bsrxmvn_17_32_kernelILj19E21rocsparse_complex_numIfEiiS2_S2_S2_EEvT2_20rocsparse_direction_NS_24const_host_device_scalarIT0_EES3_PKS3_PKT1_SC_S9_PKT3_PKT4_S7_PT5_21rocsparse_index_base_b.kd
    .uniform_work_group_size: 1
    .uses_dynamic_stack: false
    .vgpr_count:     18
    .vgpr_spill_count: 0
    .wavefront_size: 64
  - .args:
      - .offset:         0
        .size:           4
        .value_kind:     by_value
      - .offset:         4
        .size:           4
        .value_kind:     by_value
      - .offset:         8
        .size:           8
        .value_kind:     by_value
      - .offset:         16
        .size:           4
        .value_kind:     by_value
      - .actual_access:  read_only
        .address_space:  global
        .offset:         24
        .size:           8
        .value_kind:     global_buffer
      - .actual_access:  read_only
        .address_space:  global
        .offset:         32
        .size:           8
        .value_kind:     global_buffer
      - .actual_access:  read_only
        .address_space:  global
        .offset:         40
        .size:           8
        .value_kind:     global_buffer
      - .actual_access:  read_only
        .address_space:  global
        .offset:         48
        .size:           8
        .value_kind:     global_buffer
      - .actual_access:  read_only
        .address_space:  global
        .offset:         56
        .size:           8
        .value_kind:     global_buffer
      - .actual_access:  read_only
        .address_space:  global
        .offset:         64
        .size:           8
        .value_kind:     global_buffer
      - .offset:         72
        .size:           8
        .value_kind:     by_value
      - .address_space:  global
        .offset:         80
        .size:           8
        .value_kind:     global_buffer
      - .offset:         88
        .size:           4
        .value_kind:     by_value
      - .offset:         92
        .size:           1
        .value_kind:     by_value
    .group_segment_fixed_size: 3200
    .kernarg_segment_align: 8
    .kernarg_segment_size: 96
    .language:       OpenCL C
    .language_version:
      - 2
      - 0
    .max_flat_workgroup_size: 400
    .name:           _ZN9rocsparseL20bsrxmvn_17_32_kernelILj20E21rocsparse_complex_numIfEiiS2_S2_S2_EEvT2_20rocsparse_direction_NS_24const_host_device_scalarIT0_EES3_PKS3_PKT1_SC_S9_PKT3_PKT4_S7_PT5_21rocsparse_index_base_b
    .private_segment_fixed_size: 0
    .sgpr_count:     22
    .sgpr_spill_count: 0
    .symbol:         _ZN9rocsparseL20bsrxmvn_17_32_kernelILj20E21rocsparse_complex_numIfEiiS2_S2_S2_EEvT2_20rocsparse_direction_NS_24const_host_device_scalarIT0_EES3_PKS3_PKT1_SC_S9_PKT3_PKT4_S7_PT5_21rocsparse_index_base_b.kd
    .uniform_work_group_size: 1
    .uses_dynamic_stack: false
    .vgpr_count:     18
    .vgpr_spill_count: 0
    .wavefront_size: 64
  - .args:
      - .offset:         0
        .size:           4
        .value_kind:     by_value
      - .offset:         4
        .size:           4
        .value_kind:     by_value
      - .offset:         8
        .size:           8
        .value_kind:     by_value
      - .offset:         16
        .size:           4
        .value_kind:     by_value
      - .actual_access:  read_only
        .address_space:  global
        .offset:         24
        .size:           8
        .value_kind:     global_buffer
      - .actual_access:  read_only
        .address_space:  global
        .offset:         32
        .size:           8
        .value_kind:     global_buffer
      - .actual_access:  read_only
        .address_space:  global
        .offset:         40
        .size:           8
        .value_kind:     global_buffer
      - .actual_access:  read_only
        .address_space:  global
        .offset:         48
        .size:           8
        .value_kind:     global_buffer
      - .actual_access:  read_only
        .address_space:  global
        .offset:         56
        .size:           8
        .value_kind:     global_buffer
      - .actual_access:  read_only
        .address_space:  global
        .offset:         64
        .size:           8
        .value_kind:     global_buffer
      - .offset:         72
        .size:           8
        .value_kind:     by_value
      - .address_space:  global
        .offset:         80
        .size:           8
        .value_kind:     global_buffer
      - .offset:         88
        .size:           4
        .value_kind:     by_value
      - .offset:         92
        .size:           1
        .value_kind:     by_value
    .group_segment_fixed_size: 3528
    .kernarg_segment_align: 8
    .kernarg_segment_size: 96
    .language:       OpenCL C
    .language_version:
      - 2
      - 0
    .max_flat_workgroup_size: 441
    .name:           _ZN9rocsparseL20bsrxmvn_17_32_kernelILj21E21rocsparse_complex_numIfEiiS2_S2_S2_EEvT2_20rocsparse_direction_NS_24const_host_device_scalarIT0_EES3_PKS3_PKT1_SC_S9_PKT3_PKT4_S7_PT5_21rocsparse_index_base_b
    .private_segment_fixed_size: 0
    .sgpr_count:     22
    .sgpr_spill_count: 0
    .symbol:         _ZN9rocsparseL20bsrxmvn_17_32_kernelILj21E21rocsparse_complex_numIfEiiS2_S2_S2_EEvT2_20rocsparse_direction_NS_24const_host_device_scalarIT0_EES3_PKS3_PKT1_SC_S9_PKT3_PKT4_S7_PT5_21rocsparse_index_base_b.kd
    .uniform_work_group_size: 1
    .uses_dynamic_stack: false
    .vgpr_count:     18
    .vgpr_spill_count: 0
    .wavefront_size: 64
  - .args:
      - .offset:         0
        .size:           4
        .value_kind:     by_value
      - .offset:         4
        .size:           4
        .value_kind:     by_value
      - .offset:         8
        .size:           8
        .value_kind:     by_value
      - .offset:         16
        .size:           4
        .value_kind:     by_value
      - .actual_access:  read_only
        .address_space:  global
        .offset:         24
        .size:           8
        .value_kind:     global_buffer
      - .actual_access:  read_only
        .address_space:  global
        .offset:         32
        .size:           8
        .value_kind:     global_buffer
      - .actual_access:  read_only
        .address_space:  global
        .offset:         40
        .size:           8
        .value_kind:     global_buffer
      - .actual_access:  read_only
        .address_space:  global
        .offset:         48
        .size:           8
        .value_kind:     global_buffer
      - .actual_access:  read_only
        .address_space:  global
        .offset:         56
        .size:           8
        .value_kind:     global_buffer
      - .actual_access:  read_only
        .address_space:  global
        .offset:         64
        .size:           8
        .value_kind:     global_buffer
      - .offset:         72
        .size:           8
        .value_kind:     by_value
      - .address_space:  global
        .offset:         80
        .size:           8
        .value_kind:     global_buffer
      - .offset:         88
        .size:           4
        .value_kind:     by_value
      - .offset:         92
        .size:           1
        .value_kind:     by_value
    .group_segment_fixed_size: 3872
    .kernarg_segment_align: 8
    .kernarg_segment_size: 96
    .language:       OpenCL C
    .language_version:
      - 2
      - 0
    .max_flat_workgroup_size: 484
    .name:           _ZN9rocsparseL20bsrxmvn_17_32_kernelILj22E21rocsparse_complex_numIfEiiS2_S2_S2_EEvT2_20rocsparse_direction_NS_24const_host_device_scalarIT0_EES3_PKS3_PKT1_SC_S9_PKT3_PKT4_S7_PT5_21rocsparse_index_base_b
    .private_segment_fixed_size: 0
    .sgpr_count:     22
    .sgpr_spill_count: 0
    .symbol:         _ZN9rocsparseL20bsrxmvn_17_32_kernelILj22E21rocsparse_complex_numIfEiiS2_S2_S2_EEvT2_20rocsparse_direction_NS_24const_host_device_scalarIT0_EES3_PKS3_PKT1_SC_S9_PKT3_PKT4_S7_PT5_21rocsparse_index_base_b.kd
    .uniform_work_group_size: 1
    .uses_dynamic_stack: false
    .vgpr_count:     18
    .vgpr_spill_count: 0
    .wavefront_size: 64
  - .args:
      - .offset:         0
        .size:           4
        .value_kind:     by_value
      - .offset:         4
        .size:           4
        .value_kind:     by_value
      - .offset:         8
        .size:           8
        .value_kind:     by_value
      - .offset:         16
        .size:           4
        .value_kind:     by_value
      - .actual_access:  read_only
        .address_space:  global
        .offset:         24
        .size:           8
        .value_kind:     global_buffer
      - .actual_access:  read_only
        .address_space:  global
        .offset:         32
        .size:           8
        .value_kind:     global_buffer
      - .actual_access:  read_only
        .address_space:  global
        .offset:         40
        .size:           8
        .value_kind:     global_buffer
      - .actual_access:  read_only
        .address_space:  global
        .offset:         48
        .size:           8
        .value_kind:     global_buffer
      - .actual_access:  read_only
        .address_space:  global
        .offset:         56
        .size:           8
        .value_kind:     global_buffer
      - .actual_access:  read_only
        .address_space:  global
        .offset:         64
        .size:           8
        .value_kind:     global_buffer
      - .offset:         72
        .size:           8
        .value_kind:     by_value
      - .address_space:  global
        .offset:         80
        .size:           8
        .value_kind:     global_buffer
      - .offset:         88
        .size:           4
        .value_kind:     by_value
      - .offset:         92
        .size:           1
        .value_kind:     by_value
    .group_segment_fixed_size: 4232
    .kernarg_segment_align: 8
    .kernarg_segment_size: 96
    .language:       OpenCL C
    .language_version:
      - 2
      - 0
    .max_flat_workgroup_size: 529
    .name:           _ZN9rocsparseL20bsrxmvn_17_32_kernelILj23E21rocsparse_complex_numIfEiiS2_S2_S2_EEvT2_20rocsparse_direction_NS_24const_host_device_scalarIT0_EES3_PKS3_PKT1_SC_S9_PKT3_PKT4_S7_PT5_21rocsparse_index_base_b
    .private_segment_fixed_size: 0
    .sgpr_count:     22
    .sgpr_spill_count: 0
    .symbol:         _ZN9rocsparseL20bsrxmvn_17_32_kernelILj23E21rocsparse_complex_numIfEiiS2_S2_S2_EEvT2_20rocsparse_direction_NS_24const_host_device_scalarIT0_EES3_PKS3_PKT1_SC_S9_PKT3_PKT4_S7_PT5_21rocsparse_index_base_b.kd
    .uniform_work_group_size: 1
    .uses_dynamic_stack: false
    .vgpr_count:     18
    .vgpr_spill_count: 0
    .wavefront_size: 64
  - .args:
      - .offset:         0
        .size:           4
        .value_kind:     by_value
      - .offset:         4
        .size:           4
        .value_kind:     by_value
      - .offset:         8
        .size:           8
        .value_kind:     by_value
      - .offset:         16
        .size:           4
        .value_kind:     by_value
      - .actual_access:  read_only
        .address_space:  global
        .offset:         24
        .size:           8
        .value_kind:     global_buffer
      - .actual_access:  read_only
        .address_space:  global
        .offset:         32
        .size:           8
        .value_kind:     global_buffer
      - .actual_access:  read_only
        .address_space:  global
        .offset:         40
        .size:           8
        .value_kind:     global_buffer
      - .actual_access:  read_only
        .address_space:  global
        .offset:         48
        .size:           8
        .value_kind:     global_buffer
      - .actual_access:  read_only
        .address_space:  global
        .offset:         56
        .size:           8
        .value_kind:     global_buffer
      - .actual_access:  read_only
        .address_space:  global
        .offset:         64
        .size:           8
        .value_kind:     global_buffer
      - .offset:         72
        .size:           8
        .value_kind:     by_value
      - .address_space:  global
        .offset:         80
        .size:           8
        .value_kind:     global_buffer
      - .offset:         88
        .size:           4
        .value_kind:     by_value
      - .offset:         92
        .size:           1
        .value_kind:     by_value
    .group_segment_fixed_size: 4608
    .kernarg_segment_align: 8
    .kernarg_segment_size: 96
    .language:       OpenCL C
    .language_version:
      - 2
      - 0
    .max_flat_workgroup_size: 576
    .name:           _ZN9rocsparseL20bsrxmvn_17_32_kernelILj24E21rocsparse_complex_numIfEiiS2_S2_S2_EEvT2_20rocsparse_direction_NS_24const_host_device_scalarIT0_EES3_PKS3_PKT1_SC_S9_PKT3_PKT4_S7_PT5_21rocsparse_index_base_b
    .private_segment_fixed_size: 0
    .sgpr_count:     22
    .sgpr_spill_count: 0
    .symbol:         _ZN9rocsparseL20bsrxmvn_17_32_kernelILj24E21rocsparse_complex_numIfEiiS2_S2_S2_EEvT2_20rocsparse_direction_NS_24const_host_device_scalarIT0_EES3_PKS3_PKT1_SC_S9_PKT3_PKT4_S7_PT5_21rocsparse_index_base_b.kd
    .uniform_work_group_size: 1
    .uses_dynamic_stack: false
    .vgpr_count:     18
    .vgpr_spill_count: 0
    .wavefront_size: 64
  - .args:
      - .offset:         0
        .size:           4
        .value_kind:     by_value
      - .offset:         4
        .size:           4
        .value_kind:     by_value
      - .offset:         8
        .size:           8
        .value_kind:     by_value
      - .offset:         16
        .size:           4
        .value_kind:     by_value
      - .actual_access:  read_only
        .address_space:  global
        .offset:         24
        .size:           8
        .value_kind:     global_buffer
      - .actual_access:  read_only
        .address_space:  global
        .offset:         32
        .size:           8
        .value_kind:     global_buffer
      - .actual_access:  read_only
        .address_space:  global
        .offset:         40
        .size:           8
        .value_kind:     global_buffer
      - .actual_access:  read_only
        .address_space:  global
        .offset:         48
        .size:           8
        .value_kind:     global_buffer
      - .actual_access:  read_only
        .address_space:  global
        .offset:         56
        .size:           8
        .value_kind:     global_buffer
      - .actual_access:  read_only
        .address_space:  global
        .offset:         64
        .size:           8
        .value_kind:     global_buffer
      - .offset:         72
        .size:           8
        .value_kind:     by_value
      - .address_space:  global
        .offset:         80
        .size:           8
        .value_kind:     global_buffer
      - .offset:         88
        .size:           4
        .value_kind:     by_value
      - .offset:         92
        .size:           1
        .value_kind:     by_value
    .group_segment_fixed_size: 5000
    .kernarg_segment_align: 8
    .kernarg_segment_size: 96
    .language:       OpenCL C
    .language_version:
      - 2
      - 0
    .max_flat_workgroup_size: 625
    .name:           _ZN9rocsparseL20bsrxmvn_17_32_kernelILj25E21rocsparse_complex_numIfEiiS2_S2_S2_EEvT2_20rocsparse_direction_NS_24const_host_device_scalarIT0_EES3_PKS3_PKT1_SC_S9_PKT3_PKT4_S7_PT5_21rocsparse_index_base_b
    .private_segment_fixed_size: 0
    .sgpr_count:     22
    .sgpr_spill_count: 0
    .symbol:         _ZN9rocsparseL20bsrxmvn_17_32_kernelILj25E21rocsparse_complex_numIfEiiS2_S2_S2_EEvT2_20rocsparse_direction_NS_24const_host_device_scalarIT0_EES3_PKS3_PKT1_SC_S9_PKT3_PKT4_S7_PT5_21rocsparse_index_base_b.kd
    .uniform_work_group_size: 1
    .uses_dynamic_stack: false
    .vgpr_count:     18
    .vgpr_spill_count: 0
    .wavefront_size: 64
  - .args:
      - .offset:         0
        .size:           4
        .value_kind:     by_value
      - .offset:         4
        .size:           4
        .value_kind:     by_value
      - .offset:         8
        .size:           8
        .value_kind:     by_value
      - .offset:         16
        .size:           4
        .value_kind:     by_value
      - .actual_access:  read_only
        .address_space:  global
        .offset:         24
        .size:           8
        .value_kind:     global_buffer
      - .actual_access:  read_only
        .address_space:  global
        .offset:         32
        .size:           8
        .value_kind:     global_buffer
      - .actual_access:  read_only
        .address_space:  global
        .offset:         40
        .size:           8
        .value_kind:     global_buffer
      - .actual_access:  read_only
        .address_space:  global
        .offset:         48
        .size:           8
        .value_kind:     global_buffer
      - .actual_access:  read_only
        .address_space:  global
        .offset:         56
        .size:           8
        .value_kind:     global_buffer
      - .actual_access:  read_only
        .address_space:  global
        .offset:         64
        .size:           8
        .value_kind:     global_buffer
      - .offset:         72
        .size:           8
        .value_kind:     by_value
      - .address_space:  global
        .offset:         80
        .size:           8
        .value_kind:     global_buffer
      - .offset:         88
        .size:           4
        .value_kind:     by_value
      - .offset:         92
        .size:           1
        .value_kind:     by_value
    .group_segment_fixed_size: 5408
    .kernarg_segment_align: 8
    .kernarg_segment_size: 96
    .language:       OpenCL C
    .language_version:
      - 2
      - 0
    .max_flat_workgroup_size: 676
    .name:           _ZN9rocsparseL20bsrxmvn_17_32_kernelILj26E21rocsparse_complex_numIfEiiS2_S2_S2_EEvT2_20rocsparse_direction_NS_24const_host_device_scalarIT0_EES3_PKS3_PKT1_SC_S9_PKT3_PKT4_S7_PT5_21rocsparse_index_base_b
    .private_segment_fixed_size: 0
    .sgpr_count:     22
    .sgpr_spill_count: 0
    .symbol:         _ZN9rocsparseL20bsrxmvn_17_32_kernelILj26E21rocsparse_complex_numIfEiiS2_S2_S2_EEvT2_20rocsparse_direction_NS_24const_host_device_scalarIT0_EES3_PKS3_PKT1_SC_S9_PKT3_PKT4_S7_PT5_21rocsparse_index_base_b.kd
    .uniform_work_group_size: 1
    .uses_dynamic_stack: false
    .vgpr_count:     18
    .vgpr_spill_count: 0
    .wavefront_size: 64
  - .args:
      - .offset:         0
        .size:           4
        .value_kind:     by_value
      - .offset:         4
        .size:           4
        .value_kind:     by_value
      - .offset:         8
        .size:           8
        .value_kind:     by_value
      - .offset:         16
        .size:           4
        .value_kind:     by_value
      - .actual_access:  read_only
        .address_space:  global
        .offset:         24
        .size:           8
        .value_kind:     global_buffer
      - .actual_access:  read_only
        .address_space:  global
        .offset:         32
        .size:           8
        .value_kind:     global_buffer
      - .actual_access:  read_only
        .address_space:  global
        .offset:         40
        .size:           8
        .value_kind:     global_buffer
      - .actual_access:  read_only
        .address_space:  global
        .offset:         48
        .size:           8
        .value_kind:     global_buffer
      - .actual_access:  read_only
        .address_space:  global
        .offset:         56
        .size:           8
        .value_kind:     global_buffer
      - .actual_access:  read_only
        .address_space:  global
        .offset:         64
        .size:           8
        .value_kind:     global_buffer
      - .offset:         72
        .size:           8
        .value_kind:     by_value
      - .address_space:  global
        .offset:         80
        .size:           8
        .value_kind:     global_buffer
      - .offset:         88
        .size:           4
        .value_kind:     by_value
      - .offset:         92
        .size:           1
        .value_kind:     by_value
    .group_segment_fixed_size: 5832
    .kernarg_segment_align: 8
    .kernarg_segment_size: 96
    .language:       OpenCL C
    .language_version:
      - 2
      - 0
    .max_flat_workgroup_size: 729
    .name:           _ZN9rocsparseL20bsrxmvn_17_32_kernelILj27E21rocsparse_complex_numIfEiiS2_S2_S2_EEvT2_20rocsparse_direction_NS_24const_host_device_scalarIT0_EES3_PKS3_PKT1_SC_S9_PKT3_PKT4_S7_PT5_21rocsparse_index_base_b
    .private_segment_fixed_size: 0
    .sgpr_count:     22
    .sgpr_spill_count: 0
    .symbol:         _ZN9rocsparseL20bsrxmvn_17_32_kernelILj27E21rocsparse_complex_numIfEiiS2_S2_S2_EEvT2_20rocsparse_direction_NS_24const_host_device_scalarIT0_EES3_PKS3_PKT1_SC_S9_PKT3_PKT4_S7_PT5_21rocsparse_index_base_b.kd
    .uniform_work_group_size: 1
    .uses_dynamic_stack: false
    .vgpr_count:     18
    .vgpr_spill_count: 0
    .wavefront_size: 64
  - .args:
      - .offset:         0
        .size:           4
        .value_kind:     by_value
      - .offset:         4
        .size:           4
        .value_kind:     by_value
      - .offset:         8
        .size:           8
        .value_kind:     by_value
      - .offset:         16
        .size:           4
        .value_kind:     by_value
      - .actual_access:  read_only
        .address_space:  global
        .offset:         24
        .size:           8
        .value_kind:     global_buffer
      - .actual_access:  read_only
        .address_space:  global
        .offset:         32
        .size:           8
        .value_kind:     global_buffer
      - .actual_access:  read_only
        .address_space:  global
        .offset:         40
        .size:           8
        .value_kind:     global_buffer
      - .actual_access:  read_only
        .address_space:  global
        .offset:         48
        .size:           8
        .value_kind:     global_buffer
      - .actual_access:  read_only
        .address_space:  global
        .offset:         56
        .size:           8
        .value_kind:     global_buffer
      - .actual_access:  read_only
        .address_space:  global
        .offset:         64
        .size:           8
        .value_kind:     global_buffer
      - .offset:         72
        .size:           8
        .value_kind:     by_value
      - .address_space:  global
        .offset:         80
        .size:           8
        .value_kind:     global_buffer
      - .offset:         88
        .size:           4
        .value_kind:     by_value
      - .offset:         92
        .size:           1
        .value_kind:     by_value
    .group_segment_fixed_size: 6272
    .kernarg_segment_align: 8
    .kernarg_segment_size: 96
    .language:       OpenCL C
    .language_version:
      - 2
      - 0
    .max_flat_workgroup_size: 784
    .name:           _ZN9rocsparseL20bsrxmvn_17_32_kernelILj28E21rocsparse_complex_numIfEiiS2_S2_S2_EEvT2_20rocsparse_direction_NS_24const_host_device_scalarIT0_EES3_PKS3_PKT1_SC_S9_PKT3_PKT4_S7_PT5_21rocsparse_index_base_b
    .private_segment_fixed_size: 0
    .sgpr_count:     22
    .sgpr_spill_count: 0
    .symbol:         _ZN9rocsparseL20bsrxmvn_17_32_kernelILj28E21rocsparse_complex_numIfEiiS2_S2_S2_EEvT2_20rocsparse_direction_NS_24const_host_device_scalarIT0_EES3_PKS3_PKT1_SC_S9_PKT3_PKT4_S7_PT5_21rocsparse_index_base_b.kd
    .uniform_work_group_size: 1
    .uses_dynamic_stack: false
    .vgpr_count:     18
    .vgpr_spill_count: 0
    .wavefront_size: 64
  - .args:
      - .offset:         0
        .size:           4
        .value_kind:     by_value
      - .offset:         4
        .size:           4
        .value_kind:     by_value
      - .offset:         8
        .size:           8
        .value_kind:     by_value
      - .offset:         16
        .size:           4
        .value_kind:     by_value
      - .actual_access:  read_only
        .address_space:  global
        .offset:         24
        .size:           8
        .value_kind:     global_buffer
      - .actual_access:  read_only
        .address_space:  global
        .offset:         32
        .size:           8
        .value_kind:     global_buffer
      - .actual_access:  read_only
        .address_space:  global
        .offset:         40
        .size:           8
        .value_kind:     global_buffer
      - .actual_access:  read_only
        .address_space:  global
        .offset:         48
        .size:           8
        .value_kind:     global_buffer
      - .actual_access:  read_only
        .address_space:  global
        .offset:         56
        .size:           8
        .value_kind:     global_buffer
      - .actual_access:  read_only
        .address_space:  global
        .offset:         64
        .size:           8
        .value_kind:     global_buffer
      - .offset:         72
        .size:           8
        .value_kind:     by_value
      - .address_space:  global
        .offset:         80
        .size:           8
        .value_kind:     global_buffer
      - .offset:         88
        .size:           4
        .value_kind:     by_value
      - .offset:         92
        .size:           1
        .value_kind:     by_value
    .group_segment_fixed_size: 6728
    .kernarg_segment_align: 8
    .kernarg_segment_size: 96
    .language:       OpenCL C
    .language_version:
      - 2
      - 0
    .max_flat_workgroup_size: 841
    .name:           _ZN9rocsparseL20bsrxmvn_17_32_kernelILj29E21rocsparse_complex_numIfEiiS2_S2_S2_EEvT2_20rocsparse_direction_NS_24const_host_device_scalarIT0_EES3_PKS3_PKT1_SC_S9_PKT3_PKT4_S7_PT5_21rocsparse_index_base_b
    .private_segment_fixed_size: 0
    .sgpr_count:     22
    .sgpr_spill_count: 0
    .symbol:         _ZN9rocsparseL20bsrxmvn_17_32_kernelILj29E21rocsparse_complex_numIfEiiS2_S2_S2_EEvT2_20rocsparse_direction_NS_24const_host_device_scalarIT0_EES3_PKS3_PKT1_SC_S9_PKT3_PKT4_S7_PT5_21rocsparse_index_base_b.kd
    .uniform_work_group_size: 1
    .uses_dynamic_stack: false
    .vgpr_count:     18
    .vgpr_spill_count: 0
    .wavefront_size: 64
  - .args:
      - .offset:         0
        .size:           4
        .value_kind:     by_value
      - .offset:         4
        .size:           4
        .value_kind:     by_value
      - .offset:         8
        .size:           8
        .value_kind:     by_value
      - .offset:         16
        .size:           4
        .value_kind:     by_value
      - .actual_access:  read_only
        .address_space:  global
        .offset:         24
        .size:           8
        .value_kind:     global_buffer
      - .actual_access:  read_only
        .address_space:  global
        .offset:         32
        .size:           8
        .value_kind:     global_buffer
      - .actual_access:  read_only
        .address_space:  global
        .offset:         40
        .size:           8
        .value_kind:     global_buffer
      - .actual_access:  read_only
        .address_space:  global
        .offset:         48
        .size:           8
        .value_kind:     global_buffer
      - .actual_access:  read_only
        .address_space:  global
        .offset:         56
        .size:           8
        .value_kind:     global_buffer
      - .actual_access:  read_only
        .address_space:  global
        .offset:         64
        .size:           8
        .value_kind:     global_buffer
      - .offset:         72
        .size:           8
        .value_kind:     by_value
      - .address_space:  global
        .offset:         80
        .size:           8
        .value_kind:     global_buffer
      - .offset:         88
        .size:           4
        .value_kind:     by_value
      - .offset:         92
        .size:           1
        .value_kind:     by_value
    .group_segment_fixed_size: 7200
    .kernarg_segment_align: 8
    .kernarg_segment_size: 96
    .language:       OpenCL C
    .language_version:
      - 2
      - 0
    .max_flat_workgroup_size: 900
    .name:           _ZN9rocsparseL20bsrxmvn_17_32_kernelILj30E21rocsparse_complex_numIfEiiS2_S2_S2_EEvT2_20rocsparse_direction_NS_24const_host_device_scalarIT0_EES3_PKS3_PKT1_SC_S9_PKT3_PKT4_S7_PT5_21rocsparse_index_base_b
    .private_segment_fixed_size: 0
    .sgpr_count:     22
    .sgpr_spill_count: 0
    .symbol:         _ZN9rocsparseL20bsrxmvn_17_32_kernelILj30E21rocsparse_complex_numIfEiiS2_S2_S2_EEvT2_20rocsparse_direction_NS_24const_host_device_scalarIT0_EES3_PKS3_PKT1_SC_S9_PKT3_PKT4_S7_PT5_21rocsparse_index_base_b.kd
    .uniform_work_group_size: 1
    .uses_dynamic_stack: false
    .vgpr_count:     18
    .vgpr_spill_count: 0
    .wavefront_size: 64
  - .args:
      - .offset:         0
        .size:           4
        .value_kind:     by_value
      - .offset:         4
        .size:           4
        .value_kind:     by_value
      - .offset:         8
        .size:           8
        .value_kind:     by_value
      - .offset:         16
        .size:           4
        .value_kind:     by_value
      - .actual_access:  read_only
        .address_space:  global
        .offset:         24
        .size:           8
        .value_kind:     global_buffer
      - .actual_access:  read_only
        .address_space:  global
        .offset:         32
        .size:           8
        .value_kind:     global_buffer
      - .actual_access:  read_only
        .address_space:  global
        .offset:         40
        .size:           8
        .value_kind:     global_buffer
      - .actual_access:  read_only
        .address_space:  global
        .offset:         48
        .size:           8
        .value_kind:     global_buffer
      - .actual_access:  read_only
        .address_space:  global
        .offset:         56
        .size:           8
        .value_kind:     global_buffer
      - .actual_access:  read_only
        .address_space:  global
        .offset:         64
        .size:           8
        .value_kind:     global_buffer
      - .offset:         72
        .size:           8
        .value_kind:     by_value
      - .address_space:  global
        .offset:         80
        .size:           8
        .value_kind:     global_buffer
      - .offset:         88
        .size:           4
        .value_kind:     by_value
      - .offset:         92
        .size:           1
        .value_kind:     by_value
    .group_segment_fixed_size: 7688
    .kernarg_segment_align: 8
    .kernarg_segment_size: 96
    .language:       OpenCL C
    .language_version:
      - 2
      - 0
    .max_flat_workgroup_size: 961
    .name:           _ZN9rocsparseL20bsrxmvn_17_32_kernelILj31E21rocsparse_complex_numIfEiiS2_S2_S2_EEvT2_20rocsparse_direction_NS_24const_host_device_scalarIT0_EES3_PKS3_PKT1_SC_S9_PKT3_PKT4_S7_PT5_21rocsparse_index_base_b
    .private_segment_fixed_size: 0
    .sgpr_count:     22
    .sgpr_spill_count: 0
    .symbol:         _ZN9rocsparseL20bsrxmvn_17_32_kernelILj31E21rocsparse_complex_numIfEiiS2_S2_S2_EEvT2_20rocsparse_direction_NS_24const_host_device_scalarIT0_EES3_PKS3_PKT1_SC_S9_PKT3_PKT4_S7_PT5_21rocsparse_index_base_b.kd
    .uniform_work_group_size: 1
    .uses_dynamic_stack: false
    .vgpr_count:     18
    .vgpr_spill_count: 0
    .wavefront_size: 64
  - .args:
      - .offset:         0
        .size:           4
        .value_kind:     by_value
      - .offset:         4
        .size:           4
        .value_kind:     by_value
      - .offset:         8
        .size:           8
        .value_kind:     by_value
      - .offset:         16
        .size:           4
        .value_kind:     by_value
      - .actual_access:  read_only
        .address_space:  global
        .offset:         24
        .size:           8
        .value_kind:     global_buffer
      - .actual_access:  read_only
        .address_space:  global
        .offset:         32
        .size:           8
        .value_kind:     global_buffer
      - .actual_access:  read_only
        .address_space:  global
        .offset:         40
        .size:           8
        .value_kind:     global_buffer
      - .actual_access:  read_only
        .address_space:  global
        .offset:         48
        .size:           8
        .value_kind:     global_buffer
      - .actual_access:  read_only
        .address_space:  global
        .offset:         56
        .size:           8
        .value_kind:     global_buffer
      - .actual_access:  read_only
        .address_space:  global
        .offset:         64
        .size:           8
        .value_kind:     global_buffer
      - .offset:         72
        .size:           8
        .value_kind:     by_value
      - .address_space:  global
        .offset:         80
        .size:           8
        .value_kind:     global_buffer
      - .offset:         88
        .size:           4
        .value_kind:     by_value
      - .offset:         92
        .size:           1
        .value_kind:     by_value
    .group_segment_fixed_size: 8192
    .kernarg_segment_align: 8
    .kernarg_segment_size: 96
    .language:       OpenCL C
    .language_version:
      - 2
      - 0
    .max_flat_workgroup_size: 1024
    .name:           _ZN9rocsparseL20bsrxmvn_17_32_kernelILj32E21rocsparse_complex_numIfEiiS2_S2_S2_EEvT2_20rocsparse_direction_NS_24const_host_device_scalarIT0_EES3_PKS3_PKT1_SC_S9_PKT3_PKT4_S7_PT5_21rocsparse_index_base_b
    .private_segment_fixed_size: 0
    .sgpr_count:     22
    .sgpr_spill_count: 0
    .symbol:         _ZN9rocsparseL20bsrxmvn_17_32_kernelILj32E21rocsparse_complex_numIfEiiS2_S2_S2_EEvT2_20rocsparse_direction_NS_24const_host_device_scalarIT0_EES3_PKS3_PKT1_SC_S9_PKT3_PKT4_S7_PT5_21rocsparse_index_base_b.kd
    .uniform_work_group_size: 1
    .uses_dynamic_stack: false
    .vgpr_count:     17
    .vgpr_spill_count: 0
    .wavefront_size: 64
  - .args:
      - .offset:         0
        .size:           4
        .value_kind:     by_value
      - .offset:         4
        .size:           4
        .value_kind:     by_value
      - .offset:         8
        .size:           16
        .value_kind:     by_value
      - .offset:         24
        .size:           4
        .value_kind:     by_value
      - .actual_access:  read_only
        .address_space:  global
        .offset:         32
        .size:           8
        .value_kind:     global_buffer
      - .actual_access:  read_only
        .address_space:  global
        .offset:         40
        .size:           8
        .value_kind:     global_buffer
      - .actual_access:  read_only
        .address_space:  global
        .offset:         48
        .size:           8
        .value_kind:     global_buffer
      - .actual_access:  read_only
        .address_space:  global
        .offset:         56
        .size:           8
        .value_kind:     global_buffer
      - .actual_access:  read_only
        .address_space:  global
        .offset:         64
        .size:           8
        .value_kind:     global_buffer
      - .actual_access:  read_only
        .address_space:  global
        .offset:         72
        .size:           8
        .value_kind:     global_buffer
      - .offset:         80
        .size:           16
        .value_kind:     by_value
      - .address_space:  global
        .offset:         96
        .size:           8
        .value_kind:     global_buffer
      - .offset:         104
        .size:           4
        .value_kind:     by_value
      - .offset:         108
        .size:           1
        .value_kind:     by_value
    .group_segment_fixed_size: 4624
    .kernarg_segment_align: 8
    .kernarg_segment_size: 112
    .language:       OpenCL C
    .language_version:
      - 2
      - 0
    .max_flat_workgroup_size: 289
    .name:           _ZN9rocsparseL20bsrxmvn_17_32_kernelILj17E21rocsparse_complex_numIdEiiS2_S2_S2_EEvT2_20rocsparse_direction_NS_24const_host_device_scalarIT0_EES3_PKS3_PKT1_SC_S9_PKT3_PKT4_S7_PT5_21rocsparse_index_base_b
    .private_segment_fixed_size: 0
    .sgpr_count:     22
    .sgpr_spill_count: 0
    .symbol:         _ZN9rocsparseL20bsrxmvn_17_32_kernelILj17E21rocsparse_complex_numIdEiiS2_S2_S2_EEvT2_20rocsparse_direction_NS_24const_host_device_scalarIT0_EES3_PKS3_PKT1_SC_S9_PKT3_PKT4_S7_PT5_21rocsparse_index_base_b.kd
    .uniform_work_group_size: 1
    .uses_dynamic_stack: false
    .vgpr_count:     29
    .vgpr_spill_count: 0
    .wavefront_size: 64
  - .args:
      - .offset:         0
        .size:           4
        .value_kind:     by_value
      - .offset:         4
        .size:           4
        .value_kind:     by_value
      - .offset:         8
        .size:           16
        .value_kind:     by_value
      - .offset:         24
        .size:           4
        .value_kind:     by_value
      - .actual_access:  read_only
        .address_space:  global
        .offset:         32
        .size:           8
        .value_kind:     global_buffer
      - .actual_access:  read_only
        .address_space:  global
        .offset:         40
        .size:           8
        .value_kind:     global_buffer
      - .actual_access:  read_only
        .address_space:  global
        .offset:         48
        .size:           8
        .value_kind:     global_buffer
      - .actual_access:  read_only
        .address_space:  global
        .offset:         56
        .size:           8
        .value_kind:     global_buffer
      - .actual_access:  read_only
        .address_space:  global
        .offset:         64
        .size:           8
        .value_kind:     global_buffer
      - .actual_access:  read_only
        .address_space:  global
        .offset:         72
        .size:           8
        .value_kind:     global_buffer
      - .offset:         80
        .size:           16
        .value_kind:     by_value
      - .address_space:  global
        .offset:         96
        .size:           8
        .value_kind:     global_buffer
      - .offset:         104
        .size:           4
        .value_kind:     by_value
      - .offset:         108
        .size:           1
        .value_kind:     by_value
    .group_segment_fixed_size: 5184
    .kernarg_segment_align: 8
    .kernarg_segment_size: 112
    .language:       OpenCL C
    .language_version:
      - 2
      - 0
    .max_flat_workgroup_size: 324
    .name:           _ZN9rocsparseL20bsrxmvn_17_32_kernelILj18E21rocsparse_complex_numIdEiiS2_S2_S2_EEvT2_20rocsparse_direction_NS_24const_host_device_scalarIT0_EES3_PKS3_PKT1_SC_S9_PKT3_PKT4_S7_PT5_21rocsparse_index_base_b
    .private_segment_fixed_size: 0
    .sgpr_count:     22
    .sgpr_spill_count: 0
    .symbol:         _ZN9rocsparseL20bsrxmvn_17_32_kernelILj18E21rocsparse_complex_numIdEiiS2_S2_S2_EEvT2_20rocsparse_direction_NS_24const_host_device_scalarIT0_EES3_PKS3_PKT1_SC_S9_PKT3_PKT4_S7_PT5_21rocsparse_index_base_b.kd
    .uniform_work_group_size: 1
    .uses_dynamic_stack: false
    .vgpr_count:     29
    .vgpr_spill_count: 0
    .wavefront_size: 64
  - .args:
      - .offset:         0
        .size:           4
        .value_kind:     by_value
      - .offset:         4
        .size:           4
        .value_kind:     by_value
      - .offset:         8
        .size:           16
        .value_kind:     by_value
      - .offset:         24
        .size:           4
        .value_kind:     by_value
      - .actual_access:  read_only
        .address_space:  global
        .offset:         32
        .size:           8
        .value_kind:     global_buffer
      - .actual_access:  read_only
        .address_space:  global
        .offset:         40
        .size:           8
        .value_kind:     global_buffer
      - .actual_access:  read_only
        .address_space:  global
        .offset:         48
        .size:           8
        .value_kind:     global_buffer
      - .actual_access:  read_only
        .address_space:  global
        .offset:         56
        .size:           8
        .value_kind:     global_buffer
      - .actual_access:  read_only
        .address_space:  global
        .offset:         64
        .size:           8
        .value_kind:     global_buffer
      - .actual_access:  read_only
        .address_space:  global
        .offset:         72
        .size:           8
        .value_kind:     global_buffer
      - .offset:         80
        .size:           16
        .value_kind:     by_value
      - .address_space:  global
        .offset:         96
        .size:           8
        .value_kind:     global_buffer
      - .offset:         104
        .size:           4
        .value_kind:     by_value
      - .offset:         108
        .size:           1
        .value_kind:     by_value
    .group_segment_fixed_size: 5776
    .kernarg_segment_align: 8
    .kernarg_segment_size: 112
    .language:       OpenCL C
    .language_version:
      - 2
      - 0
    .max_flat_workgroup_size: 361
    .name:           _ZN9rocsparseL20bsrxmvn_17_32_kernelILj19E21rocsparse_complex_numIdEiiS2_S2_S2_EEvT2_20rocsparse_direction_NS_24const_host_device_scalarIT0_EES3_PKS3_PKT1_SC_S9_PKT3_PKT4_S7_PT5_21rocsparse_index_base_b
    .private_segment_fixed_size: 0
    .sgpr_count:     22
    .sgpr_spill_count: 0
    .symbol:         _ZN9rocsparseL20bsrxmvn_17_32_kernelILj19E21rocsparse_complex_numIdEiiS2_S2_S2_EEvT2_20rocsparse_direction_NS_24const_host_device_scalarIT0_EES3_PKS3_PKT1_SC_S9_PKT3_PKT4_S7_PT5_21rocsparse_index_base_b.kd
    .uniform_work_group_size: 1
    .uses_dynamic_stack: false
    .vgpr_count:     29
    .vgpr_spill_count: 0
    .wavefront_size: 64
  - .args:
      - .offset:         0
        .size:           4
        .value_kind:     by_value
      - .offset:         4
        .size:           4
        .value_kind:     by_value
      - .offset:         8
        .size:           16
        .value_kind:     by_value
      - .offset:         24
        .size:           4
        .value_kind:     by_value
      - .actual_access:  read_only
        .address_space:  global
        .offset:         32
        .size:           8
        .value_kind:     global_buffer
      - .actual_access:  read_only
        .address_space:  global
        .offset:         40
        .size:           8
        .value_kind:     global_buffer
      - .actual_access:  read_only
        .address_space:  global
        .offset:         48
        .size:           8
        .value_kind:     global_buffer
      - .actual_access:  read_only
        .address_space:  global
        .offset:         56
        .size:           8
        .value_kind:     global_buffer
      - .actual_access:  read_only
        .address_space:  global
        .offset:         64
        .size:           8
        .value_kind:     global_buffer
      - .actual_access:  read_only
        .address_space:  global
        .offset:         72
        .size:           8
        .value_kind:     global_buffer
      - .offset:         80
        .size:           16
        .value_kind:     by_value
      - .address_space:  global
        .offset:         96
        .size:           8
        .value_kind:     global_buffer
      - .offset:         104
        .size:           4
        .value_kind:     by_value
      - .offset:         108
        .size:           1
        .value_kind:     by_value
    .group_segment_fixed_size: 6400
    .kernarg_segment_align: 8
    .kernarg_segment_size: 112
    .language:       OpenCL C
    .language_version:
      - 2
      - 0
    .max_flat_workgroup_size: 400
    .name:           _ZN9rocsparseL20bsrxmvn_17_32_kernelILj20E21rocsparse_complex_numIdEiiS2_S2_S2_EEvT2_20rocsparse_direction_NS_24const_host_device_scalarIT0_EES3_PKS3_PKT1_SC_S9_PKT3_PKT4_S7_PT5_21rocsparse_index_base_b
    .private_segment_fixed_size: 0
    .sgpr_count:     22
    .sgpr_spill_count: 0
    .symbol:         _ZN9rocsparseL20bsrxmvn_17_32_kernelILj20E21rocsparse_complex_numIdEiiS2_S2_S2_EEvT2_20rocsparse_direction_NS_24const_host_device_scalarIT0_EES3_PKS3_PKT1_SC_S9_PKT3_PKT4_S7_PT5_21rocsparse_index_base_b.kd
    .uniform_work_group_size: 1
    .uses_dynamic_stack: false
    .vgpr_count:     29
    .vgpr_spill_count: 0
    .wavefront_size: 64
  - .args:
      - .offset:         0
        .size:           4
        .value_kind:     by_value
      - .offset:         4
        .size:           4
        .value_kind:     by_value
      - .offset:         8
        .size:           16
        .value_kind:     by_value
      - .offset:         24
        .size:           4
        .value_kind:     by_value
      - .actual_access:  read_only
        .address_space:  global
        .offset:         32
        .size:           8
        .value_kind:     global_buffer
      - .actual_access:  read_only
        .address_space:  global
        .offset:         40
        .size:           8
        .value_kind:     global_buffer
      - .actual_access:  read_only
        .address_space:  global
        .offset:         48
        .size:           8
        .value_kind:     global_buffer
      - .actual_access:  read_only
        .address_space:  global
        .offset:         56
        .size:           8
        .value_kind:     global_buffer
      - .actual_access:  read_only
        .address_space:  global
        .offset:         64
        .size:           8
        .value_kind:     global_buffer
      - .actual_access:  read_only
        .address_space:  global
        .offset:         72
        .size:           8
        .value_kind:     global_buffer
      - .offset:         80
        .size:           16
        .value_kind:     by_value
      - .address_space:  global
        .offset:         96
        .size:           8
        .value_kind:     global_buffer
      - .offset:         104
        .size:           4
        .value_kind:     by_value
      - .offset:         108
        .size:           1
        .value_kind:     by_value
    .group_segment_fixed_size: 7056
    .kernarg_segment_align: 8
    .kernarg_segment_size: 112
    .language:       OpenCL C
    .language_version:
      - 2
      - 0
    .max_flat_workgroup_size: 441
    .name:           _ZN9rocsparseL20bsrxmvn_17_32_kernelILj21E21rocsparse_complex_numIdEiiS2_S2_S2_EEvT2_20rocsparse_direction_NS_24const_host_device_scalarIT0_EES3_PKS3_PKT1_SC_S9_PKT3_PKT4_S7_PT5_21rocsparse_index_base_b
    .private_segment_fixed_size: 0
    .sgpr_count:     22
    .sgpr_spill_count: 0
    .symbol:         _ZN9rocsparseL20bsrxmvn_17_32_kernelILj21E21rocsparse_complex_numIdEiiS2_S2_S2_EEvT2_20rocsparse_direction_NS_24const_host_device_scalarIT0_EES3_PKS3_PKT1_SC_S9_PKT3_PKT4_S7_PT5_21rocsparse_index_base_b.kd
    .uniform_work_group_size: 1
    .uses_dynamic_stack: false
    .vgpr_count:     29
    .vgpr_spill_count: 0
    .wavefront_size: 64
  - .args:
      - .offset:         0
        .size:           4
        .value_kind:     by_value
      - .offset:         4
        .size:           4
        .value_kind:     by_value
      - .offset:         8
        .size:           16
        .value_kind:     by_value
      - .offset:         24
        .size:           4
        .value_kind:     by_value
      - .actual_access:  read_only
        .address_space:  global
        .offset:         32
        .size:           8
        .value_kind:     global_buffer
      - .actual_access:  read_only
        .address_space:  global
        .offset:         40
        .size:           8
        .value_kind:     global_buffer
      - .actual_access:  read_only
        .address_space:  global
        .offset:         48
        .size:           8
        .value_kind:     global_buffer
      - .actual_access:  read_only
        .address_space:  global
        .offset:         56
        .size:           8
        .value_kind:     global_buffer
      - .actual_access:  read_only
        .address_space:  global
        .offset:         64
        .size:           8
        .value_kind:     global_buffer
      - .actual_access:  read_only
        .address_space:  global
        .offset:         72
        .size:           8
        .value_kind:     global_buffer
      - .offset:         80
        .size:           16
        .value_kind:     by_value
      - .address_space:  global
        .offset:         96
        .size:           8
        .value_kind:     global_buffer
      - .offset:         104
        .size:           4
        .value_kind:     by_value
      - .offset:         108
        .size:           1
        .value_kind:     by_value
    .group_segment_fixed_size: 7744
    .kernarg_segment_align: 8
    .kernarg_segment_size: 112
    .language:       OpenCL C
    .language_version:
      - 2
      - 0
    .max_flat_workgroup_size: 484
    .name:           _ZN9rocsparseL20bsrxmvn_17_32_kernelILj22E21rocsparse_complex_numIdEiiS2_S2_S2_EEvT2_20rocsparse_direction_NS_24const_host_device_scalarIT0_EES3_PKS3_PKT1_SC_S9_PKT3_PKT4_S7_PT5_21rocsparse_index_base_b
    .private_segment_fixed_size: 0
    .sgpr_count:     22
    .sgpr_spill_count: 0
    .symbol:         _ZN9rocsparseL20bsrxmvn_17_32_kernelILj22E21rocsparse_complex_numIdEiiS2_S2_S2_EEvT2_20rocsparse_direction_NS_24const_host_device_scalarIT0_EES3_PKS3_PKT1_SC_S9_PKT3_PKT4_S7_PT5_21rocsparse_index_base_b.kd
    .uniform_work_group_size: 1
    .uses_dynamic_stack: false
    .vgpr_count:     29
    .vgpr_spill_count: 0
    .wavefront_size: 64
  - .args:
      - .offset:         0
        .size:           4
        .value_kind:     by_value
      - .offset:         4
        .size:           4
        .value_kind:     by_value
      - .offset:         8
        .size:           16
        .value_kind:     by_value
      - .offset:         24
        .size:           4
        .value_kind:     by_value
      - .actual_access:  read_only
        .address_space:  global
        .offset:         32
        .size:           8
        .value_kind:     global_buffer
      - .actual_access:  read_only
        .address_space:  global
        .offset:         40
        .size:           8
        .value_kind:     global_buffer
      - .actual_access:  read_only
        .address_space:  global
        .offset:         48
        .size:           8
        .value_kind:     global_buffer
      - .actual_access:  read_only
        .address_space:  global
        .offset:         56
        .size:           8
        .value_kind:     global_buffer
      - .actual_access:  read_only
        .address_space:  global
        .offset:         64
        .size:           8
        .value_kind:     global_buffer
      - .actual_access:  read_only
        .address_space:  global
        .offset:         72
        .size:           8
        .value_kind:     global_buffer
      - .offset:         80
        .size:           16
        .value_kind:     by_value
      - .address_space:  global
        .offset:         96
        .size:           8
        .value_kind:     global_buffer
      - .offset:         104
        .size:           4
        .value_kind:     by_value
      - .offset:         108
        .size:           1
        .value_kind:     by_value
    .group_segment_fixed_size: 8464
    .kernarg_segment_align: 8
    .kernarg_segment_size: 112
    .language:       OpenCL C
    .language_version:
      - 2
      - 0
    .max_flat_workgroup_size: 529
    .name:           _ZN9rocsparseL20bsrxmvn_17_32_kernelILj23E21rocsparse_complex_numIdEiiS2_S2_S2_EEvT2_20rocsparse_direction_NS_24const_host_device_scalarIT0_EES3_PKS3_PKT1_SC_S9_PKT3_PKT4_S7_PT5_21rocsparse_index_base_b
    .private_segment_fixed_size: 0
    .sgpr_count:     22
    .sgpr_spill_count: 0
    .symbol:         _ZN9rocsparseL20bsrxmvn_17_32_kernelILj23E21rocsparse_complex_numIdEiiS2_S2_S2_EEvT2_20rocsparse_direction_NS_24const_host_device_scalarIT0_EES3_PKS3_PKT1_SC_S9_PKT3_PKT4_S7_PT5_21rocsparse_index_base_b.kd
    .uniform_work_group_size: 1
    .uses_dynamic_stack: false
    .vgpr_count:     29
    .vgpr_spill_count: 0
    .wavefront_size: 64
  - .args:
      - .offset:         0
        .size:           4
        .value_kind:     by_value
      - .offset:         4
        .size:           4
        .value_kind:     by_value
      - .offset:         8
        .size:           16
        .value_kind:     by_value
      - .offset:         24
        .size:           4
        .value_kind:     by_value
      - .actual_access:  read_only
        .address_space:  global
        .offset:         32
        .size:           8
        .value_kind:     global_buffer
      - .actual_access:  read_only
        .address_space:  global
        .offset:         40
        .size:           8
        .value_kind:     global_buffer
      - .actual_access:  read_only
        .address_space:  global
        .offset:         48
        .size:           8
        .value_kind:     global_buffer
      - .actual_access:  read_only
        .address_space:  global
        .offset:         56
        .size:           8
        .value_kind:     global_buffer
      - .actual_access:  read_only
        .address_space:  global
        .offset:         64
        .size:           8
        .value_kind:     global_buffer
      - .actual_access:  read_only
        .address_space:  global
        .offset:         72
        .size:           8
        .value_kind:     global_buffer
      - .offset:         80
        .size:           16
        .value_kind:     by_value
      - .address_space:  global
        .offset:         96
        .size:           8
        .value_kind:     global_buffer
      - .offset:         104
        .size:           4
        .value_kind:     by_value
      - .offset:         108
        .size:           1
        .value_kind:     by_value
    .group_segment_fixed_size: 9216
    .kernarg_segment_align: 8
    .kernarg_segment_size: 112
    .language:       OpenCL C
    .language_version:
      - 2
      - 0
    .max_flat_workgroup_size: 576
    .name:           _ZN9rocsparseL20bsrxmvn_17_32_kernelILj24E21rocsparse_complex_numIdEiiS2_S2_S2_EEvT2_20rocsparse_direction_NS_24const_host_device_scalarIT0_EES3_PKS3_PKT1_SC_S9_PKT3_PKT4_S7_PT5_21rocsparse_index_base_b
    .private_segment_fixed_size: 0
    .sgpr_count:     22
    .sgpr_spill_count: 0
    .symbol:         _ZN9rocsparseL20bsrxmvn_17_32_kernelILj24E21rocsparse_complex_numIdEiiS2_S2_S2_EEvT2_20rocsparse_direction_NS_24const_host_device_scalarIT0_EES3_PKS3_PKT1_SC_S9_PKT3_PKT4_S7_PT5_21rocsparse_index_base_b.kd
    .uniform_work_group_size: 1
    .uses_dynamic_stack: false
    .vgpr_count:     29
    .vgpr_spill_count: 0
    .wavefront_size: 64
  - .args:
      - .offset:         0
        .size:           4
        .value_kind:     by_value
      - .offset:         4
        .size:           4
        .value_kind:     by_value
      - .offset:         8
        .size:           16
        .value_kind:     by_value
      - .offset:         24
        .size:           4
        .value_kind:     by_value
      - .actual_access:  read_only
        .address_space:  global
        .offset:         32
        .size:           8
        .value_kind:     global_buffer
      - .actual_access:  read_only
        .address_space:  global
        .offset:         40
        .size:           8
        .value_kind:     global_buffer
      - .actual_access:  read_only
        .address_space:  global
        .offset:         48
        .size:           8
        .value_kind:     global_buffer
      - .actual_access:  read_only
        .address_space:  global
        .offset:         56
        .size:           8
        .value_kind:     global_buffer
      - .actual_access:  read_only
        .address_space:  global
        .offset:         64
        .size:           8
        .value_kind:     global_buffer
      - .actual_access:  read_only
        .address_space:  global
        .offset:         72
        .size:           8
        .value_kind:     global_buffer
      - .offset:         80
        .size:           16
        .value_kind:     by_value
      - .address_space:  global
        .offset:         96
        .size:           8
        .value_kind:     global_buffer
      - .offset:         104
        .size:           4
        .value_kind:     by_value
      - .offset:         108
        .size:           1
        .value_kind:     by_value
    .group_segment_fixed_size: 10000
    .kernarg_segment_align: 8
    .kernarg_segment_size: 112
    .language:       OpenCL C
    .language_version:
      - 2
      - 0
    .max_flat_workgroup_size: 625
    .name:           _ZN9rocsparseL20bsrxmvn_17_32_kernelILj25E21rocsparse_complex_numIdEiiS2_S2_S2_EEvT2_20rocsparse_direction_NS_24const_host_device_scalarIT0_EES3_PKS3_PKT1_SC_S9_PKT3_PKT4_S7_PT5_21rocsparse_index_base_b
    .private_segment_fixed_size: 0
    .sgpr_count:     22
    .sgpr_spill_count: 0
    .symbol:         _ZN9rocsparseL20bsrxmvn_17_32_kernelILj25E21rocsparse_complex_numIdEiiS2_S2_S2_EEvT2_20rocsparse_direction_NS_24const_host_device_scalarIT0_EES3_PKS3_PKT1_SC_S9_PKT3_PKT4_S7_PT5_21rocsparse_index_base_b.kd
    .uniform_work_group_size: 1
    .uses_dynamic_stack: false
    .vgpr_count:     29
    .vgpr_spill_count: 0
    .wavefront_size: 64
  - .args:
      - .offset:         0
        .size:           4
        .value_kind:     by_value
      - .offset:         4
        .size:           4
        .value_kind:     by_value
      - .offset:         8
        .size:           16
        .value_kind:     by_value
      - .offset:         24
        .size:           4
        .value_kind:     by_value
      - .actual_access:  read_only
        .address_space:  global
        .offset:         32
        .size:           8
        .value_kind:     global_buffer
      - .actual_access:  read_only
        .address_space:  global
        .offset:         40
        .size:           8
        .value_kind:     global_buffer
      - .actual_access:  read_only
        .address_space:  global
        .offset:         48
        .size:           8
        .value_kind:     global_buffer
      - .actual_access:  read_only
        .address_space:  global
        .offset:         56
        .size:           8
        .value_kind:     global_buffer
      - .actual_access:  read_only
        .address_space:  global
        .offset:         64
        .size:           8
        .value_kind:     global_buffer
      - .actual_access:  read_only
        .address_space:  global
        .offset:         72
        .size:           8
        .value_kind:     global_buffer
      - .offset:         80
        .size:           16
        .value_kind:     by_value
      - .address_space:  global
        .offset:         96
        .size:           8
        .value_kind:     global_buffer
      - .offset:         104
        .size:           4
        .value_kind:     by_value
      - .offset:         108
        .size:           1
        .value_kind:     by_value
    .group_segment_fixed_size: 10816
    .kernarg_segment_align: 8
    .kernarg_segment_size: 112
    .language:       OpenCL C
    .language_version:
      - 2
      - 0
    .max_flat_workgroup_size: 676
    .name:           _ZN9rocsparseL20bsrxmvn_17_32_kernelILj26E21rocsparse_complex_numIdEiiS2_S2_S2_EEvT2_20rocsparse_direction_NS_24const_host_device_scalarIT0_EES3_PKS3_PKT1_SC_S9_PKT3_PKT4_S7_PT5_21rocsparse_index_base_b
    .private_segment_fixed_size: 0
    .sgpr_count:     22
    .sgpr_spill_count: 0
    .symbol:         _ZN9rocsparseL20bsrxmvn_17_32_kernelILj26E21rocsparse_complex_numIdEiiS2_S2_S2_EEvT2_20rocsparse_direction_NS_24const_host_device_scalarIT0_EES3_PKS3_PKT1_SC_S9_PKT3_PKT4_S7_PT5_21rocsparse_index_base_b.kd
    .uniform_work_group_size: 1
    .uses_dynamic_stack: false
    .vgpr_count:     29
    .vgpr_spill_count: 0
    .wavefront_size: 64
  - .args:
      - .offset:         0
        .size:           4
        .value_kind:     by_value
      - .offset:         4
        .size:           4
        .value_kind:     by_value
      - .offset:         8
        .size:           16
        .value_kind:     by_value
      - .offset:         24
        .size:           4
        .value_kind:     by_value
      - .actual_access:  read_only
        .address_space:  global
        .offset:         32
        .size:           8
        .value_kind:     global_buffer
      - .actual_access:  read_only
        .address_space:  global
        .offset:         40
        .size:           8
        .value_kind:     global_buffer
      - .actual_access:  read_only
        .address_space:  global
        .offset:         48
        .size:           8
        .value_kind:     global_buffer
      - .actual_access:  read_only
        .address_space:  global
        .offset:         56
        .size:           8
        .value_kind:     global_buffer
      - .actual_access:  read_only
        .address_space:  global
        .offset:         64
        .size:           8
        .value_kind:     global_buffer
      - .actual_access:  read_only
        .address_space:  global
        .offset:         72
        .size:           8
        .value_kind:     global_buffer
      - .offset:         80
        .size:           16
        .value_kind:     by_value
      - .address_space:  global
        .offset:         96
        .size:           8
        .value_kind:     global_buffer
      - .offset:         104
        .size:           4
        .value_kind:     by_value
      - .offset:         108
        .size:           1
        .value_kind:     by_value
    .group_segment_fixed_size: 11664
    .kernarg_segment_align: 8
    .kernarg_segment_size: 112
    .language:       OpenCL C
    .language_version:
      - 2
      - 0
    .max_flat_workgroup_size: 729
    .name:           _ZN9rocsparseL20bsrxmvn_17_32_kernelILj27E21rocsparse_complex_numIdEiiS2_S2_S2_EEvT2_20rocsparse_direction_NS_24const_host_device_scalarIT0_EES3_PKS3_PKT1_SC_S9_PKT3_PKT4_S7_PT5_21rocsparse_index_base_b
    .private_segment_fixed_size: 0
    .sgpr_count:     22
    .sgpr_spill_count: 0
    .symbol:         _ZN9rocsparseL20bsrxmvn_17_32_kernelILj27E21rocsparse_complex_numIdEiiS2_S2_S2_EEvT2_20rocsparse_direction_NS_24const_host_device_scalarIT0_EES3_PKS3_PKT1_SC_S9_PKT3_PKT4_S7_PT5_21rocsparse_index_base_b.kd
    .uniform_work_group_size: 1
    .uses_dynamic_stack: false
    .vgpr_count:     29
    .vgpr_spill_count: 0
    .wavefront_size: 64
  - .args:
      - .offset:         0
        .size:           4
        .value_kind:     by_value
      - .offset:         4
        .size:           4
        .value_kind:     by_value
      - .offset:         8
        .size:           16
        .value_kind:     by_value
      - .offset:         24
        .size:           4
        .value_kind:     by_value
      - .actual_access:  read_only
        .address_space:  global
        .offset:         32
        .size:           8
        .value_kind:     global_buffer
      - .actual_access:  read_only
        .address_space:  global
        .offset:         40
        .size:           8
        .value_kind:     global_buffer
      - .actual_access:  read_only
        .address_space:  global
        .offset:         48
        .size:           8
        .value_kind:     global_buffer
      - .actual_access:  read_only
        .address_space:  global
        .offset:         56
        .size:           8
        .value_kind:     global_buffer
      - .actual_access:  read_only
        .address_space:  global
        .offset:         64
        .size:           8
        .value_kind:     global_buffer
      - .actual_access:  read_only
        .address_space:  global
        .offset:         72
        .size:           8
        .value_kind:     global_buffer
      - .offset:         80
        .size:           16
        .value_kind:     by_value
      - .address_space:  global
        .offset:         96
        .size:           8
        .value_kind:     global_buffer
      - .offset:         104
        .size:           4
        .value_kind:     by_value
      - .offset:         108
        .size:           1
        .value_kind:     by_value
    .group_segment_fixed_size: 12544
    .kernarg_segment_align: 8
    .kernarg_segment_size: 112
    .language:       OpenCL C
    .language_version:
      - 2
      - 0
    .max_flat_workgroup_size: 784
    .name:           _ZN9rocsparseL20bsrxmvn_17_32_kernelILj28E21rocsparse_complex_numIdEiiS2_S2_S2_EEvT2_20rocsparse_direction_NS_24const_host_device_scalarIT0_EES3_PKS3_PKT1_SC_S9_PKT3_PKT4_S7_PT5_21rocsparse_index_base_b
    .private_segment_fixed_size: 0
    .sgpr_count:     22
    .sgpr_spill_count: 0
    .symbol:         _ZN9rocsparseL20bsrxmvn_17_32_kernelILj28E21rocsparse_complex_numIdEiiS2_S2_S2_EEvT2_20rocsparse_direction_NS_24const_host_device_scalarIT0_EES3_PKS3_PKT1_SC_S9_PKT3_PKT4_S7_PT5_21rocsparse_index_base_b.kd
    .uniform_work_group_size: 1
    .uses_dynamic_stack: false
    .vgpr_count:     29
    .vgpr_spill_count: 0
    .wavefront_size: 64
  - .args:
      - .offset:         0
        .size:           4
        .value_kind:     by_value
      - .offset:         4
        .size:           4
        .value_kind:     by_value
      - .offset:         8
        .size:           16
        .value_kind:     by_value
      - .offset:         24
        .size:           4
        .value_kind:     by_value
      - .actual_access:  read_only
        .address_space:  global
        .offset:         32
        .size:           8
        .value_kind:     global_buffer
      - .actual_access:  read_only
        .address_space:  global
        .offset:         40
        .size:           8
        .value_kind:     global_buffer
      - .actual_access:  read_only
        .address_space:  global
        .offset:         48
        .size:           8
        .value_kind:     global_buffer
      - .actual_access:  read_only
        .address_space:  global
        .offset:         56
        .size:           8
        .value_kind:     global_buffer
      - .actual_access:  read_only
        .address_space:  global
        .offset:         64
        .size:           8
        .value_kind:     global_buffer
      - .actual_access:  read_only
        .address_space:  global
        .offset:         72
        .size:           8
        .value_kind:     global_buffer
      - .offset:         80
        .size:           16
        .value_kind:     by_value
      - .address_space:  global
        .offset:         96
        .size:           8
        .value_kind:     global_buffer
      - .offset:         104
        .size:           4
        .value_kind:     by_value
      - .offset:         108
        .size:           1
        .value_kind:     by_value
    .group_segment_fixed_size: 13456
    .kernarg_segment_align: 8
    .kernarg_segment_size: 112
    .language:       OpenCL C
    .language_version:
      - 2
      - 0
    .max_flat_workgroup_size: 841
    .name:           _ZN9rocsparseL20bsrxmvn_17_32_kernelILj29E21rocsparse_complex_numIdEiiS2_S2_S2_EEvT2_20rocsparse_direction_NS_24const_host_device_scalarIT0_EES3_PKS3_PKT1_SC_S9_PKT3_PKT4_S7_PT5_21rocsparse_index_base_b
    .private_segment_fixed_size: 0
    .sgpr_count:     22
    .sgpr_spill_count: 0
    .symbol:         _ZN9rocsparseL20bsrxmvn_17_32_kernelILj29E21rocsparse_complex_numIdEiiS2_S2_S2_EEvT2_20rocsparse_direction_NS_24const_host_device_scalarIT0_EES3_PKS3_PKT1_SC_S9_PKT3_PKT4_S7_PT5_21rocsparse_index_base_b.kd
    .uniform_work_group_size: 1
    .uses_dynamic_stack: false
    .vgpr_count:     29
    .vgpr_spill_count: 0
    .wavefront_size: 64
  - .args:
      - .offset:         0
        .size:           4
        .value_kind:     by_value
      - .offset:         4
        .size:           4
        .value_kind:     by_value
      - .offset:         8
        .size:           16
        .value_kind:     by_value
      - .offset:         24
        .size:           4
        .value_kind:     by_value
      - .actual_access:  read_only
        .address_space:  global
        .offset:         32
        .size:           8
        .value_kind:     global_buffer
      - .actual_access:  read_only
        .address_space:  global
        .offset:         40
        .size:           8
        .value_kind:     global_buffer
      - .actual_access:  read_only
        .address_space:  global
        .offset:         48
        .size:           8
        .value_kind:     global_buffer
      - .actual_access:  read_only
        .address_space:  global
        .offset:         56
        .size:           8
        .value_kind:     global_buffer
      - .actual_access:  read_only
        .address_space:  global
        .offset:         64
        .size:           8
        .value_kind:     global_buffer
      - .actual_access:  read_only
        .address_space:  global
        .offset:         72
        .size:           8
        .value_kind:     global_buffer
      - .offset:         80
        .size:           16
        .value_kind:     by_value
      - .address_space:  global
        .offset:         96
        .size:           8
        .value_kind:     global_buffer
      - .offset:         104
        .size:           4
        .value_kind:     by_value
      - .offset:         108
        .size:           1
        .value_kind:     by_value
    .group_segment_fixed_size: 14400
    .kernarg_segment_align: 8
    .kernarg_segment_size: 112
    .language:       OpenCL C
    .language_version:
      - 2
      - 0
    .max_flat_workgroup_size: 900
    .name:           _ZN9rocsparseL20bsrxmvn_17_32_kernelILj30E21rocsparse_complex_numIdEiiS2_S2_S2_EEvT2_20rocsparse_direction_NS_24const_host_device_scalarIT0_EES3_PKS3_PKT1_SC_S9_PKT3_PKT4_S7_PT5_21rocsparse_index_base_b
    .private_segment_fixed_size: 0
    .sgpr_count:     22
    .sgpr_spill_count: 0
    .symbol:         _ZN9rocsparseL20bsrxmvn_17_32_kernelILj30E21rocsparse_complex_numIdEiiS2_S2_S2_EEvT2_20rocsparse_direction_NS_24const_host_device_scalarIT0_EES3_PKS3_PKT1_SC_S9_PKT3_PKT4_S7_PT5_21rocsparse_index_base_b.kd
    .uniform_work_group_size: 1
    .uses_dynamic_stack: false
    .vgpr_count:     29
    .vgpr_spill_count: 0
    .wavefront_size: 64
  - .args:
      - .offset:         0
        .size:           4
        .value_kind:     by_value
      - .offset:         4
        .size:           4
        .value_kind:     by_value
      - .offset:         8
        .size:           16
        .value_kind:     by_value
      - .offset:         24
        .size:           4
        .value_kind:     by_value
      - .actual_access:  read_only
        .address_space:  global
        .offset:         32
        .size:           8
        .value_kind:     global_buffer
      - .actual_access:  read_only
        .address_space:  global
        .offset:         40
        .size:           8
        .value_kind:     global_buffer
      - .actual_access:  read_only
        .address_space:  global
        .offset:         48
        .size:           8
        .value_kind:     global_buffer
      - .actual_access:  read_only
        .address_space:  global
        .offset:         56
        .size:           8
        .value_kind:     global_buffer
      - .actual_access:  read_only
        .address_space:  global
        .offset:         64
        .size:           8
        .value_kind:     global_buffer
      - .actual_access:  read_only
        .address_space:  global
        .offset:         72
        .size:           8
        .value_kind:     global_buffer
      - .offset:         80
        .size:           16
        .value_kind:     by_value
      - .address_space:  global
        .offset:         96
        .size:           8
        .value_kind:     global_buffer
      - .offset:         104
        .size:           4
        .value_kind:     by_value
      - .offset:         108
        .size:           1
        .value_kind:     by_value
    .group_segment_fixed_size: 15376
    .kernarg_segment_align: 8
    .kernarg_segment_size: 112
    .language:       OpenCL C
    .language_version:
      - 2
      - 0
    .max_flat_workgroup_size: 961
    .name:           _ZN9rocsparseL20bsrxmvn_17_32_kernelILj31E21rocsparse_complex_numIdEiiS2_S2_S2_EEvT2_20rocsparse_direction_NS_24const_host_device_scalarIT0_EES3_PKS3_PKT1_SC_S9_PKT3_PKT4_S7_PT5_21rocsparse_index_base_b
    .private_segment_fixed_size: 0
    .sgpr_count:     22
    .sgpr_spill_count: 0
    .symbol:         _ZN9rocsparseL20bsrxmvn_17_32_kernelILj31E21rocsparse_complex_numIdEiiS2_S2_S2_EEvT2_20rocsparse_direction_NS_24const_host_device_scalarIT0_EES3_PKS3_PKT1_SC_S9_PKT3_PKT4_S7_PT5_21rocsparse_index_base_b.kd
    .uniform_work_group_size: 1
    .uses_dynamic_stack: false
    .vgpr_count:     29
    .vgpr_spill_count: 0
    .wavefront_size: 64
  - .args:
      - .offset:         0
        .size:           4
        .value_kind:     by_value
      - .offset:         4
        .size:           4
        .value_kind:     by_value
      - .offset:         8
        .size:           16
        .value_kind:     by_value
      - .offset:         24
        .size:           4
        .value_kind:     by_value
      - .actual_access:  read_only
        .address_space:  global
        .offset:         32
        .size:           8
        .value_kind:     global_buffer
      - .actual_access:  read_only
        .address_space:  global
        .offset:         40
        .size:           8
        .value_kind:     global_buffer
      - .actual_access:  read_only
        .address_space:  global
        .offset:         48
        .size:           8
        .value_kind:     global_buffer
      - .actual_access:  read_only
        .address_space:  global
        .offset:         56
        .size:           8
        .value_kind:     global_buffer
      - .actual_access:  read_only
        .address_space:  global
        .offset:         64
        .size:           8
        .value_kind:     global_buffer
      - .actual_access:  read_only
        .address_space:  global
        .offset:         72
        .size:           8
        .value_kind:     global_buffer
      - .offset:         80
        .size:           16
        .value_kind:     by_value
      - .address_space:  global
        .offset:         96
        .size:           8
        .value_kind:     global_buffer
      - .offset:         104
        .size:           4
        .value_kind:     by_value
      - .offset:         108
        .size:           1
        .value_kind:     by_value
    .group_segment_fixed_size: 16384
    .kernarg_segment_align: 8
    .kernarg_segment_size: 112
    .language:       OpenCL C
    .language_version:
      - 2
      - 0
    .max_flat_workgroup_size: 1024
    .name:           _ZN9rocsparseL20bsrxmvn_17_32_kernelILj32E21rocsparse_complex_numIdEiiS2_S2_S2_EEvT2_20rocsparse_direction_NS_24const_host_device_scalarIT0_EES3_PKS3_PKT1_SC_S9_PKT3_PKT4_S7_PT5_21rocsparse_index_base_b
    .private_segment_fixed_size: 0
    .sgpr_count:     22
    .sgpr_spill_count: 0
    .symbol:         _ZN9rocsparseL20bsrxmvn_17_32_kernelILj32E21rocsparse_complex_numIdEiiS2_S2_S2_EEvT2_20rocsparse_direction_NS_24const_host_device_scalarIT0_EES3_PKS3_PKT1_SC_S9_PKT3_PKT4_S7_PT5_21rocsparse_index_base_b.kd
    .uniform_work_group_size: 1
    .uses_dynamic_stack: false
    .vgpr_count:     27
    .vgpr_spill_count: 0
    .wavefront_size: 64
  - .args:
      - .offset:         0
        .size:           4
        .value_kind:     by_value
      - .offset:         4
        .size:           4
        .value_kind:     by_value
      - .offset:         8
        .size:           8
        .value_kind:     by_value
      - .offset:         16
        .size:           4
        .value_kind:     by_value
      - .actual_access:  read_only
        .address_space:  global
        .offset:         24
        .size:           8
        .value_kind:     global_buffer
      - .actual_access:  read_only
        .address_space:  global
        .offset:         32
        .size:           8
        .value_kind:     global_buffer
      - .actual_access:  read_only
        .address_space:  global
        .offset:         40
        .size:           8
        .value_kind:     global_buffer
      - .actual_access:  read_only
        .address_space:  global
        .offset:         48
        .size:           8
        .value_kind:     global_buffer
      - .actual_access:  read_only
        .address_space:  global
        .offset:         56
        .size:           8
        .value_kind:     global_buffer
      - .actual_access:  read_only
        .address_space:  global
        .offset:         64
        .size:           8
        .value_kind:     global_buffer
      - .offset:         72
        .size:           8
        .value_kind:     by_value
      - .address_space:  global
        .offset:         80
        .size:           8
        .value_kind:     global_buffer
      - .offset:         88
        .size:           4
        .value_kind:     by_value
      - .offset:         92
        .size:           1
        .value_kind:     by_value
    .group_segment_fixed_size: 1156
    .kernarg_segment_align: 8
    .kernarg_segment_size: 96
    .language:       OpenCL C
    .language_version:
      - 2
      - 0
    .max_flat_workgroup_size: 289
    .name:           _ZN9rocsparseL20bsrxmvn_17_32_kernelILj17EflifffEEvT2_20rocsparse_direction_NS_24const_host_device_scalarIT0_EES1_PKS1_PKT1_SA_S7_PKT3_PKT4_S5_PT5_21rocsparse_index_base_b
    .private_segment_fixed_size: 0
    .sgpr_count:     30
    .sgpr_spill_count: 0
    .symbol:         _ZN9rocsparseL20bsrxmvn_17_32_kernelILj17EflifffEEvT2_20rocsparse_direction_NS_24const_host_device_scalarIT0_EES1_PKS1_PKT1_SA_S7_PKT3_PKT4_S5_PT5_21rocsparse_index_base_b.kd
    .uniform_work_group_size: 1
    .uses_dynamic_stack: false
    .vgpr_count:     14
    .vgpr_spill_count: 0
    .wavefront_size: 64
  - .args:
      - .offset:         0
        .size:           4
        .value_kind:     by_value
      - .offset:         4
        .size:           4
        .value_kind:     by_value
      - .offset:         8
        .size:           8
        .value_kind:     by_value
      - .offset:         16
        .size:           4
        .value_kind:     by_value
      - .actual_access:  read_only
        .address_space:  global
        .offset:         24
        .size:           8
        .value_kind:     global_buffer
      - .actual_access:  read_only
        .address_space:  global
        .offset:         32
        .size:           8
        .value_kind:     global_buffer
      - .actual_access:  read_only
        .address_space:  global
        .offset:         40
        .size:           8
        .value_kind:     global_buffer
      - .actual_access:  read_only
        .address_space:  global
        .offset:         48
        .size:           8
        .value_kind:     global_buffer
      - .actual_access:  read_only
        .address_space:  global
        .offset:         56
        .size:           8
        .value_kind:     global_buffer
      - .actual_access:  read_only
        .address_space:  global
        .offset:         64
        .size:           8
        .value_kind:     global_buffer
      - .offset:         72
        .size:           8
        .value_kind:     by_value
      - .address_space:  global
        .offset:         80
        .size:           8
        .value_kind:     global_buffer
      - .offset:         88
        .size:           4
        .value_kind:     by_value
      - .offset:         92
        .size:           1
        .value_kind:     by_value
    .group_segment_fixed_size: 1296
    .kernarg_segment_align: 8
    .kernarg_segment_size: 96
    .language:       OpenCL C
    .language_version:
      - 2
      - 0
    .max_flat_workgroup_size: 324
    .name:           _ZN9rocsparseL20bsrxmvn_17_32_kernelILj18EflifffEEvT2_20rocsparse_direction_NS_24const_host_device_scalarIT0_EES1_PKS1_PKT1_SA_S7_PKT3_PKT4_S5_PT5_21rocsparse_index_base_b
    .private_segment_fixed_size: 0
    .sgpr_count:     30
    .sgpr_spill_count: 0
    .symbol:         _ZN9rocsparseL20bsrxmvn_17_32_kernelILj18EflifffEEvT2_20rocsparse_direction_NS_24const_host_device_scalarIT0_EES1_PKS1_PKT1_SA_S7_PKT3_PKT4_S5_PT5_21rocsparse_index_base_b.kd
    .uniform_work_group_size: 1
    .uses_dynamic_stack: false
    .vgpr_count:     14
    .vgpr_spill_count: 0
    .wavefront_size: 64
  - .args:
      - .offset:         0
        .size:           4
        .value_kind:     by_value
      - .offset:         4
        .size:           4
        .value_kind:     by_value
      - .offset:         8
        .size:           8
        .value_kind:     by_value
      - .offset:         16
        .size:           4
        .value_kind:     by_value
      - .actual_access:  read_only
        .address_space:  global
        .offset:         24
        .size:           8
        .value_kind:     global_buffer
      - .actual_access:  read_only
        .address_space:  global
        .offset:         32
        .size:           8
        .value_kind:     global_buffer
      - .actual_access:  read_only
        .address_space:  global
        .offset:         40
        .size:           8
        .value_kind:     global_buffer
      - .actual_access:  read_only
        .address_space:  global
        .offset:         48
        .size:           8
        .value_kind:     global_buffer
      - .actual_access:  read_only
        .address_space:  global
        .offset:         56
        .size:           8
        .value_kind:     global_buffer
      - .actual_access:  read_only
        .address_space:  global
        .offset:         64
        .size:           8
        .value_kind:     global_buffer
      - .offset:         72
        .size:           8
        .value_kind:     by_value
      - .address_space:  global
        .offset:         80
        .size:           8
        .value_kind:     global_buffer
      - .offset:         88
        .size:           4
        .value_kind:     by_value
      - .offset:         92
        .size:           1
        .value_kind:     by_value
    .group_segment_fixed_size: 1444
    .kernarg_segment_align: 8
    .kernarg_segment_size: 96
    .language:       OpenCL C
    .language_version:
      - 2
      - 0
    .max_flat_workgroup_size: 361
    .name:           _ZN9rocsparseL20bsrxmvn_17_32_kernelILj19EflifffEEvT2_20rocsparse_direction_NS_24const_host_device_scalarIT0_EES1_PKS1_PKT1_SA_S7_PKT3_PKT4_S5_PT5_21rocsparse_index_base_b
    .private_segment_fixed_size: 0
    .sgpr_count:     30
    .sgpr_spill_count: 0
    .symbol:         _ZN9rocsparseL20bsrxmvn_17_32_kernelILj19EflifffEEvT2_20rocsparse_direction_NS_24const_host_device_scalarIT0_EES1_PKS1_PKT1_SA_S7_PKT3_PKT4_S5_PT5_21rocsparse_index_base_b.kd
    .uniform_work_group_size: 1
    .uses_dynamic_stack: false
    .vgpr_count:     14
    .vgpr_spill_count: 0
    .wavefront_size: 64
  - .args:
      - .offset:         0
        .size:           4
        .value_kind:     by_value
      - .offset:         4
        .size:           4
        .value_kind:     by_value
      - .offset:         8
        .size:           8
        .value_kind:     by_value
      - .offset:         16
        .size:           4
        .value_kind:     by_value
      - .actual_access:  read_only
        .address_space:  global
        .offset:         24
        .size:           8
        .value_kind:     global_buffer
      - .actual_access:  read_only
        .address_space:  global
        .offset:         32
        .size:           8
        .value_kind:     global_buffer
      - .actual_access:  read_only
        .address_space:  global
        .offset:         40
        .size:           8
        .value_kind:     global_buffer
      - .actual_access:  read_only
        .address_space:  global
        .offset:         48
        .size:           8
        .value_kind:     global_buffer
      - .actual_access:  read_only
        .address_space:  global
        .offset:         56
        .size:           8
        .value_kind:     global_buffer
      - .actual_access:  read_only
        .address_space:  global
        .offset:         64
        .size:           8
        .value_kind:     global_buffer
      - .offset:         72
        .size:           8
        .value_kind:     by_value
      - .address_space:  global
        .offset:         80
        .size:           8
        .value_kind:     global_buffer
      - .offset:         88
        .size:           4
        .value_kind:     by_value
      - .offset:         92
        .size:           1
        .value_kind:     by_value
    .group_segment_fixed_size: 1600
    .kernarg_segment_align: 8
    .kernarg_segment_size: 96
    .language:       OpenCL C
    .language_version:
      - 2
      - 0
    .max_flat_workgroup_size: 400
    .name:           _ZN9rocsparseL20bsrxmvn_17_32_kernelILj20EflifffEEvT2_20rocsparse_direction_NS_24const_host_device_scalarIT0_EES1_PKS1_PKT1_SA_S7_PKT3_PKT4_S5_PT5_21rocsparse_index_base_b
    .private_segment_fixed_size: 0
    .sgpr_count:     30
    .sgpr_spill_count: 0
    .symbol:         _ZN9rocsparseL20bsrxmvn_17_32_kernelILj20EflifffEEvT2_20rocsparse_direction_NS_24const_host_device_scalarIT0_EES1_PKS1_PKT1_SA_S7_PKT3_PKT4_S5_PT5_21rocsparse_index_base_b.kd
    .uniform_work_group_size: 1
    .uses_dynamic_stack: false
    .vgpr_count:     14
    .vgpr_spill_count: 0
    .wavefront_size: 64
  - .args:
      - .offset:         0
        .size:           4
        .value_kind:     by_value
      - .offset:         4
        .size:           4
        .value_kind:     by_value
      - .offset:         8
        .size:           8
        .value_kind:     by_value
      - .offset:         16
        .size:           4
        .value_kind:     by_value
      - .actual_access:  read_only
        .address_space:  global
        .offset:         24
        .size:           8
        .value_kind:     global_buffer
      - .actual_access:  read_only
        .address_space:  global
        .offset:         32
        .size:           8
        .value_kind:     global_buffer
      - .actual_access:  read_only
        .address_space:  global
        .offset:         40
        .size:           8
        .value_kind:     global_buffer
      - .actual_access:  read_only
        .address_space:  global
        .offset:         48
        .size:           8
        .value_kind:     global_buffer
      - .actual_access:  read_only
        .address_space:  global
        .offset:         56
        .size:           8
        .value_kind:     global_buffer
      - .actual_access:  read_only
        .address_space:  global
        .offset:         64
        .size:           8
        .value_kind:     global_buffer
      - .offset:         72
        .size:           8
        .value_kind:     by_value
      - .address_space:  global
        .offset:         80
        .size:           8
        .value_kind:     global_buffer
      - .offset:         88
        .size:           4
        .value_kind:     by_value
      - .offset:         92
        .size:           1
        .value_kind:     by_value
    .group_segment_fixed_size: 1764
    .kernarg_segment_align: 8
    .kernarg_segment_size: 96
    .language:       OpenCL C
    .language_version:
      - 2
      - 0
    .max_flat_workgroup_size: 441
    .name:           _ZN9rocsparseL20bsrxmvn_17_32_kernelILj21EflifffEEvT2_20rocsparse_direction_NS_24const_host_device_scalarIT0_EES1_PKS1_PKT1_SA_S7_PKT3_PKT4_S5_PT5_21rocsparse_index_base_b
    .private_segment_fixed_size: 0
    .sgpr_count:     30
    .sgpr_spill_count: 0
    .symbol:         _ZN9rocsparseL20bsrxmvn_17_32_kernelILj21EflifffEEvT2_20rocsparse_direction_NS_24const_host_device_scalarIT0_EES1_PKS1_PKT1_SA_S7_PKT3_PKT4_S5_PT5_21rocsparse_index_base_b.kd
    .uniform_work_group_size: 1
    .uses_dynamic_stack: false
    .vgpr_count:     14
    .vgpr_spill_count: 0
    .wavefront_size: 64
  - .args:
      - .offset:         0
        .size:           4
        .value_kind:     by_value
      - .offset:         4
        .size:           4
        .value_kind:     by_value
      - .offset:         8
        .size:           8
        .value_kind:     by_value
      - .offset:         16
        .size:           4
        .value_kind:     by_value
      - .actual_access:  read_only
        .address_space:  global
        .offset:         24
        .size:           8
        .value_kind:     global_buffer
      - .actual_access:  read_only
        .address_space:  global
        .offset:         32
        .size:           8
        .value_kind:     global_buffer
      - .actual_access:  read_only
        .address_space:  global
        .offset:         40
        .size:           8
        .value_kind:     global_buffer
      - .actual_access:  read_only
        .address_space:  global
        .offset:         48
        .size:           8
        .value_kind:     global_buffer
      - .actual_access:  read_only
        .address_space:  global
        .offset:         56
        .size:           8
        .value_kind:     global_buffer
      - .actual_access:  read_only
        .address_space:  global
        .offset:         64
        .size:           8
        .value_kind:     global_buffer
      - .offset:         72
        .size:           8
        .value_kind:     by_value
      - .address_space:  global
        .offset:         80
        .size:           8
        .value_kind:     global_buffer
      - .offset:         88
        .size:           4
        .value_kind:     by_value
      - .offset:         92
        .size:           1
        .value_kind:     by_value
    .group_segment_fixed_size: 1936
    .kernarg_segment_align: 8
    .kernarg_segment_size: 96
    .language:       OpenCL C
    .language_version:
      - 2
      - 0
    .max_flat_workgroup_size: 484
    .name:           _ZN9rocsparseL20bsrxmvn_17_32_kernelILj22EflifffEEvT2_20rocsparse_direction_NS_24const_host_device_scalarIT0_EES1_PKS1_PKT1_SA_S7_PKT3_PKT4_S5_PT5_21rocsparse_index_base_b
    .private_segment_fixed_size: 0
    .sgpr_count:     30
    .sgpr_spill_count: 0
    .symbol:         _ZN9rocsparseL20bsrxmvn_17_32_kernelILj22EflifffEEvT2_20rocsparse_direction_NS_24const_host_device_scalarIT0_EES1_PKS1_PKT1_SA_S7_PKT3_PKT4_S5_PT5_21rocsparse_index_base_b.kd
    .uniform_work_group_size: 1
    .uses_dynamic_stack: false
    .vgpr_count:     14
    .vgpr_spill_count: 0
    .wavefront_size: 64
  - .args:
      - .offset:         0
        .size:           4
        .value_kind:     by_value
      - .offset:         4
        .size:           4
        .value_kind:     by_value
      - .offset:         8
        .size:           8
        .value_kind:     by_value
      - .offset:         16
        .size:           4
        .value_kind:     by_value
      - .actual_access:  read_only
        .address_space:  global
        .offset:         24
        .size:           8
        .value_kind:     global_buffer
      - .actual_access:  read_only
        .address_space:  global
        .offset:         32
        .size:           8
        .value_kind:     global_buffer
      - .actual_access:  read_only
        .address_space:  global
        .offset:         40
        .size:           8
        .value_kind:     global_buffer
      - .actual_access:  read_only
        .address_space:  global
        .offset:         48
        .size:           8
        .value_kind:     global_buffer
      - .actual_access:  read_only
        .address_space:  global
        .offset:         56
        .size:           8
        .value_kind:     global_buffer
      - .actual_access:  read_only
        .address_space:  global
        .offset:         64
        .size:           8
        .value_kind:     global_buffer
      - .offset:         72
        .size:           8
        .value_kind:     by_value
      - .address_space:  global
        .offset:         80
        .size:           8
        .value_kind:     global_buffer
      - .offset:         88
        .size:           4
        .value_kind:     by_value
      - .offset:         92
        .size:           1
        .value_kind:     by_value
    .group_segment_fixed_size: 2116
    .kernarg_segment_align: 8
    .kernarg_segment_size: 96
    .language:       OpenCL C
    .language_version:
      - 2
      - 0
    .max_flat_workgroup_size: 529
    .name:           _ZN9rocsparseL20bsrxmvn_17_32_kernelILj23EflifffEEvT2_20rocsparse_direction_NS_24const_host_device_scalarIT0_EES1_PKS1_PKT1_SA_S7_PKT3_PKT4_S5_PT5_21rocsparse_index_base_b
    .private_segment_fixed_size: 0
    .sgpr_count:     30
    .sgpr_spill_count: 0
    .symbol:         _ZN9rocsparseL20bsrxmvn_17_32_kernelILj23EflifffEEvT2_20rocsparse_direction_NS_24const_host_device_scalarIT0_EES1_PKS1_PKT1_SA_S7_PKT3_PKT4_S5_PT5_21rocsparse_index_base_b.kd
    .uniform_work_group_size: 1
    .uses_dynamic_stack: false
    .vgpr_count:     14
    .vgpr_spill_count: 0
    .wavefront_size: 64
  - .args:
      - .offset:         0
        .size:           4
        .value_kind:     by_value
      - .offset:         4
        .size:           4
        .value_kind:     by_value
      - .offset:         8
        .size:           8
        .value_kind:     by_value
      - .offset:         16
        .size:           4
        .value_kind:     by_value
      - .actual_access:  read_only
        .address_space:  global
        .offset:         24
        .size:           8
        .value_kind:     global_buffer
      - .actual_access:  read_only
        .address_space:  global
        .offset:         32
        .size:           8
        .value_kind:     global_buffer
      - .actual_access:  read_only
        .address_space:  global
        .offset:         40
        .size:           8
        .value_kind:     global_buffer
      - .actual_access:  read_only
        .address_space:  global
        .offset:         48
        .size:           8
        .value_kind:     global_buffer
      - .actual_access:  read_only
        .address_space:  global
        .offset:         56
        .size:           8
        .value_kind:     global_buffer
      - .actual_access:  read_only
        .address_space:  global
        .offset:         64
        .size:           8
        .value_kind:     global_buffer
      - .offset:         72
        .size:           8
        .value_kind:     by_value
      - .address_space:  global
        .offset:         80
        .size:           8
        .value_kind:     global_buffer
      - .offset:         88
        .size:           4
        .value_kind:     by_value
      - .offset:         92
        .size:           1
        .value_kind:     by_value
    .group_segment_fixed_size: 2304
    .kernarg_segment_align: 8
    .kernarg_segment_size: 96
    .language:       OpenCL C
    .language_version:
      - 2
      - 0
    .max_flat_workgroup_size: 576
    .name:           _ZN9rocsparseL20bsrxmvn_17_32_kernelILj24EflifffEEvT2_20rocsparse_direction_NS_24const_host_device_scalarIT0_EES1_PKS1_PKT1_SA_S7_PKT3_PKT4_S5_PT5_21rocsparse_index_base_b
    .private_segment_fixed_size: 0
    .sgpr_count:     30
    .sgpr_spill_count: 0
    .symbol:         _ZN9rocsparseL20bsrxmvn_17_32_kernelILj24EflifffEEvT2_20rocsparse_direction_NS_24const_host_device_scalarIT0_EES1_PKS1_PKT1_SA_S7_PKT3_PKT4_S5_PT5_21rocsparse_index_base_b.kd
    .uniform_work_group_size: 1
    .uses_dynamic_stack: false
    .vgpr_count:     14
    .vgpr_spill_count: 0
    .wavefront_size: 64
  - .args:
      - .offset:         0
        .size:           4
        .value_kind:     by_value
      - .offset:         4
        .size:           4
        .value_kind:     by_value
      - .offset:         8
        .size:           8
        .value_kind:     by_value
      - .offset:         16
        .size:           4
        .value_kind:     by_value
      - .actual_access:  read_only
        .address_space:  global
        .offset:         24
        .size:           8
        .value_kind:     global_buffer
      - .actual_access:  read_only
        .address_space:  global
        .offset:         32
        .size:           8
        .value_kind:     global_buffer
      - .actual_access:  read_only
        .address_space:  global
        .offset:         40
        .size:           8
        .value_kind:     global_buffer
      - .actual_access:  read_only
        .address_space:  global
        .offset:         48
        .size:           8
        .value_kind:     global_buffer
      - .actual_access:  read_only
        .address_space:  global
        .offset:         56
        .size:           8
        .value_kind:     global_buffer
      - .actual_access:  read_only
        .address_space:  global
        .offset:         64
        .size:           8
        .value_kind:     global_buffer
      - .offset:         72
        .size:           8
        .value_kind:     by_value
      - .address_space:  global
        .offset:         80
        .size:           8
        .value_kind:     global_buffer
      - .offset:         88
        .size:           4
        .value_kind:     by_value
      - .offset:         92
        .size:           1
        .value_kind:     by_value
    .group_segment_fixed_size: 2500
    .kernarg_segment_align: 8
    .kernarg_segment_size: 96
    .language:       OpenCL C
    .language_version:
      - 2
      - 0
    .max_flat_workgroup_size: 625
    .name:           _ZN9rocsparseL20bsrxmvn_17_32_kernelILj25EflifffEEvT2_20rocsparse_direction_NS_24const_host_device_scalarIT0_EES1_PKS1_PKT1_SA_S7_PKT3_PKT4_S5_PT5_21rocsparse_index_base_b
    .private_segment_fixed_size: 0
    .sgpr_count:     30
    .sgpr_spill_count: 0
    .symbol:         _ZN9rocsparseL20bsrxmvn_17_32_kernelILj25EflifffEEvT2_20rocsparse_direction_NS_24const_host_device_scalarIT0_EES1_PKS1_PKT1_SA_S7_PKT3_PKT4_S5_PT5_21rocsparse_index_base_b.kd
    .uniform_work_group_size: 1
    .uses_dynamic_stack: false
    .vgpr_count:     16
    .vgpr_spill_count: 0
    .wavefront_size: 64
  - .args:
      - .offset:         0
        .size:           4
        .value_kind:     by_value
      - .offset:         4
        .size:           4
        .value_kind:     by_value
      - .offset:         8
        .size:           8
        .value_kind:     by_value
      - .offset:         16
        .size:           4
        .value_kind:     by_value
      - .actual_access:  read_only
        .address_space:  global
        .offset:         24
        .size:           8
        .value_kind:     global_buffer
      - .actual_access:  read_only
        .address_space:  global
        .offset:         32
        .size:           8
        .value_kind:     global_buffer
      - .actual_access:  read_only
        .address_space:  global
        .offset:         40
        .size:           8
        .value_kind:     global_buffer
      - .actual_access:  read_only
        .address_space:  global
        .offset:         48
        .size:           8
        .value_kind:     global_buffer
      - .actual_access:  read_only
        .address_space:  global
        .offset:         56
        .size:           8
        .value_kind:     global_buffer
      - .actual_access:  read_only
        .address_space:  global
        .offset:         64
        .size:           8
        .value_kind:     global_buffer
      - .offset:         72
        .size:           8
        .value_kind:     by_value
      - .address_space:  global
        .offset:         80
        .size:           8
        .value_kind:     global_buffer
      - .offset:         88
        .size:           4
        .value_kind:     by_value
      - .offset:         92
        .size:           1
        .value_kind:     by_value
    .group_segment_fixed_size: 2704
    .kernarg_segment_align: 8
    .kernarg_segment_size: 96
    .language:       OpenCL C
    .language_version:
      - 2
      - 0
    .max_flat_workgroup_size: 676
    .name:           _ZN9rocsparseL20bsrxmvn_17_32_kernelILj26EflifffEEvT2_20rocsparse_direction_NS_24const_host_device_scalarIT0_EES1_PKS1_PKT1_SA_S7_PKT3_PKT4_S5_PT5_21rocsparse_index_base_b
    .private_segment_fixed_size: 0
    .sgpr_count:     30
    .sgpr_spill_count: 0
    .symbol:         _ZN9rocsparseL20bsrxmvn_17_32_kernelILj26EflifffEEvT2_20rocsparse_direction_NS_24const_host_device_scalarIT0_EES1_PKS1_PKT1_SA_S7_PKT3_PKT4_S5_PT5_21rocsparse_index_base_b.kd
    .uniform_work_group_size: 1
    .uses_dynamic_stack: false
    .vgpr_count:     16
    .vgpr_spill_count: 0
    .wavefront_size: 64
  - .args:
      - .offset:         0
        .size:           4
        .value_kind:     by_value
      - .offset:         4
        .size:           4
        .value_kind:     by_value
      - .offset:         8
        .size:           8
        .value_kind:     by_value
      - .offset:         16
        .size:           4
        .value_kind:     by_value
      - .actual_access:  read_only
        .address_space:  global
        .offset:         24
        .size:           8
        .value_kind:     global_buffer
      - .actual_access:  read_only
        .address_space:  global
        .offset:         32
        .size:           8
        .value_kind:     global_buffer
      - .actual_access:  read_only
        .address_space:  global
        .offset:         40
        .size:           8
        .value_kind:     global_buffer
      - .actual_access:  read_only
        .address_space:  global
        .offset:         48
        .size:           8
        .value_kind:     global_buffer
      - .actual_access:  read_only
        .address_space:  global
        .offset:         56
        .size:           8
        .value_kind:     global_buffer
      - .actual_access:  read_only
        .address_space:  global
        .offset:         64
        .size:           8
        .value_kind:     global_buffer
      - .offset:         72
        .size:           8
        .value_kind:     by_value
      - .address_space:  global
        .offset:         80
        .size:           8
        .value_kind:     global_buffer
      - .offset:         88
        .size:           4
        .value_kind:     by_value
      - .offset:         92
        .size:           1
        .value_kind:     by_value
    .group_segment_fixed_size: 2916
    .kernarg_segment_align: 8
    .kernarg_segment_size: 96
    .language:       OpenCL C
    .language_version:
      - 2
      - 0
    .max_flat_workgroup_size: 729
    .name:           _ZN9rocsparseL20bsrxmvn_17_32_kernelILj27EflifffEEvT2_20rocsparse_direction_NS_24const_host_device_scalarIT0_EES1_PKS1_PKT1_SA_S7_PKT3_PKT4_S5_PT5_21rocsparse_index_base_b
    .private_segment_fixed_size: 0
    .sgpr_count:     30
    .sgpr_spill_count: 0
    .symbol:         _ZN9rocsparseL20bsrxmvn_17_32_kernelILj27EflifffEEvT2_20rocsparse_direction_NS_24const_host_device_scalarIT0_EES1_PKS1_PKT1_SA_S7_PKT3_PKT4_S5_PT5_21rocsparse_index_base_b.kd
    .uniform_work_group_size: 1
    .uses_dynamic_stack: false
    .vgpr_count:     16
    .vgpr_spill_count: 0
    .wavefront_size: 64
  - .args:
      - .offset:         0
        .size:           4
        .value_kind:     by_value
      - .offset:         4
        .size:           4
        .value_kind:     by_value
      - .offset:         8
        .size:           8
        .value_kind:     by_value
      - .offset:         16
        .size:           4
        .value_kind:     by_value
      - .actual_access:  read_only
        .address_space:  global
        .offset:         24
        .size:           8
        .value_kind:     global_buffer
      - .actual_access:  read_only
        .address_space:  global
        .offset:         32
        .size:           8
        .value_kind:     global_buffer
      - .actual_access:  read_only
        .address_space:  global
        .offset:         40
        .size:           8
        .value_kind:     global_buffer
      - .actual_access:  read_only
        .address_space:  global
        .offset:         48
        .size:           8
        .value_kind:     global_buffer
      - .actual_access:  read_only
        .address_space:  global
        .offset:         56
        .size:           8
        .value_kind:     global_buffer
      - .actual_access:  read_only
        .address_space:  global
        .offset:         64
        .size:           8
        .value_kind:     global_buffer
      - .offset:         72
        .size:           8
        .value_kind:     by_value
      - .address_space:  global
        .offset:         80
        .size:           8
        .value_kind:     global_buffer
      - .offset:         88
        .size:           4
        .value_kind:     by_value
      - .offset:         92
        .size:           1
        .value_kind:     by_value
    .group_segment_fixed_size: 3136
    .kernarg_segment_align: 8
    .kernarg_segment_size: 96
    .language:       OpenCL C
    .language_version:
      - 2
      - 0
    .max_flat_workgroup_size: 784
    .name:           _ZN9rocsparseL20bsrxmvn_17_32_kernelILj28EflifffEEvT2_20rocsparse_direction_NS_24const_host_device_scalarIT0_EES1_PKS1_PKT1_SA_S7_PKT3_PKT4_S5_PT5_21rocsparse_index_base_b
    .private_segment_fixed_size: 0
    .sgpr_count:     30
    .sgpr_spill_count: 0
    .symbol:         _ZN9rocsparseL20bsrxmvn_17_32_kernelILj28EflifffEEvT2_20rocsparse_direction_NS_24const_host_device_scalarIT0_EES1_PKS1_PKT1_SA_S7_PKT3_PKT4_S5_PT5_21rocsparse_index_base_b.kd
    .uniform_work_group_size: 1
    .uses_dynamic_stack: false
    .vgpr_count:     16
    .vgpr_spill_count: 0
    .wavefront_size: 64
  - .args:
      - .offset:         0
        .size:           4
        .value_kind:     by_value
      - .offset:         4
        .size:           4
        .value_kind:     by_value
      - .offset:         8
        .size:           8
        .value_kind:     by_value
      - .offset:         16
        .size:           4
        .value_kind:     by_value
      - .actual_access:  read_only
        .address_space:  global
        .offset:         24
        .size:           8
        .value_kind:     global_buffer
      - .actual_access:  read_only
        .address_space:  global
        .offset:         32
        .size:           8
        .value_kind:     global_buffer
      - .actual_access:  read_only
        .address_space:  global
        .offset:         40
        .size:           8
        .value_kind:     global_buffer
      - .actual_access:  read_only
        .address_space:  global
        .offset:         48
        .size:           8
        .value_kind:     global_buffer
      - .actual_access:  read_only
        .address_space:  global
        .offset:         56
        .size:           8
        .value_kind:     global_buffer
      - .actual_access:  read_only
        .address_space:  global
        .offset:         64
        .size:           8
        .value_kind:     global_buffer
      - .offset:         72
        .size:           8
        .value_kind:     by_value
      - .address_space:  global
        .offset:         80
        .size:           8
        .value_kind:     global_buffer
      - .offset:         88
        .size:           4
        .value_kind:     by_value
      - .offset:         92
        .size:           1
        .value_kind:     by_value
    .group_segment_fixed_size: 3364
    .kernarg_segment_align: 8
    .kernarg_segment_size: 96
    .language:       OpenCL C
    .language_version:
      - 2
      - 0
    .max_flat_workgroup_size: 841
    .name:           _ZN9rocsparseL20bsrxmvn_17_32_kernelILj29EflifffEEvT2_20rocsparse_direction_NS_24const_host_device_scalarIT0_EES1_PKS1_PKT1_SA_S7_PKT3_PKT4_S5_PT5_21rocsparse_index_base_b
    .private_segment_fixed_size: 0
    .sgpr_count:     30
    .sgpr_spill_count: 0
    .symbol:         _ZN9rocsparseL20bsrxmvn_17_32_kernelILj29EflifffEEvT2_20rocsparse_direction_NS_24const_host_device_scalarIT0_EES1_PKS1_PKT1_SA_S7_PKT3_PKT4_S5_PT5_21rocsparse_index_base_b.kd
    .uniform_work_group_size: 1
    .uses_dynamic_stack: false
    .vgpr_count:     16
    .vgpr_spill_count: 0
    .wavefront_size: 64
  - .args:
      - .offset:         0
        .size:           4
        .value_kind:     by_value
      - .offset:         4
        .size:           4
        .value_kind:     by_value
      - .offset:         8
        .size:           8
        .value_kind:     by_value
      - .offset:         16
        .size:           4
        .value_kind:     by_value
      - .actual_access:  read_only
        .address_space:  global
        .offset:         24
        .size:           8
        .value_kind:     global_buffer
      - .actual_access:  read_only
        .address_space:  global
        .offset:         32
        .size:           8
        .value_kind:     global_buffer
      - .actual_access:  read_only
        .address_space:  global
        .offset:         40
        .size:           8
        .value_kind:     global_buffer
      - .actual_access:  read_only
        .address_space:  global
        .offset:         48
        .size:           8
        .value_kind:     global_buffer
      - .actual_access:  read_only
        .address_space:  global
        .offset:         56
        .size:           8
        .value_kind:     global_buffer
      - .actual_access:  read_only
        .address_space:  global
        .offset:         64
        .size:           8
        .value_kind:     global_buffer
      - .offset:         72
        .size:           8
        .value_kind:     by_value
      - .address_space:  global
        .offset:         80
        .size:           8
        .value_kind:     global_buffer
      - .offset:         88
        .size:           4
        .value_kind:     by_value
      - .offset:         92
        .size:           1
        .value_kind:     by_value
    .group_segment_fixed_size: 3600
    .kernarg_segment_align: 8
    .kernarg_segment_size: 96
    .language:       OpenCL C
    .language_version:
      - 2
      - 0
    .max_flat_workgroup_size: 900
    .name:           _ZN9rocsparseL20bsrxmvn_17_32_kernelILj30EflifffEEvT2_20rocsparse_direction_NS_24const_host_device_scalarIT0_EES1_PKS1_PKT1_SA_S7_PKT3_PKT4_S5_PT5_21rocsparse_index_base_b
    .private_segment_fixed_size: 0
    .sgpr_count:     30
    .sgpr_spill_count: 0
    .symbol:         _ZN9rocsparseL20bsrxmvn_17_32_kernelILj30EflifffEEvT2_20rocsparse_direction_NS_24const_host_device_scalarIT0_EES1_PKS1_PKT1_SA_S7_PKT3_PKT4_S5_PT5_21rocsparse_index_base_b.kd
    .uniform_work_group_size: 1
    .uses_dynamic_stack: false
    .vgpr_count:     16
    .vgpr_spill_count: 0
    .wavefront_size: 64
  - .args:
      - .offset:         0
        .size:           4
        .value_kind:     by_value
      - .offset:         4
        .size:           4
        .value_kind:     by_value
      - .offset:         8
        .size:           8
        .value_kind:     by_value
      - .offset:         16
        .size:           4
        .value_kind:     by_value
      - .actual_access:  read_only
        .address_space:  global
        .offset:         24
        .size:           8
        .value_kind:     global_buffer
      - .actual_access:  read_only
        .address_space:  global
        .offset:         32
        .size:           8
        .value_kind:     global_buffer
      - .actual_access:  read_only
        .address_space:  global
        .offset:         40
        .size:           8
        .value_kind:     global_buffer
      - .actual_access:  read_only
        .address_space:  global
        .offset:         48
        .size:           8
        .value_kind:     global_buffer
      - .actual_access:  read_only
        .address_space:  global
        .offset:         56
        .size:           8
        .value_kind:     global_buffer
      - .actual_access:  read_only
        .address_space:  global
        .offset:         64
        .size:           8
        .value_kind:     global_buffer
      - .offset:         72
        .size:           8
        .value_kind:     by_value
      - .address_space:  global
        .offset:         80
        .size:           8
        .value_kind:     global_buffer
      - .offset:         88
        .size:           4
        .value_kind:     by_value
      - .offset:         92
        .size:           1
        .value_kind:     by_value
    .group_segment_fixed_size: 3844
    .kernarg_segment_align: 8
    .kernarg_segment_size: 96
    .language:       OpenCL C
    .language_version:
      - 2
      - 0
    .max_flat_workgroup_size: 961
    .name:           _ZN9rocsparseL20bsrxmvn_17_32_kernelILj31EflifffEEvT2_20rocsparse_direction_NS_24const_host_device_scalarIT0_EES1_PKS1_PKT1_SA_S7_PKT3_PKT4_S5_PT5_21rocsparse_index_base_b
    .private_segment_fixed_size: 0
    .sgpr_count:     30
    .sgpr_spill_count: 0
    .symbol:         _ZN9rocsparseL20bsrxmvn_17_32_kernelILj31EflifffEEvT2_20rocsparse_direction_NS_24const_host_device_scalarIT0_EES1_PKS1_PKT1_SA_S7_PKT3_PKT4_S5_PT5_21rocsparse_index_base_b.kd
    .uniform_work_group_size: 1
    .uses_dynamic_stack: false
    .vgpr_count:     16
    .vgpr_spill_count: 0
    .wavefront_size: 64
  - .args:
      - .offset:         0
        .size:           4
        .value_kind:     by_value
      - .offset:         4
        .size:           4
        .value_kind:     by_value
      - .offset:         8
        .size:           8
        .value_kind:     by_value
      - .offset:         16
        .size:           4
        .value_kind:     by_value
      - .actual_access:  read_only
        .address_space:  global
        .offset:         24
        .size:           8
        .value_kind:     global_buffer
      - .actual_access:  read_only
        .address_space:  global
        .offset:         32
        .size:           8
        .value_kind:     global_buffer
      - .actual_access:  read_only
        .address_space:  global
        .offset:         40
        .size:           8
        .value_kind:     global_buffer
      - .actual_access:  read_only
        .address_space:  global
        .offset:         48
        .size:           8
        .value_kind:     global_buffer
      - .actual_access:  read_only
        .address_space:  global
        .offset:         56
        .size:           8
        .value_kind:     global_buffer
      - .actual_access:  read_only
        .address_space:  global
        .offset:         64
        .size:           8
        .value_kind:     global_buffer
      - .offset:         72
        .size:           8
        .value_kind:     by_value
      - .address_space:  global
        .offset:         80
        .size:           8
        .value_kind:     global_buffer
      - .offset:         88
        .size:           4
        .value_kind:     by_value
      - .offset:         92
        .size:           1
        .value_kind:     by_value
    .group_segment_fixed_size: 4096
    .kernarg_segment_align: 8
    .kernarg_segment_size: 96
    .language:       OpenCL C
    .language_version:
      - 2
      - 0
    .max_flat_workgroup_size: 1024
    .name:           _ZN9rocsparseL20bsrxmvn_17_32_kernelILj32EflifffEEvT2_20rocsparse_direction_NS_24const_host_device_scalarIT0_EES1_PKS1_PKT1_SA_S7_PKT3_PKT4_S5_PT5_21rocsparse_index_base_b
    .private_segment_fixed_size: 0
    .sgpr_count:     32
    .sgpr_spill_count: 0
    .symbol:         _ZN9rocsparseL20bsrxmvn_17_32_kernelILj32EflifffEEvT2_20rocsparse_direction_NS_24const_host_device_scalarIT0_EES1_PKS1_PKT1_SA_S7_PKT3_PKT4_S5_PT5_21rocsparse_index_base_b.kd
    .uniform_work_group_size: 1
    .uses_dynamic_stack: false
    .vgpr_count:     13
    .vgpr_spill_count: 0
    .wavefront_size: 64
  - .args:
      - .offset:         0
        .size:           4
        .value_kind:     by_value
      - .offset:         4
        .size:           4
        .value_kind:     by_value
      - .offset:         8
        .size:           8
        .value_kind:     by_value
      - .offset:         16
        .size:           4
        .value_kind:     by_value
      - .actual_access:  read_only
        .address_space:  global
        .offset:         24
        .size:           8
        .value_kind:     global_buffer
      - .actual_access:  read_only
        .address_space:  global
        .offset:         32
        .size:           8
        .value_kind:     global_buffer
      - .actual_access:  read_only
        .address_space:  global
        .offset:         40
        .size:           8
        .value_kind:     global_buffer
      - .actual_access:  read_only
        .address_space:  global
        .offset:         48
        .size:           8
        .value_kind:     global_buffer
      - .actual_access:  read_only
        .address_space:  global
        .offset:         56
        .size:           8
        .value_kind:     global_buffer
      - .actual_access:  read_only
        .address_space:  global
        .offset:         64
        .size:           8
        .value_kind:     global_buffer
      - .offset:         72
        .size:           8
        .value_kind:     by_value
      - .address_space:  global
        .offset:         80
        .size:           8
        .value_kind:     global_buffer
      - .offset:         88
        .size:           4
        .value_kind:     by_value
      - .offset:         92
        .size:           1
        .value_kind:     by_value
    .group_segment_fixed_size: 2312
    .kernarg_segment_align: 8
    .kernarg_segment_size: 96
    .language:       OpenCL C
    .language_version:
      - 2
      - 0
    .max_flat_workgroup_size: 289
    .name:           _ZN9rocsparseL20bsrxmvn_17_32_kernelILj17EdlidddEEvT2_20rocsparse_direction_NS_24const_host_device_scalarIT0_EES1_PKS1_PKT1_SA_S7_PKT3_PKT4_S5_PT5_21rocsparse_index_base_b
    .private_segment_fixed_size: 0
    .sgpr_count:     26
    .sgpr_spill_count: 0
    .symbol:         _ZN9rocsparseL20bsrxmvn_17_32_kernelILj17EdlidddEEvT2_20rocsparse_direction_NS_24const_host_device_scalarIT0_EES1_PKS1_PKT1_SA_S7_PKT3_PKT4_S5_PT5_21rocsparse_index_base_b.kd
    .uniform_work_group_size: 1
    .uses_dynamic_stack: false
    .vgpr_count:     20
    .vgpr_spill_count: 0
    .wavefront_size: 64
  - .args:
      - .offset:         0
        .size:           4
        .value_kind:     by_value
      - .offset:         4
        .size:           4
        .value_kind:     by_value
      - .offset:         8
        .size:           8
        .value_kind:     by_value
      - .offset:         16
        .size:           4
        .value_kind:     by_value
      - .actual_access:  read_only
        .address_space:  global
        .offset:         24
        .size:           8
        .value_kind:     global_buffer
      - .actual_access:  read_only
        .address_space:  global
        .offset:         32
        .size:           8
        .value_kind:     global_buffer
      - .actual_access:  read_only
        .address_space:  global
        .offset:         40
        .size:           8
        .value_kind:     global_buffer
      - .actual_access:  read_only
        .address_space:  global
        .offset:         48
        .size:           8
        .value_kind:     global_buffer
      - .actual_access:  read_only
        .address_space:  global
        .offset:         56
        .size:           8
        .value_kind:     global_buffer
      - .actual_access:  read_only
        .address_space:  global
        .offset:         64
        .size:           8
        .value_kind:     global_buffer
      - .offset:         72
        .size:           8
        .value_kind:     by_value
      - .address_space:  global
        .offset:         80
        .size:           8
        .value_kind:     global_buffer
      - .offset:         88
        .size:           4
        .value_kind:     by_value
      - .offset:         92
        .size:           1
        .value_kind:     by_value
    .group_segment_fixed_size: 2592
    .kernarg_segment_align: 8
    .kernarg_segment_size: 96
    .language:       OpenCL C
    .language_version:
      - 2
      - 0
    .max_flat_workgroup_size: 324
    .name:           _ZN9rocsparseL20bsrxmvn_17_32_kernelILj18EdlidddEEvT2_20rocsparse_direction_NS_24const_host_device_scalarIT0_EES1_PKS1_PKT1_SA_S7_PKT3_PKT4_S5_PT5_21rocsparse_index_base_b
    .private_segment_fixed_size: 0
    .sgpr_count:     26
    .sgpr_spill_count: 0
    .symbol:         _ZN9rocsparseL20bsrxmvn_17_32_kernelILj18EdlidddEEvT2_20rocsparse_direction_NS_24const_host_device_scalarIT0_EES1_PKS1_PKT1_SA_S7_PKT3_PKT4_S5_PT5_21rocsparse_index_base_b.kd
    .uniform_work_group_size: 1
    .uses_dynamic_stack: false
    .vgpr_count:     20
    .vgpr_spill_count: 0
    .wavefront_size: 64
  - .args:
      - .offset:         0
        .size:           4
        .value_kind:     by_value
      - .offset:         4
        .size:           4
        .value_kind:     by_value
      - .offset:         8
        .size:           8
        .value_kind:     by_value
      - .offset:         16
        .size:           4
        .value_kind:     by_value
      - .actual_access:  read_only
        .address_space:  global
        .offset:         24
        .size:           8
        .value_kind:     global_buffer
      - .actual_access:  read_only
        .address_space:  global
        .offset:         32
        .size:           8
        .value_kind:     global_buffer
      - .actual_access:  read_only
        .address_space:  global
        .offset:         40
        .size:           8
        .value_kind:     global_buffer
      - .actual_access:  read_only
        .address_space:  global
        .offset:         48
        .size:           8
        .value_kind:     global_buffer
      - .actual_access:  read_only
        .address_space:  global
        .offset:         56
        .size:           8
        .value_kind:     global_buffer
      - .actual_access:  read_only
        .address_space:  global
        .offset:         64
        .size:           8
        .value_kind:     global_buffer
      - .offset:         72
        .size:           8
        .value_kind:     by_value
      - .address_space:  global
        .offset:         80
        .size:           8
        .value_kind:     global_buffer
      - .offset:         88
        .size:           4
        .value_kind:     by_value
      - .offset:         92
        .size:           1
        .value_kind:     by_value
    .group_segment_fixed_size: 2888
    .kernarg_segment_align: 8
    .kernarg_segment_size: 96
    .language:       OpenCL C
    .language_version:
      - 2
      - 0
    .max_flat_workgroup_size: 361
    .name:           _ZN9rocsparseL20bsrxmvn_17_32_kernelILj19EdlidddEEvT2_20rocsparse_direction_NS_24const_host_device_scalarIT0_EES1_PKS1_PKT1_SA_S7_PKT3_PKT4_S5_PT5_21rocsparse_index_base_b
    .private_segment_fixed_size: 0
    .sgpr_count:     28
    .sgpr_spill_count: 0
    .symbol:         _ZN9rocsparseL20bsrxmvn_17_32_kernelILj19EdlidddEEvT2_20rocsparse_direction_NS_24const_host_device_scalarIT0_EES1_PKS1_PKT1_SA_S7_PKT3_PKT4_S5_PT5_21rocsparse_index_base_b.kd
    .uniform_work_group_size: 1
    .uses_dynamic_stack: false
    .vgpr_count:     22
    .vgpr_spill_count: 0
    .wavefront_size: 64
  - .args:
      - .offset:         0
        .size:           4
        .value_kind:     by_value
      - .offset:         4
        .size:           4
        .value_kind:     by_value
      - .offset:         8
        .size:           8
        .value_kind:     by_value
      - .offset:         16
        .size:           4
        .value_kind:     by_value
      - .actual_access:  read_only
        .address_space:  global
        .offset:         24
        .size:           8
        .value_kind:     global_buffer
      - .actual_access:  read_only
        .address_space:  global
        .offset:         32
        .size:           8
        .value_kind:     global_buffer
      - .actual_access:  read_only
        .address_space:  global
        .offset:         40
        .size:           8
        .value_kind:     global_buffer
      - .actual_access:  read_only
        .address_space:  global
        .offset:         48
        .size:           8
        .value_kind:     global_buffer
      - .actual_access:  read_only
        .address_space:  global
        .offset:         56
        .size:           8
        .value_kind:     global_buffer
      - .actual_access:  read_only
        .address_space:  global
        .offset:         64
        .size:           8
        .value_kind:     global_buffer
      - .offset:         72
        .size:           8
        .value_kind:     by_value
      - .address_space:  global
        .offset:         80
        .size:           8
        .value_kind:     global_buffer
      - .offset:         88
        .size:           4
        .value_kind:     by_value
      - .offset:         92
        .size:           1
        .value_kind:     by_value
    .group_segment_fixed_size: 3200
    .kernarg_segment_align: 8
    .kernarg_segment_size: 96
    .language:       OpenCL C
    .language_version:
      - 2
      - 0
    .max_flat_workgroup_size: 400
    .name:           _ZN9rocsparseL20bsrxmvn_17_32_kernelILj20EdlidddEEvT2_20rocsparse_direction_NS_24const_host_device_scalarIT0_EES1_PKS1_PKT1_SA_S7_PKT3_PKT4_S5_PT5_21rocsparse_index_base_b
    .private_segment_fixed_size: 0
    .sgpr_count:     28
    .sgpr_spill_count: 0
    .symbol:         _ZN9rocsparseL20bsrxmvn_17_32_kernelILj20EdlidddEEvT2_20rocsparse_direction_NS_24const_host_device_scalarIT0_EES1_PKS1_PKT1_SA_S7_PKT3_PKT4_S5_PT5_21rocsparse_index_base_b.kd
    .uniform_work_group_size: 1
    .uses_dynamic_stack: false
    .vgpr_count:     22
    .vgpr_spill_count: 0
    .wavefront_size: 64
  - .args:
      - .offset:         0
        .size:           4
        .value_kind:     by_value
      - .offset:         4
        .size:           4
        .value_kind:     by_value
      - .offset:         8
        .size:           8
        .value_kind:     by_value
      - .offset:         16
        .size:           4
        .value_kind:     by_value
      - .actual_access:  read_only
        .address_space:  global
        .offset:         24
        .size:           8
        .value_kind:     global_buffer
      - .actual_access:  read_only
        .address_space:  global
        .offset:         32
        .size:           8
        .value_kind:     global_buffer
      - .actual_access:  read_only
        .address_space:  global
        .offset:         40
        .size:           8
        .value_kind:     global_buffer
      - .actual_access:  read_only
        .address_space:  global
        .offset:         48
        .size:           8
        .value_kind:     global_buffer
      - .actual_access:  read_only
        .address_space:  global
        .offset:         56
        .size:           8
        .value_kind:     global_buffer
      - .actual_access:  read_only
        .address_space:  global
        .offset:         64
        .size:           8
        .value_kind:     global_buffer
      - .offset:         72
        .size:           8
        .value_kind:     by_value
      - .address_space:  global
        .offset:         80
        .size:           8
        .value_kind:     global_buffer
      - .offset:         88
        .size:           4
        .value_kind:     by_value
      - .offset:         92
        .size:           1
        .value_kind:     by_value
    .group_segment_fixed_size: 3528
    .kernarg_segment_align: 8
    .kernarg_segment_size: 96
    .language:       OpenCL C
    .language_version:
      - 2
      - 0
    .max_flat_workgroup_size: 441
    .name:           _ZN9rocsparseL20bsrxmvn_17_32_kernelILj21EdlidddEEvT2_20rocsparse_direction_NS_24const_host_device_scalarIT0_EES1_PKS1_PKT1_SA_S7_PKT3_PKT4_S5_PT5_21rocsparse_index_base_b
    .private_segment_fixed_size: 0
    .sgpr_count:     26
    .sgpr_spill_count: 0
    .symbol:         _ZN9rocsparseL20bsrxmvn_17_32_kernelILj21EdlidddEEvT2_20rocsparse_direction_NS_24const_host_device_scalarIT0_EES1_PKS1_PKT1_SA_S7_PKT3_PKT4_S5_PT5_21rocsparse_index_base_b.kd
    .uniform_work_group_size: 1
    .uses_dynamic_stack: false
    .vgpr_count:     22
    .vgpr_spill_count: 0
    .wavefront_size: 64
  - .args:
      - .offset:         0
        .size:           4
        .value_kind:     by_value
      - .offset:         4
        .size:           4
        .value_kind:     by_value
      - .offset:         8
        .size:           8
        .value_kind:     by_value
      - .offset:         16
        .size:           4
        .value_kind:     by_value
      - .actual_access:  read_only
        .address_space:  global
        .offset:         24
        .size:           8
        .value_kind:     global_buffer
      - .actual_access:  read_only
        .address_space:  global
        .offset:         32
        .size:           8
        .value_kind:     global_buffer
      - .actual_access:  read_only
        .address_space:  global
        .offset:         40
        .size:           8
        .value_kind:     global_buffer
      - .actual_access:  read_only
        .address_space:  global
        .offset:         48
        .size:           8
        .value_kind:     global_buffer
      - .actual_access:  read_only
        .address_space:  global
        .offset:         56
        .size:           8
        .value_kind:     global_buffer
      - .actual_access:  read_only
        .address_space:  global
        .offset:         64
        .size:           8
        .value_kind:     global_buffer
      - .offset:         72
        .size:           8
        .value_kind:     by_value
      - .address_space:  global
        .offset:         80
        .size:           8
        .value_kind:     global_buffer
      - .offset:         88
        .size:           4
        .value_kind:     by_value
      - .offset:         92
        .size:           1
        .value_kind:     by_value
    .group_segment_fixed_size: 3872
    .kernarg_segment_align: 8
    .kernarg_segment_size: 96
    .language:       OpenCL C
    .language_version:
      - 2
      - 0
    .max_flat_workgroup_size: 484
    .name:           _ZN9rocsparseL20bsrxmvn_17_32_kernelILj22EdlidddEEvT2_20rocsparse_direction_NS_24const_host_device_scalarIT0_EES1_PKS1_PKT1_SA_S7_PKT3_PKT4_S5_PT5_21rocsparse_index_base_b
    .private_segment_fixed_size: 0
    .sgpr_count:     28
    .sgpr_spill_count: 0
    .symbol:         _ZN9rocsparseL20bsrxmvn_17_32_kernelILj22EdlidddEEvT2_20rocsparse_direction_NS_24const_host_device_scalarIT0_EES1_PKS1_PKT1_SA_S7_PKT3_PKT4_S5_PT5_21rocsparse_index_base_b.kd
    .uniform_work_group_size: 1
    .uses_dynamic_stack: false
    .vgpr_count:     22
    .vgpr_spill_count: 0
    .wavefront_size: 64
  - .args:
      - .offset:         0
        .size:           4
        .value_kind:     by_value
      - .offset:         4
        .size:           4
        .value_kind:     by_value
      - .offset:         8
        .size:           8
        .value_kind:     by_value
      - .offset:         16
        .size:           4
        .value_kind:     by_value
      - .actual_access:  read_only
        .address_space:  global
        .offset:         24
        .size:           8
        .value_kind:     global_buffer
      - .actual_access:  read_only
        .address_space:  global
        .offset:         32
        .size:           8
        .value_kind:     global_buffer
      - .actual_access:  read_only
        .address_space:  global
        .offset:         40
        .size:           8
        .value_kind:     global_buffer
      - .actual_access:  read_only
        .address_space:  global
        .offset:         48
        .size:           8
        .value_kind:     global_buffer
      - .actual_access:  read_only
        .address_space:  global
        .offset:         56
        .size:           8
        .value_kind:     global_buffer
      - .actual_access:  read_only
        .address_space:  global
        .offset:         64
        .size:           8
        .value_kind:     global_buffer
      - .offset:         72
        .size:           8
        .value_kind:     by_value
      - .address_space:  global
        .offset:         80
        .size:           8
        .value_kind:     global_buffer
      - .offset:         88
        .size:           4
        .value_kind:     by_value
      - .offset:         92
        .size:           1
        .value_kind:     by_value
    .group_segment_fixed_size: 4232
    .kernarg_segment_align: 8
    .kernarg_segment_size: 96
    .language:       OpenCL C
    .language_version:
      - 2
      - 0
    .max_flat_workgroup_size: 529
    .name:           _ZN9rocsparseL20bsrxmvn_17_32_kernelILj23EdlidddEEvT2_20rocsparse_direction_NS_24const_host_device_scalarIT0_EES1_PKS1_PKT1_SA_S7_PKT3_PKT4_S5_PT5_21rocsparse_index_base_b
    .private_segment_fixed_size: 0
    .sgpr_count:     26
    .sgpr_spill_count: 0
    .symbol:         _ZN9rocsparseL20bsrxmvn_17_32_kernelILj23EdlidddEEvT2_20rocsparse_direction_NS_24const_host_device_scalarIT0_EES1_PKS1_PKT1_SA_S7_PKT3_PKT4_S5_PT5_21rocsparse_index_base_b.kd
    .uniform_work_group_size: 1
    .uses_dynamic_stack: false
    .vgpr_count:     22
    .vgpr_spill_count: 0
    .wavefront_size: 64
  - .args:
      - .offset:         0
        .size:           4
        .value_kind:     by_value
      - .offset:         4
        .size:           4
        .value_kind:     by_value
      - .offset:         8
        .size:           8
        .value_kind:     by_value
      - .offset:         16
        .size:           4
        .value_kind:     by_value
      - .actual_access:  read_only
        .address_space:  global
        .offset:         24
        .size:           8
        .value_kind:     global_buffer
      - .actual_access:  read_only
        .address_space:  global
        .offset:         32
        .size:           8
        .value_kind:     global_buffer
      - .actual_access:  read_only
        .address_space:  global
        .offset:         40
        .size:           8
        .value_kind:     global_buffer
      - .actual_access:  read_only
        .address_space:  global
        .offset:         48
        .size:           8
        .value_kind:     global_buffer
      - .actual_access:  read_only
        .address_space:  global
        .offset:         56
        .size:           8
        .value_kind:     global_buffer
      - .actual_access:  read_only
        .address_space:  global
        .offset:         64
        .size:           8
        .value_kind:     global_buffer
      - .offset:         72
        .size:           8
        .value_kind:     by_value
      - .address_space:  global
        .offset:         80
        .size:           8
        .value_kind:     global_buffer
      - .offset:         88
        .size:           4
        .value_kind:     by_value
      - .offset:         92
        .size:           1
        .value_kind:     by_value
    .group_segment_fixed_size: 4608
    .kernarg_segment_align: 8
    .kernarg_segment_size: 96
    .language:       OpenCL C
    .language_version:
      - 2
      - 0
    .max_flat_workgroup_size: 576
    .name:           _ZN9rocsparseL20bsrxmvn_17_32_kernelILj24EdlidddEEvT2_20rocsparse_direction_NS_24const_host_device_scalarIT0_EES1_PKS1_PKT1_SA_S7_PKT3_PKT4_S5_PT5_21rocsparse_index_base_b
    .private_segment_fixed_size: 0
    .sgpr_count:     26
    .sgpr_spill_count: 0
    .symbol:         _ZN9rocsparseL20bsrxmvn_17_32_kernelILj24EdlidddEEvT2_20rocsparse_direction_NS_24const_host_device_scalarIT0_EES1_PKS1_PKT1_SA_S7_PKT3_PKT4_S5_PT5_21rocsparse_index_base_b.kd
    .uniform_work_group_size: 1
    .uses_dynamic_stack: false
    .vgpr_count:     22
    .vgpr_spill_count: 0
    .wavefront_size: 64
  - .args:
      - .offset:         0
        .size:           4
        .value_kind:     by_value
      - .offset:         4
        .size:           4
        .value_kind:     by_value
      - .offset:         8
        .size:           8
        .value_kind:     by_value
      - .offset:         16
        .size:           4
        .value_kind:     by_value
      - .actual_access:  read_only
        .address_space:  global
        .offset:         24
        .size:           8
        .value_kind:     global_buffer
      - .actual_access:  read_only
        .address_space:  global
        .offset:         32
        .size:           8
        .value_kind:     global_buffer
      - .actual_access:  read_only
        .address_space:  global
        .offset:         40
        .size:           8
        .value_kind:     global_buffer
      - .actual_access:  read_only
        .address_space:  global
        .offset:         48
        .size:           8
        .value_kind:     global_buffer
      - .actual_access:  read_only
        .address_space:  global
        .offset:         56
        .size:           8
        .value_kind:     global_buffer
      - .actual_access:  read_only
        .address_space:  global
        .offset:         64
        .size:           8
        .value_kind:     global_buffer
      - .offset:         72
        .size:           8
        .value_kind:     by_value
      - .address_space:  global
        .offset:         80
        .size:           8
        .value_kind:     global_buffer
      - .offset:         88
        .size:           4
        .value_kind:     by_value
      - .offset:         92
        .size:           1
        .value_kind:     by_value
    .group_segment_fixed_size: 5000
    .kernarg_segment_align: 8
    .kernarg_segment_size: 96
    .language:       OpenCL C
    .language_version:
      - 2
      - 0
    .max_flat_workgroup_size: 625
    .name:           _ZN9rocsparseL20bsrxmvn_17_32_kernelILj25EdlidddEEvT2_20rocsparse_direction_NS_24const_host_device_scalarIT0_EES1_PKS1_PKT1_SA_S7_PKT3_PKT4_S5_PT5_21rocsparse_index_base_b
    .private_segment_fixed_size: 0
    .sgpr_count:     26
    .sgpr_spill_count: 0
    .symbol:         _ZN9rocsparseL20bsrxmvn_17_32_kernelILj25EdlidddEEvT2_20rocsparse_direction_NS_24const_host_device_scalarIT0_EES1_PKS1_PKT1_SA_S7_PKT3_PKT4_S5_PT5_21rocsparse_index_base_b.kd
    .uniform_work_group_size: 1
    .uses_dynamic_stack: false
    .vgpr_count:     22
    .vgpr_spill_count: 0
    .wavefront_size: 64
  - .args:
      - .offset:         0
        .size:           4
        .value_kind:     by_value
      - .offset:         4
        .size:           4
        .value_kind:     by_value
      - .offset:         8
        .size:           8
        .value_kind:     by_value
      - .offset:         16
        .size:           4
        .value_kind:     by_value
      - .actual_access:  read_only
        .address_space:  global
        .offset:         24
        .size:           8
        .value_kind:     global_buffer
      - .actual_access:  read_only
        .address_space:  global
        .offset:         32
        .size:           8
        .value_kind:     global_buffer
      - .actual_access:  read_only
        .address_space:  global
        .offset:         40
        .size:           8
        .value_kind:     global_buffer
      - .actual_access:  read_only
        .address_space:  global
        .offset:         48
        .size:           8
        .value_kind:     global_buffer
      - .actual_access:  read_only
        .address_space:  global
        .offset:         56
        .size:           8
        .value_kind:     global_buffer
      - .actual_access:  read_only
        .address_space:  global
        .offset:         64
        .size:           8
        .value_kind:     global_buffer
      - .offset:         72
        .size:           8
        .value_kind:     by_value
      - .address_space:  global
        .offset:         80
        .size:           8
        .value_kind:     global_buffer
      - .offset:         88
        .size:           4
        .value_kind:     by_value
      - .offset:         92
        .size:           1
        .value_kind:     by_value
    .group_segment_fixed_size: 5408
    .kernarg_segment_align: 8
    .kernarg_segment_size: 96
    .language:       OpenCL C
    .language_version:
      - 2
      - 0
    .max_flat_workgroup_size: 676
    .name:           _ZN9rocsparseL20bsrxmvn_17_32_kernelILj26EdlidddEEvT2_20rocsparse_direction_NS_24const_host_device_scalarIT0_EES1_PKS1_PKT1_SA_S7_PKT3_PKT4_S5_PT5_21rocsparse_index_base_b
    .private_segment_fixed_size: 0
    .sgpr_count:     26
    .sgpr_spill_count: 0
    .symbol:         _ZN9rocsparseL20bsrxmvn_17_32_kernelILj26EdlidddEEvT2_20rocsparse_direction_NS_24const_host_device_scalarIT0_EES1_PKS1_PKT1_SA_S7_PKT3_PKT4_S5_PT5_21rocsparse_index_base_b.kd
    .uniform_work_group_size: 1
    .uses_dynamic_stack: false
    .vgpr_count:     22
    .vgpr_spill_count: 0
    .wavefront_size: 64
  - .args:
      - .offset:         0
        .size:           4
        .value_kind:     by_value
      - .offset:         4
        .size:           4
        .value_kind:     by_value
      - .offset:         8
        .size:           8
        .value_kind:     by_value
      - .offset:         16
        .size:           4
        .value_kind:     by_value
      - .actual_access:  read_only
        .address_space:  global
        .offset:         24
        .size:           8
        .value_kind:     global_buffer
      - .actual_access:  read_only
        .address_space:  global
        .offset:         32
        .size:           8
        .value_kind:     global_buffer
      - .actual_access:  read_only
        .address_space:  global
        .offset:         40
        .size:           8
        .value_kind:     global_buffer
      - .actual_access:  read_only
        .address_space:  global
        .offset:         48
        .size:           8
        .value_kind:     global_buffer
      - .actual_access:  read_only
        .address_space:  global
        .offset:         56
        .size:           8
        .value_kind:     global_buffer
      - .actual_access:  read_only
        .address_space:  global
        .offset:         64
        .size:           8
        .value_kind:     global_buffer
      - .offset:         72
        .size:           8
        .value_kind:     by_value
      - .address_space:  global
        .offset:         80
        .size:           8
        .value_kind:     global_buffer
      - .offset:         88
        .size:           4
        .value_kind:     by_value
      - .offset:         92
        .size:           1
        .value_kind:     by_value
    .group_segment_fixed_size: 5832
    .kernarg_segment_align: 8
    .kernarg_segment_size: 96
    .language:       OpenCL C
    .language_version:
      - 2
      - 0
    .max_flat_workgroup_size: 729
    .name:           _ZN9rocsparseL20bsrxmvn_17_32_kernelILj27EdlidddEEvT2_20rocsparse_direction_NS_24const_host_device_scalarIT0_EES1_PKS1_PKT1_SA_S7_PKT3_PKT4_S5_PT5_21rocsparse_index_base_b
    .private_segment_fixed_size: 0
    .sgpr_count:     26
    .sgpr_spill_count: 0
    .symbol:         _ZN9rocsparseL20bsrxmvn_17_32_kernelILj27EdlidddEEvT2_20rocsparse_direction_NS_24const_host_device_scalarIT0_EES1_PKS1_PKT1_SA_S7_PKT3_PKT4_S5_PT5_21rocsparse_index_base_b.kd
    .uniform_work_group_size: 1
    .uses_dynamic_stack: false
    .vgpr_count:     22
    .vgpr_spill_count: 0
    .wavefront_size: 64
  - .args:
      - .offset:         0
        .size:           4
        .value_kind:     by_value
      - .offset:         4
        .size:           4
        .value_kind:     by_value
      - .offset:         8
        .size:           8
        .value_kind:     by_value
      - .offset:         16
        .size:           4
        .value_kind:     by_value
      - .actual_access:  read_only
        .address_space:  global
        .offset:         24
        .size:           8
        .value_kind:     global_buffer
      - .actual_access:  read_only
        .address_space:  global
        .offset:         32
        .size:           8
        .value_kind:     global_buffer
      - .actual_access:  read_only
        .address_space:  global
        .offset:         40
        .size:           8
        .value_kind:     global_buffer
      - .actual_access:  read_only
        .address_space:  global
        .offset:         48
        .size:           8
        .value_kind:     global_buffer
      - .actual_access:  read_only
        .address_space:  global
        .offset:         56
        .size:           8
        .value_kind:     global_buffer
      - .actual_access:  read_only
        .address_space:  global
        .offset:         64
        .size:           8
        .value_kind:     global_buffer
      - .offset:         72
        .size:           8
        .value_kind:     by_value
      - .address_space:  global
        .offset:         80
        .size:           8
        .value_kind:     global_buffer
      - .offset:         88
        .size:           4
        .value_kind:     by_value
      - .offset:         92
        .size:           1
        .value_kind:     by_value
    .group_segment_fixed_size: 6272
    .kernarg_segment_align: 8
    .kernarg_segment_size: 96
    .language:       OpenCL C
    .language_version:
      - 2
      - 0
    .max_flat_workgroup_size: 784
    .name:           _ZN9rocsparseL20bsrxmvn_17_32_kernelILj28EdlidddEEvT2_20rocsparse_direction_NS_24const_host_device_scalarIT0_EES1_PKS1_PKT1_SA_S7_PKT3_PKT4_S5_PT5_21rocsparse_index_base_b
    .private_segment_fixed_size: 0
    .sgpr_count:     26
    .sgpr_spill_count: 0
    .symbol:         _ZN9rocsparseL20bsrxmvn_17_32_kernelILj28EdlidddEEvT2_20rocsparse_direction_NS_24const_host_device_scalarIT0_EES1_PKS1_PKT1_SA_S7_PKT3_PKT4_S5_PT5_21rocsparse_index_base_b.kd
    .uniform_work_group_size: 1
    .uses_dynamic_stack: false
    .vgpr_count:     22
    .vgpr_spill_count: 0
    .wavefront_size: 64
  - .args:
      - .offset:         0
        .size:           4
        .value_kind:     by_value
      - .offset:         4
        .size:           4
        .value_kind:     by_value
      - .offset:         8
        .size:           8
        .value_kind:     by_value
      - .offset:         16
        .size:           4
        .value_kind:     by_value
      - .actual_access:  read_only
        .address_space:  global
        .offset:         24
        .size:           8
        .value_kind:     global_buffer
      - .actual_access:  read_only
        .address_space:  global
        .offset:         32
        .size:           8
        .value_kind:     global_buffer
      - .actual_access:  read_only
        .address_space:  global
        .offset:         40
        .size:           8
        .value_kind:     global_buffer
      - .actual_access:  read_only
        .address_space:  global
        .offset:         48
        .size:           8
        .value_kind:     global_buffer
      - .actual_access:  read_only
        .address_space:  global
        .offset:         56
        .size:           8
        .value_kind:     global_buffer
      - .actual_access:  read_only
        .address_space:  global
        .offset:         64
        .size:           8
        .value_kind:     global_buffer
      - .offset:         72
        .size:           8
        .value_kind:     by_value
      - .address_space:  global
        .offset:         80
        .size:           8
        .value_kind:     global_buffer
      - .offset:         88
        .size:           4
        .value_kind:     by_value
      - .offset:         92
        .size:           1
        .value_kind:     by_value
    .group_segment_fixed_size: 6728
    .kernarg_segment_align: 8
    .kernarg_segment_size: 96
    .language:       OpenCL C
    .language_version:
      - 2
      - 0
    .max_flat_workgroup_size: 841
    .name:           _ZN9rocsparseL20bsrxmvn_17_32_kernelILj29EdlidddEEvT2_20rocsparse_direction_NS_24const_host_device_scalarIT0_EES1_PKS1_PKT1_SA_S7_PKT3_PKT4_S5_PT5_21rocsparse_index_base_b
    .private_segment_fixed_size: 0
    .sgpr_count:     26
    .sgpr_spill_count: 0
    .symbol:         _ZN9rocsparseL20bsrxmvn_17_32_kernelILj29EdlidddEEvT2_20rocsparse_direction_NS_24const_host_device_scalarIT0_EES1_PKS1_PKT1_SA_S7_PKT3_PKT4_S5_PT5_21rocsparse_index_base_b.kd
    .uniform_work_group_size: 1
    .uses_dynamic_stack: false
    .vgpr_count:     22
    .vgpr_spill_count: 0
    .wavefront_size: 64
  - .args:
      - .offset:         0
        .size:           4
        .value_kind:     by_value
      - .offset:         4
        .size:           4
        .value_kind:     by_value
      - .offset:         8
        .size:           8
        .value_kind:     by_value
      - .offset:         16
        .size:           4
        .value_kind:     by_value
      - .actual_access:  read_only
        .address_space:  global
        .offset:         24
        .size:           8
        .value_kind:     global_buffer
      - .actual_access:  read_only
        .address_space:  global
        .offset:         32
        .size:           8
        .value_kind:     global_buffer
      - .actual_access:  read_only
        .address_space:  global
        .offset:         40
        .size:           8
        .value_kind:     global_buffer
      - .actual_access:  read_only
        .address_space:  global
        .offset:         48
        .size:           8
        .value_kind:     global_buffer
      - .actual_access:  read_only
        .address_space:  global
        .offset:         56
        .size:           8
        .value_kind:     global_buffer
      - .actual_access:  read_only
        .address_space:  global
        .offset:         64
        .size:           8
        .value_kind:     global_buffer
      - .offset:         72
        .size:           8
        .value_kind:     by_value
      - .address_space:  global
        .offset:         80
        .size:           8
        .value_kind:     global_buffer
      - .offset:         88
        .size:           4
        .value_kind:     by_value
      - .offset:         92
        .size:           1
        .value_kind:     by_value
    .group_segment_fixed_size: 7200
    .kernarg_segment_align: 8
    .kernarg_segment_size: 96
    .language:       OpenCL C
    .language_version:
      - 2
      - 0
    .max_flat_workgroup_size: 900
    .name:           _ZN9rocsparseL20bsrxmvn_17_32_kernelILj30EdlidddEEvT2_20rocsparse_direction_NS_24const_host_device_scalarIT0_EES1_PKS1_PKT1_SA_S7_PKT3_PKT4_S5_PT5_21rocsparse_index_base_b
    .private_segment_fixed_size: 0
    .sgpr_count:     26
    .sgpr_spill_count: 0
    .symbol:         _ZN9rocsparseL20bsrxmvn_17_32_kernelILj30EdlidddEEvT2_20rocsparse_direction_NS_24const_host_device_scalarIT0_EES1_PKS1_PKT1_SA_S7_PKT3_PKT4_S5_PT5_21rocsparse_index_base_b.kd
    .uniform_work_group_size: 1
    .uses_dynamic_stack: false
    .vgpr_count:     22
    .vgpr_spill_count: 0
    .wavefront_size: 64
  - .args:
      - .offset:         0
        .size:           4
        .value_kind:     by_value
      - .offset:         4
        .size:           4
        .value_kind:     by_value
      - .offset:         8
        .size:           8
        .value_kind:     by_value
      - .offset:         16
        .size:           4
        .value_kind:     by_value
      - .actual_access:  read_only
        .address_space:  global
        .offset:         24
        .size:           8
        .value_kind:     global_buffer
      - .actual_access:  read_only
        .address_space:  global
        .offset:         32
        .size:           8
        .value_kind:     global_buffer
      - .actual_access:  read_only
        .address_space:  global
        .offset:         40
        .size:           8
        .value_kind:     global_buffer
      - .actual_access:  read_only
        .address_space:  global
        .offset:         48
        .size:           8
        .value_kind:     global_buffer
      - .actual_access:  read_only
        .address_space:  global
        .offset:         56
        .size:           8
        .value_kind:     global_buffer
      - .actual_access:  read_only
        .address_space:  global
        .offset:         64
        .size:           8
        .value_kind:     global_buffer
      - .offset:         72
        .size:           8
        .value_kind:     by_value
      - .address_space:  global
        .offset:         80
        .size:           8
        .value_kind:     global_buffer
      - .offset:         88
        .size:           4
        .value_kind:     by_value
      - .offset:         92
        .size:           1
        .value_kind:     by_value
    .group_segment_fixed_size: 7688
    .kernarg_segment_align: 8
    .kernarg_segment_size: 96
    .language:       OpenCL C
    .language_version:
      - 2
      - 0
    .max_flat_workgroup_size: 961
    .name:           _ZN9rocsparseL20bsrxmvn_17_32_kernelILj31EdlidddEEvT2_20rocsparse_direction_NS_24const_host_device_scalarIT0_EES1_PKS1_PKT1_SA_S7_PKT3_PKT4_S5_PT5_21rocsparse_index_base_b
    .private_segment_fixed_size: 0
    .sgpr_count:     26
    .sgpr_spill_count: 0
    .symbol:         _ZN9rocsparseL20bsrxmvn_17_32_kernelILj31EdlidddEEvT2_20rocsparse_direction_NS_24const_host_device_scalarIT0_EES1_PKS1_PKT1_SA_S7_PKT3_PKT4_S5_PT5_21rocsparse_index_base_b.kd
    .uniform_work_group_size: 1
    .uses_dynamic_stack: false
    .vgpr_count:     22
    .vgpr_spill_count: 0
    .wavefront_size: 64
  - .args:
      - .offset:         0
        .size:           4
        .value_kind:     by_value
      - .offset:         4
        .size:           4
        .value_kind:     by_value
      - .offset:         8
        .size:           8
        .value_kind:     by_value
      - .offset:         16
        .size:           4
        .value_kind:     by_value
      - .actual_access:  read_only
        .address_space:  global
        .offset:         24
        .size:           8
        .value_kind:     global_buffer
      - .actual_access:  read_only
        .address_space:  global
        .offset:         32
        .size:           8
        .value_kind:     global_buffer
      - .actual_access:  read_only
        .address_space:  global
        .offset:         40
        .size:           8
        .value_kind:     global_buffer
      - .actual_access:  read_only
        .address_space:  global
        .offset:         48
        .size:           8
        .value_kind:     global_buffer
      - .actual_access:  read_only
        .address_space:  global
        .offset:         56
        .size:           8
        .value_kind:     global_buffer
      - .actual_access:  read_only
        .address_space:  global
        .offset:         64
        .size:           8
        .value_kind:     global_buffer
      - .offset:         72
        .size:           8
        .value_kind:     by_value
      - .address_space:  global
        .offset:         80
        .size:           8
        .value_kind:     global_buffer
      - .offset:         88
        .size:           4
        .value_kind:     by_value
      - .offset:         92
        .size:           1
        .value_kind:     by_value
    .group_segment_fixed_size: 8192
    .kernarg_segment_align: 8
    .kernarg_segment_size: 96
    .language:       OpenCL C
    .language_version:
      - 2
      - 0
    .max_flat_workgroup_size: 1024
    .name:           _ZN9rocsparseL20bsrxmvn_17_32_kernelILj32EdlidddEEvT2_20rocsparse_direction_NS_24const_host_device_scalarIT0_EES1_PKS1_PKT1_SA_S7_PKT3_PKT4_S5_PT5_21rocsparse_index_base_b
    .private_segment_fixed_size: 0
    .sgpr_count:     28
    .sgpr_spill_count: 0
    .symbol:         _ZN9rocsparseL20bsrxmvn_17_32_kernelILj32EdlidddEEvT2_20rocsparse_direction_NS_24const_host_device_scalarIT0_EES1_PKS1_PKT1_SA_S7_PKT3_PKT4_S5_PT5_21rocsparse_index_base_b.kd
    .uniform_work_group_size: 1
    .uses_dynamic_stack: false
    .vgpr_count:     19
    .vgpr_spill_count: 0
    .wavefront_size: 64
  - .args:
      - .offset:         0
        .size:           4
        .value_kind:     by_value
      - .offset:         4
        .size:           4
        .value_kind:     by_value
      - .offset:         8
        .size:           8
        .value_kind:     by_value
      - .offset:         16
        .size:           4
        .value_kind:     by_value
      - .actual_access:  read_only
        .address_space:  global
        .offset:         24
        .size:           8
        .value_kind:     global_buffer
      - .actual_access:  read_only
        .address_space:  global
        .offset:         32
        .size:           8
        .value_kind:     global_buffer
      - .actual_access:  read_only
        .address_space:  global
        .offset:         40
        .size:           8
        .value_kind:     global_buffer
      - .actual_access:  read_only
        .address_space:  global
        .offset:         48
        .size:           8
        .value_kind:     global_buffer
      - .actual_access:  read_only
        .address_space:  global
        .offset:         56
        .size:           8
        .value_kind:     global_buffer
      - .actual_access:  read_only
        .address_space:  global
        .offset:         64
        .size:           8
        .value_kind:     global_buffer
      - .offset:         72
        .size:           8
        .value_kind:     by_value
      - .address_space:  global
        .offset:         80
        .size:           8
        .value_kind:     global_buffer
      - .offset:         88
        .size:           4
        .value_kind:     by_value
      - .offset:         92
        .size:           1
        .value_kind:     by_value
    .group_segment_fixed_size: 2312
    .kernarg_segment_align: 8
    .kernarg_segment_size: 96
    .language:       OpenCL C
    .language_version:
      - 2
      - 0
    .max_flat_workgroup_size: 289
    .name:           _ZN9rocsparseL20bsrxmvn_17_32_kernelILj17E21rocsparse_complex_numIfEliS2_S2_S2_EEvT2_20rocsparse_direction_NS_24const_host_device_scalarIT0_EES3_PKS3_PKT1_SC_S9_PKT3_PKT4_S7_PT5_21rocsparse_index_base_b
    .private_segment_fixed_size: 0
    .sgpr_count:     26
    .sgpr_spill_count: 0
    .symbol:         _ZN9rocsparseL20bsrxmvn_17_32_kernelILj17E21rocsparse_complex_numIfEliS2_S2_S2_EEvT2_20rocsparse_direction_NS_24const_host_device_scalarIT0_EES3_PKS3_PKT1_SC_S9_PKT3_PKT4_S7_PT5_21rocsparse_index_base_b.kd
    .uniform_work_group_size: 1
    .uses_dynamic_stack: false
    .vgpr_count:     20
    .vgpr_spill_count: 0
    .wavefront_size: 64
  - .args:
      - .offset:         0
        .size:           4
        .value_kind:     by_value
      - .offset:         4
        .size:           4
        .value_kind:     by_value
      - .offset:         8
        .size:           8
        .value_kind:     by_value
      - .offset:         16
        .size:           4
        .value_kind:     by_value
      - .actual_access:  read_only
        .address_space:  global
        .offset:         24
        .size:           8
        .value_kind:     global_buffer
      - .actual_access:  read_only
        .address_space:  global
        .offset:         32
        .size:           8
        .value_kind:     global_buffer
      - .actual_access:  read_only
        .address_space:  global
        .offset:         40
        .size:           8
        .value_kind:     global_buffer
      - .actual_access:  read_only
        .address_space:  global
        .offset:         48
        .size:           8
        .value_kind:     global_buffer
      - .actual_access:  read_only
        .address_space:  global
        .offset:         56
        .size:           8
        .value_kind:     global_buffer
      - .actual_access:  read_only
        .address_space:  global
        .offset:         64
        .size:           8
        .value_kind:     global_buffer
      - .offset:         72
        .size:           8
        .value_kind:     by_value
      - .address_space:  global
        .offset:         80
        .size:           8
        .value_kind:     global_buffer
      - .offset:         88
        .size:           4
        .value_kind:     by_value
      - .offset:         92
        .size:           1
        .value_kind:     by_value
    .group_segment_fixed_size: 2592
    .kernarg_segment_align: 8
    .kernarg_segment_size: 96
    .language:       OpenCL C
    .language_version:
      - 2
      - 0
    .max_flat_workgroup_size: 324
    .name:           _ZN9rocsparseL20bsrxmvn_17_32_kernelILj18E21rocsparse_complex_numIfEliS2_S2_S2_EEvT2_20rocsparse_direction_NS_24const_host_device_scalarIT0_EES3_PKS3_PKT1_SC_S9_PKT3_PKT4_S7_PT5_21rocsparse_index_base_b
    .private_segment_fixed_size: 0
    .sgpr_count:     26
    .sgpr_spill_count: 0
    .symbol:         _ZN9rocsparseL20bsrxmvn_17_32_kernelILj18E21rocsparse_complex_numIfEliS2_S2_S2_EEvT2_20rocsparse_direction_NS_24const_host_device_scalarIT0_EES3_PKS3_PKT1_SC_S9_PKT3_PKT4_S7_PT5_21rocsparse_index_base_b.kd
    .uniform_work_group_size: 1
    .uses_dynamic_stack: false
    .vgpr_count:     20
    .vgpr_spill_count: 0
    .wavefront_size: 64
  - .args:
      - .offset:         0
        .size:           4
        .value_kind:     by_value
      - .offset:         4
        .size:           4
        .value_kind:     by_value
      - .offset:         8
        .size:           8
        .value_kind:     by_value
      - .offset:         16
        .size:           4
        .value_kind:     by_value
      - .actual_access:  read_only
        .address_space:  global
        .offset:         24
        .size:           8
        .value_kind:     global_buffer
      - .actual_access:  read_only
        .address_space:  global
        .offset:         32
        .size:           8
        .value_kind:     global_buffer
      - .actual_access:  read_only
        .address_space:  global
        .offset:         40
        .size:           8
        .value_kind:     global_buffer
      - .actual_access:  read_only
        .address_space:  global
        .offset:         48
        .size:           8
        .value_kind:     global_buffer
      - .actual_access:  read_only
        .address_space:  global
        .offset:         56
        .size:           8
        .value_kind:     global_buffer
      - .actual_access:  read_only
        .address_space:  global
        .offset:         64
        .size:           8
        .value_kind:     global_buffer
      - .offset:         72
        .size:           8
        .value_kind:     by_value
      - .address_space:  global
        .offset:         80
        .size:           8
        .value_kind:     global_buffer
      - .offset:         88
        .size:           4
        .value_kind:     by_value
      - .offset:         92
        .size:           1
        .value_kind:     by_value
    .group_segment_fixed_size: 2888
    .kernarg_segment_align: 8
    .kernarg_segment_size: 96
    .language:       OpenCL C
    .language_version:
      - 2
      - 0
    .max_flat_workgroup_size: 361
    .name:           _ZN9rocsparseL20bsrxmvn_17_32_kernelILj19E21rocsparse_complex_numIfEliS2_S2_S2_EEvT2_20rocsparse_direction_NS_24const_host_device_scalarIT0_EES3_PKS3_PKT1_SC_S9_PKT3_PKT4_S7_PT5_21rocsparse_index_base_b
    .private_segment_fixed_size: 0
    .sgpr_count:     26
    .sgpr_spill_count: 0
    .symbol:         _ZN9rocsparseL20bsrxmvn_17_32_kernelILj19E21rocsparse_complex_numIfEliS2_S2_S2_EEvT2_20rocsparse_direction_NS_24const_host_device_scalarIT0_EES3_PKS3_PKT1_SC_S9_PKT3_PKT4_S7_PT5_21rocsparse_index_base_b.kd
    .uniform_work_group_size: 1
    .uses_dynamic_stack: false
    .vgpr_count:     22
    .vgpr_spill_count: 0
    .wavefront_size: 64
  - .args:
      - .offset:         0
        .size:           4
        .value_kind:     by_value
      - .offset:         4
        .size:           4
        .value_kind:     by_value
      - .offset:         8
        .size:           8
        .value_kind:     by_value
      - .offset:         16
        .size:           4
        .value_kind:     by_value
      - .actual_access:  read_only
        .address_space:  global
        .offset:         24
        .size:           8
        .value_kind:     global_buffer
      - .actual_access:  read_only
        .address_space:  global
        .offset:         32
        .size:           8
        .value_kind:     global_buffer
      - .actual_access:  read_only
        .address_space:  global
        .offset:         40
        .size:           8
        .value_kind:     global_buffer
      - .actual_access:  read_only
        .address_space:  global
        .offset:         48
        .size:           8
        .value_kind:     global_buffer
      - .actual_access:  read_only
        .address_space:  global
        .offset:         56
        .size:           8
        .value_kind:     global_buffer
      - .actual_access:  read_only
        .address_space:  global
        .offset:         64
        .size:           8
        .value_kind:     global_buffer
      - .offset:         72
        .size:           8
        .value_kind:     by_value
      - .address_space:  global
        .offset:         80
        .size:           8
        .value_kind:     global_buffer
      - .offset:         88
        .size:           4
        .value_kind:     by_value
      - .offset:         92
        .size:           1
        .value_kind:     by_value
    .group_segment_fixed_size: 3200
    .kernarg_segment_align: 8
    .kernarg_segment_size: 96
    .language:       OpenCL C
    .language_version:
      - 2
      - 0
    .max_flat_workgroup_size: 400
    .name:           _ZN9rocsparseL20bsrxmvn_17_32_kernelILj20E21rocsparse_complex_numIfEliS2_S2_S2_EEvT2_20rocsparse_direction_NS_24const_host_device_scalarIT0_EES3_PKS3_PKT1_SC_S9_PKT3_PKT4_S7_PT5_21rocsparse_index_base_b
    .private_segment_fixed_size: 0
    .sgpr_count:     26
    .sgpr_spill_count: 0
    .symbol:         _ZN9rocsparseL20bsrxmvn_17_32_kernelILj20E21rocsparse_complex_numIfEliS2_S2_S2_EEvT2_20rocsparse_direction_NS_24const_host_device_scalarIT0_EES3_PKS3_PKT1_SC_S9_PKT3_PKT4_S7_PT5_21rocsparse_index_base_b.kd
    .uniform_work_group_size: 1
    .uses_dynamic_stack: false
    .vgpr_count:     22
    .vgpr_spill_count: 0
    .wavefront_size: 64
  - .args:
      - .offset:         0
        .size:           4
        .value_kind:     by_value
      - .offset:         4
        .size:           4
        .value_kind:     by_value
      - .offset:         8
        .size:           8
        .value_kind:     by_value
      - .offset:         16
        .size:           4
        .value_kind:     by_value
      - .actual_access:  read_only
        .address_space:  global
        .offset:         24
        .size:           8
        .value_kind:     global_buffer
      - .actual_access:  read_only
        .address_space:  global
        .offset:         32
        .size:           8
        .value_kind:     global_buffer
      - .actual_access:  read_only
        .address_space:  global
        .offset:         40
        .size:           8
        .value_kind:     global_buffer
      - .actual_access:  read_only
        .address_space:  global
        .offset:         48
        .size:           8
        .value_kind:     global_buffer
      - .actual_access:  read_only
        .address_space:  global
        .offset:         56
        .size:           8
        .value_kind:     global_buffer
      - .actual_access:  read_only
        .address_space:  global
        .offset:         64
        .size:           8
        .value_kind:     global_buffer
      - .offset:         72
        .size:           8
        .value_kind:     by_value
      - .address_space:  global
        .offset:         80
        .size:           8
        .value_kind:     global_buffer
      - .offset:         88
        .size:           4
        .value_kind:     by_value
      - .offset:         92
        .size:           1
        .value_kind:     by_value
    .group_segment_fixed_size: 3528
    .kernarg_segment_align: 8
    .kernarg_segment_size: 96
    .language:       OpenCL C
    .language_version:
      - 2
      - 0
    .max_flat_workgroup_size: 441
    .name:           _ZN9rocsparseL20bsrxmvn_17_32_kernelILj21E21rocsparse_complex_numIfEliS2_S2_S2_EEvT2_20rocsparse_direction_NS_24const_host_device_scalarIT0_EES3_PKS3_PKT1_SC_S9_PKT3_PKT4_S7_PT5_21rocsparse_index_base_b
    .private_segment_fixed_size: 0
    .sgpr_count:     26
    .sgpr_spill_count: 0
    .symbol:         _ZN9rocsparseL20bsrxmvn_17_32_kernelILj21E21rocsparse_complex_numIfEliS2_S2_S2_EEvT2_20rocsparse_direction_NS_24const_host_device_scalarIT0_EES3_PKS3_PKT1_SC_S9_PKT3_PKT4_S7_PT5_21rocsparse_index_base_b.kd
    .uniform_work_group_size: 1
    .uses_dynamic_stack: false
    .vgpr_count:     22
    .vgpr_spill_count: 0
    .wavefront_size: 64
  - .args:
      - .offset:         0
        .size:           4
        .value_kind:     by_value
      - .offset:         4
        .size:           4
        .value_kind:     by_value
      - .offset:         8
        .size:           8
        .value_kind:     by_value
      - .offset:         16
        .size:           4
        .value_kind:     by_value
      - .actual_access:  read_only
        .address_space:  global
        .offset:         24
        .size:           8
        .value_kind:     global_buffer
      - .actual_access:  read_only
        .address_space:  global
        .offset:         32
        .size:           8
        .value_kind:     global_buffer
      - .actual_access:  read_only
        .address_space:  global
        .offset:         40
        .size:           8
        .value_kind:     global_buffer
      - .actual_access:  read_only
        .address_space:  global
        .offset:         48
        .size:           8
        .value_kind:     global_buffer
      - .actual_access:  read_only
        .address_space:  global
        .offset:         56
        .size:           8
        .value_kind:     global_buffer
      - .actual_access:  read_only
        .address_space:  global
        .offset:         64
        .size:           8
        .value_kind:     global_buffer
      - .offset:         72
        .size:           8
        .value_kind:     by_value
      - .address_space:  global
        .offset:         80
        .size:           8
        .value_kind:     global_buffer
      - .offset:         88
        .size:           4
        .value_kind:     by_value
      - .offset:         92
        .size:           1
        .value_kind:     by_value
    .group_segment_fixed_size: 3872
    .kernarg_segment_align: 8
    .kernarg_segment_size: 96
    .language:       OpenCL C
    .language_version:
      - 2
      - 0
    .max_flat_workgroup_size: 484
    .name:           _ZN9rocsparseL20bsrxmvn_17_32_kernelILj22E21rocsparse_complex_numIfEliS2_S2_S2_EEvT2_20rocsparse_direction_NS_24const_host_device_scalarIT0_EES3_PKS3_PKT1_SC_S9_PKT3_PKT4_S7_PT5_21rocsparse_index_base_b
    .private_segment_fixed_size: 0
    .sgpr_count:     26
    .sgpr_spill_count: 0
    .symbol:         _ZN9rocsparseL20bsrxmvn_17_32_kernelILj22E21rocsparse_complex_numIfEliS2_S2_S2_EEvT2_20rocsparse_direction_NS_24const_host_device_scalarIT0_EES3_PKS3_PKT1_SC_S9_PKT3_PKT4_S7_PT5_21rocsparse_index_base_b.kd
    .uniform_work_group_size: 1
    .uses_dynamic_stack: false
    .vgpr_count:     22
    .vgpr_spill_count: 0
    .wavefront_size: 64
  - .args:
      - .offset:         0
        .size:           4
        .value_kind:     by_value
      - .offset:         4
        .size:           4
        .value_kind:     by_value
      - .offset:         8
        .size:           8
        .value_kind:     by_value
      - .offset:         16
        .size:           4
        .value_kind:     by_value
      - .actual_access:  read_only
        .address_space:  global
        .offset:         24
        .size:           8
        .value_kind:     global_buffer
      - .actual_access:  read_only
        .address_space:  global
        .offset:         32
        .size:           8
        .value_kind:     global_buffer
      - .actual_access:  read_only
        .address_space:  global
        .offset:         40
        .size:           8
        .value_kind:     global_buffer
      - .actual_access:  read_only
        .address_space:  global
        .offset:         48
        .size:           8
        .value_kind:     global_buffer
      - .actual_access:  read_only
        .address_space:  global
        .offset:         56
        .size:           8
        .value_kind:     global_buffer
      - .actual_access:  read_only
        .address_space:  global
        .offset:         64
        .size:           8
        .value_kind:     global_buffer
      - .offset:         72
        .size:           8
        .value_kind:     by_value
      - .address_space:  global
        .offset:         80
        .size:           8
        .value_kind:     global_buffer
      - .offset:         88
        .size:           4
        .value_kind:     by_value
      - .offset:         92
        .size:           1
        .value_kind:     by_value
    .group_segment_fixed_size: 4232
    .kernarg_segment_align: 8
    .kernarg_segment_size: 96
    .language:       OpenCL C
    .language_version:
      - 2
      - 0
    .max_flat_workgroup_size: 529
    .name:           _ZN9rocsparseL20bsrxmvn_17_32_kernelILj23E21rocsparse_complex_numIfEliS2_S2_S2_EEvT2_20rocsparse_direction_NS_24const_host_device_scalarIT0_EES3_PKS3_PKT1_SC_S9_PKT3_PKT4_S7_PT5_21rocsparse_index_base_b
    .private_segment_fixed_size: 0
    .sgpr_count:     26
    .sgpr_spill_count: 0
    .symbol:         _ZN9rocsparseL20bsrxmvn_17_32_kernelILj23E21rocsparse_complex_numIfEliS2_S2_S2_EEvT2_20rocsparse_direction_NS_24const_host_device_scalarIT0_EES3_PKS3_PKT1_SC_S9_PKT3_PKT4_S7_PT5_21rocsparse_index_base_b.kd
    .uniform_work_group_size: 1
    .uses_dynamic_stack: false
    .vgpr_count:     22
    .vgpr_spill_count: 0
    .wavefront_size: 64
  - .args:
      - .offset:         0
        .size:           4
        .value_kind:     by_value
      - .offset:         4
        .size:           4
        .value_kind:     by_value
      - .offset:         8
        .size:           8
        .value_kind:     by_value
      - .offset:         16
        .size:           4
        .value_kind:     by_value
      - .actual_access:  read_only
        .address_space:  global
        .offset:         24
        .size:           8
        .value_kind:     global_buffer
      - .actual_access:  read_only
        .address_space:  global
        .offset:         32
        .size:           8
        .value_kind:     global_buffer
      - .actual_access:  read_only
        .address_space:  global
        .offset:         40
        .size:           8
        .value_kind:     global_buffer
      - .actual_access:  read_only
        .address_space:  global
        .offset:         48
        .size:           8
        .value_kind:     global_buffer
      - .actual_access:  read_only
        .address_space:  global
        .offset:         56
        .size:           8
        .value_kind:     global_buffer
      - .actual_access:  read_only
        .address_space:  global
        .offset:         64
        .size:           8
        .value_kind:     global_buffer
      - .offset:         72
        .size:           8
        .value_kind:     by_value
      - .address_space:  global
        .offset:         80
        .size:           8
        .value_kind:     global_buffer
      - .offset:         88
        .size:           4
        .value_kind:     by_value
      - .offset:         92
        .size:           1
        .value_kind:     by_value
    .group_segment_fixed_size: 4608
    .kernarg_segment_align: 8
    .kernarg_segment_size: 96
    .language:       OpenCL C
    .language_version:
      - 2
      - 0
    .max_flat_workgroup_size: 576
    .name:           _ZN9rocsparseL20bsrxmvn_17_32_kernelILj24E21rocsparse_complex_numIfEliS2_S2_S2_EEvT2_20rocsparse_direction_NS_24const_host_device_scalarIT0_EES3_PKS3_PKT1_SC_S9_PKT3_PKT4_S7_PT5_21rocsparse_index_base_b
    .private_segment_fixed_size: 0
    .sgpr_count:     26
    .sgpr_spill_count: 0
    .symbol:         _ZN9rocsparseL20bsrxmvn_17_32_kernelILj24E21rocsparse_complex_numIfEliS2_S2_S2_EEvT2_20rocsparse_direction_NS_24const_host_device_scalarIT0_EES3_PKS3_PKT1_SC_S9_PKT3_PKT4_S7_PT5_21rocsparse_index_base_b.kd
    .uniform_work_group_size: 1
    .uses_dynamic_stack: false
    .vgpr_count:     22
    .vgpr_spill_count: 0
    .wavefront_size: 64
  - .args:
      - .offset:         0
        .size:           4
        .value_kind:     by_value
      - .offset:         4
        .size:           4
        .value_kind:     by_value
      - .offset:         8
        .size:           8
        .value_kind:     by_value
      - .offset:         16
        .size:           4
        .value_kind:     by_value
      - .actual_access:  read_only
        .address_space:  global
        .offset:         24
        .size:           8
        .value_kind:     global_buffer
      - .actual_access:  read_only
        .address_space:  global
        .offset:         32
        .size:           8
        .value_kind:     global_buffer
      - .actual_access:  read_only
        .address_space:  global
        .offset:         40
        .size:           8
        .value_kind:     global_buffer
      - .actual_access:  read_only
        .address_space:  global
        .offset:         48
        .size:           8
        .value_kind:     global_buffer
      - .actual_access:  read_only
        .address_space:  global
        .offset:         56
        .size:           8
        .value_kind:     global_buffer
      - .actual_access:  read_only
        .address_space:  global
        .offset:         64
        .size:           8
        .value_kind:     global_buffer
      - .offset:         72
        .size:           8
        .value_kind:     by_value
      - .address_space:  global
        .offset:         80
        .size:           8
        .value_kind:     global_buffer
      - .offset:         88
        .size:           4
        .value_kind:     by_value
      - .offset:         92
        .size:           1
        .value_kind:     by_value
    .group_segment_fixed_size: 5000
    .kernarg_segment_align: 8
    .kernarg_segment_size: 96
    .language:       OpenCL C
    .language_version:
      - 2
      - 0
    .max_flat_workgroup_size: 625
    .name:           _ZN9rocsparseL20bsrxmvn_17_32_kernelILj25E21rocsparse_complex_numIfEliS2_S2_S2_EEvT2_20rocsparse_direction_NS_24const_host_device_scalarIT0_EES3_PKS3_PKT1_SC_S9_PKT3_PKT4_S7_PT5_21rocsparse_index_base_b
    .private_segment_fixed_size: 0
    .sgpr_count:     26
    .sgpr_spill_count: 0
    .symbol:         _ZN9rocsparseL20bsrxmvn_17_32_kernelILj25E21rocsparse_complex_numIfEliS2_S2_S2_EEvT2_20rocsparse_direction_NS_24const_host_device_scalarIT0_EES3_PKS3_PKT1_SC_S9_PKT3_PKT4_S7_PT5_21rocsparse_index_base_b.kd
    .uniform_work_group_size: 1
    .uses_dynamic_stack: false
    .vgpr_count:     22
    .vgpr_spill_count: 0
    .wavefront_size: 64
  - .args:
      - .offset:         0
        .size:           4
        .value_kind:     by_value
      - .offset:         4
        .size:           4
        .value_kind:     by_value
      - .offset:         8
        .size:           8
        .value_kind:     by_value
      - .offset:         16
        .size:           4
        .value_kind:     by_value
      - .actual_access:  read_only
        .address_space:  global
        .offset:         24
        .size:           8
        .value_kind:     global_buffer
      - .actual_access:  read_only
        .address_space:  global
        .offset:         32
        .size:           8
        .value_kind:     global_buffer
      - .actual_access:  read_only
        .address_space:  global
        .offset:         40
        .size:           8
        .value_kind:     global_buffer
      - .actual_access:  read_only
        .address_space:  global
        .offset:         48
        .size:           8
        .value_kind:     global_buffer
      - .actual_access:  read_only
        .address_space:  global
        .offset:         56
        .size:           8
        .value_kind:     global_buffer
      - .actual_access:  read_only
        .address_space:  global
        .offset:         64
        .size:           8
        .value_kind:     global_buffer
      - .offset:         72
        .size:           8
        .value_kind:     by_value
      - .address_space:  global
        .offset:         80
        .size:           8
        .value_kind:     global_buffer
      - .offset:         88
        .size:           4
        .value_kind:     by_value
      - .offset:         92
        .size:           1
        .value_kind:     by_value
    .group_segment_fixed_size: 5408
    .kernarg_segment_align: 8
    .kernarg_segment_size: 96
    .language:       OpenCL C
    .language_version:
      - 2
      - 0
    .max_flat_workgroup_size: 676
    .name:           _ZN9rocsparseL20bsrxmvn_17_32_kernelILj26E21rocsparse_complex_numIfEliS2_S2_S2_EEvT2_20rocsparse_direction_NS_24const_host_device_scalarIT0_EES3_PKS3_PKT1_SC_S9_PKT3_PKT4_S7_PT5_21rocsparse_index_base_b
    .private_segment_fixed_size: 0
    .sgpr_count:     26
    .sgpr_spill_count: 0
    .symbol:         _ZN9rocsparseL20bsrxmvn_17_32_kernelILj26E21rocsparse_complex_numIfEliS2_S2_S2_EEvT2_20rocsparse_direction_NS_24const_host_device_scalarIT0_EES3_PKS3_PKT1_SC_S9_PKT3_PKT4_S7_PT5_21rocsparse_index_base_b.kd
    .uniform_work_group_size: 1
    .uses_dynamic_stack: false
    .vgpr_count:     22
    .vgpr_spill_count: 0
    .wavefront_size: 64
  - .args:
      - .offset:         0
        .size:           4
        .value_kind:     by_value
      - .offset:         4
        .size:           4
        .value_kind:     by_value
      - .offset:         8
        .size:           8
        .value_kind:     by_value
      - .offset:         16
        .size:           4
        .value_kind:     by_value
      - .actual_access:  read_only
        .address_space:  global
        .offset:         24
        .size:           8
        .value_kind:     global_buffer
      - .actual_access:  read_only
        .address_space:  global
        .offset:         32
        .size:           8
        .value_kind:     global_buffer
      - .actual_access:  read_only
        .address_space:  global
        .offset:         40
        .size:           8
        .value_kind:     global_buffer
      - .actual_access:  read_only
        .address_space:  global
        .offset:         48
        .size:           8
        .value_kind:     global_buffer
      - .actual_access:  read_only
        .address_space:  global
        .offset:         56
        .size:           8
        .value_kind:     global_buffer
      - .actual_access:  read_only
        .address_space:  global
        .offset:         64
        .size:           8
        .value_kind:     global_buffer
      - .offset:         72
        .size:           8
        .value_kind:     by_value
      - .address_space:  global
        .offset:         80
        .size:           8
        .value_kind:     global_buffer
      - .offset:         88
        .size:           4
        .value_kind:     by_value
      - .offset:         92
        .size:           1
        .value_kind:     by_value
    .group_segment_fixed_size: 5832
    .kernarg_segment_align: 8
    .kernarg_segment_size: 96
    .language:       OpenCL C
    .language_version:
      - 2
      - 0
    .max_flat_workgroup_size: 729
    .name:           _ZN9rocsparseL20bsrxmvn_17_32_kernelILj27E21rocsparse_complex_numIfEliS2_S2_S2_EEvT2_20rocsparse_direction_NS_24const_host_device_scalarIT0_EES3_PKS3_PKT1_SC_S9_PKT3_PKT4_S7_PT5_21rocsparse_index_base_b
    .private_segment_fixed_size: 0
    .sgpr_count:     26
    .sgpr_spill_count: 0
    .symbol:         _ZN9rocsparseL20bsrxmvn_17_32_kernelILj27E21rocsparse_complex_numIfEliS2_S2_S2_EEvT2_20rocsparse_direction_NS_24const_host_device_scalarIT0_EES3_PKS3_PKT1_SC_S9_PKT3_PKT4_S7_PT5_21rocsparse_index_base_b.kd
    .uniform_work_group_size: 1
    .uses_dynamic_stack: false
    .vgpr_count:     22
    .vgpr_spill_count: 0
    .wavefront_size: 64
  - .args:
      - .offset:         0
        .size:           4
        .value_kind:     by_value
      - .offset:         4
        .size:           4
        .value_kind:     by_value
      - .offset:         8
        .size:           8
        .value_kind:     by_value
      - .offset:         16
        .size:           4
        .value_kind:     by_value
      - .actual_access:  read_only
        .address_space:  global
        .offset:         24
        .size:           8
        .value_kind:     global_buffer
      - .actual_access:  read_only
        .address_space:  global
        .offset:         32
        .size:           8
        .value_kind:     global_buffer
      - .actual_access:  read_only
        .address_space:  global
        .offset:         40
        .size:           8
        .value_kind:     global_buffer
      - .actual_access:  read_only
        .address_space:  global
        .offset:         48
        .size:           8
        .value_kind:     global_buffer
      - .actual_access:  read_only
        .address_space:  global
        .offset:         56
        .size:           8
        .value_kind:     global_buffer
      - .actual_access:  read_only
        .address_space:  global
        .offset:         64
        .size:           8
        .value_kind:     global_buffer
      - .offset:         72
        .size:           8
        .value_kind:     by_value
      - .address_space:  global
        .offset:         80
        .size:           8
        .value_kind:     global_buffer
      - .offset:         88
        .size:           4
        .value_kind:     by_value
      - .offset:         92
        .size:           1
        .value_kind:     by_value
    .group_segment_fixed_size: 6272
    .kernarg_segment_align: 8
    .kernarg_segment_size: 96
    .language:       OpenCL C
    .language_version:
      - 2
      - 0
    .max_flat_workgroup_size: 784
    .name:           _ZN9rocsparseL20bsrxmvn_17_32_kernelILj28E21rocsparse_complex_numIfEliS2_S2_S2_EEvT2_20rocsparse_direction_NS_24const_host_device_scalarIT0_EES3_PKS3_PKT1_SC_S9_PKT3_PKT4_S7_PT5_21rocsparse_index_base_b
    .private_segment_fixed_size: 0
    .sgpr_count:     26
    .sgpr_spill_count: 0
    .symbol:         _ZN9rocsparseL20bsrxmvn_17_32_kernelILj28E21rocsparse_complex_numIfEliS2_S2_S2_EEvT2_20rocsparse_direction_NS_24const_host_device_scalarIT0_EES3_PKS3_PKT1_SC_S9_PKT3_PKT4_S7_PT5_21rocsparse_index_base_b.kd
    .uniform_work_group_size: 1
    .uses_dynamic_stack: false
    .vgpr_count:     22
    .vgpr_spill_count: 0
    .wavefront_size: 64
  - .args:
      - .offset:         0
        .size:           4
        .value_kind:     by_value
      - .offset:         4
        .size:           4
        .value_kind:     by_value
      - .offset:         8
        .size:           8
        .value_kind:     by_value
      - .offset:         16
        .size:           4
        .value_kind:     by_value
      - .actual_access:  read_only
        .address_space:  global
        .offset:         24
        .size:           8
        .value_kind:     global_buffer
      - .actual_access:  read_only
        .address_space:  global
        .offset:         32
        .size:           8
        .value_kind:     global_buffer
      - .actual_access:  read_only
        .address_space:  global
        .offset:         40
        .size:           8
        .value_kind:     global_buffer
      - .actual_access:  read_only
        .address_space:  global
        .offset:         48
        .size:           8
        .value_kind:     global_buffer
      - .actual_access:  read_only
        .address_space:  global
        .offset:         56
        .size:           8
        .value_kind:     global_buffer
      - .actual_access:  read_only
        .address_space:  global
        .offset:         64
        .size:           8
        .value_kind:     global_buffer
      - .offset:         72
        .size:           8
        .value_kind:     by_value
      - .address_space:  global
        .offset:         80
        .size:           8
        .value_kind:     global_buffer
      - .offset:         88
        .size:           4
        .value_kind:     by_value
      - .offset:         92
        .size:           1
        .value_kind:     by_value
    .group_segment_fixed_size: 6728
    .kernarg_segment_align: 8
    .kernarg_segment_size: 96
    .language:       OpenCL C
    .language_version:
      - 2
      - 0
    .max_flat_workgroup_size: 841
    .name:           _ZN9rocsparseL20bsrxmvn_17_32_kernelILj29E21rocsparse_complex_numIfEliS2_S2_S2_EEvT2_20rocsparse_direction_NS_24const_host_device_scalarIT0_EES3_PKS3_PKT1_SC_S9_PKT3_PKT4_S7_PT5_21rocsparse_index_base_b
    .private_segment_fixed_size: 0
    .sgpr_count:     26
    .sgpr_spill_count: 0
    .symbol:         _ZN9rocsparseL20bsrxmvn_17_32_kernelILj29E21rocsparse_complex_numIfEliS2_S2_S2_EEvT2_20rocsparse_direction_NS_24const_host_device_scalarIT0_EES3_PKS3_PKT1_SC_S9_PKT3_PKT4_S7_PT5_21rocsparse_index_base_b.kd
    .uniform_work_group_size: 1
    .uses_dynamic_stack: false
    .vgpr_count:     22
    .vgpr_spill_count: 0
    .wavefront_size: 64
  - .args:
      - .offset:         0
        .size:           4
        .value_kind:     by_value
      - .offset:         4
        .size:           4
        .value_kind:     by_value
      - .offset:         8
        .size:           8
        .value_kind:     by_value
      - .offset:         16
        .size:           4
        .value_kind:     by_value
      - .actual_access:  read_only
        .address_space:  global
        .offset:         24
        .size:           8
        .value_kind:     global_buffer
      - .actual_access:  read_only
        .address_space:  global
        .offset:         32
        .size:           8
        .value_kind:     global_buffer
      - .actual_access:  read_only
        .address_space:  global
        .offset:         40
        .size:           8
        .value_kind:     global_buffer
      - .actual_access:  read_only
        .address_space:  global
        .offset:         48
        .size:           8
        .value_kind:     global_buffer
      - .actual_access:  read_only
        .address_space:  global
        .offset:         56
        .size:           8
        .value_kind:     global_buffer
      - .actual_access:  read_only
        .address_space:  global
        .offset:         64
        .size:           8
        .value_kind:     global_buffer
      - .offset:         72
        .size:           8
        .value_kind:     by_value
      - .address_space:  global
        .offset:         80
        .size:           8
        .value_kind:     global_buffer
      - .offset:         88
        .size:           4
        .value_kind:     by_value
      - .offset:         92
        .size:           1
        .value_kind:     by_value
    .group_segment_fixed_size: 7200
    .kernarg_segment_align: 8
    .kernarg_segment_size: 96
    .language:       OpenCL C
    .language_version:
      - 2
      - 0
    .max_flat_workgroup_size: 900
    .name:           _ZN9rocsparseL20bsrxmvn_17_32_kernelILj30E21rocsparse_complex_numIfEliS2_S2_S2_EEvT2_20rocsparse_direction_NS_24const_host_device_scalarIT0_EES3_PKS3_PKT1_SC_S9_PKT3_PKT4_S7_PT5_21rocsparse_index_base_b
    .private_segment_fixed_size: 0
    .sgpr_count:     26
    .sgpr_spill_count: 0
    .symbol:         _ZN9rocsparseL20bsrxmvn_17_32_kernelILj30E21rocsparse_complex_numIfEliS2_S2_S2_EEvT2_20rocsparse_direction_NS_24const_host_device_scalarIT0_EES3_PKS3_PKT1_SC_S9_PKT3_PKT4_S7_PT5_21rocsparse_index_base_b.kd
    .uniform_work_group_size: 1
    .uses_dynamic_stack: false
    .vgpr_count:     22
    .vgpr_spill_count: 0
    .wavefront_size: 64
  - .args:
      - .offset:         0
        .size:           4
        .value_kind:     by_value
      - .offset:         4
        .size:           4
        .value_kind:     by_value
      - .offset:         8
        .size:           8
        .value_kind:     by_value
      - .offset:         16
        .size:           4
        .value_kind:     by_value
      - .actual_access:  read_only
        .address_space:  global
        .offset:         24
        .size:           8
        .value_kind:     global_buffer
      - .actual_access:  read_only
        .address_space:  global
        .offset:         32
        .size:           8
        .value_kind:     global_buffer
      - .actual_access:  read_only
        .address_space:  global
        .offset:         40
        .size:           8
        .value_kind:     global_buffer
      - .actual_access:  read_only
        .address_space:  global
        .offset:         48
        .size:           8
        .value_kind:     global_buffer
      - .actual_access:  read_only
        .address_space:  global
        .offset:         56
        .size:           8
        .value_kind:     global_buffer
      - .actual_access:  read_only
        .address_space:  global
        .offset:         64
        .size:           8
        .value_kind:     global_buffer
      - .offset:         72
        .size:           8
        .value_kind:     by_value
      - .address_space:  global
        .offset:         80
        .size:           8
        .value_kind:     global_buffer
      - .offset:         88
        .size:           4
        .value_kind:     by_value
      - .offset:         92
        .size:           1
        .value_kind:     by_value
    .group_segment_fixed_size: 7688
    .kernarg_segment_align: 8
    .kernarg_segment_size: 96
    .language:       OpenCL C
    .language_version:
      - 2
      - 0
    .max_flat_workgroup_size: 961
    .name:           _ZN9rocsparseL20bsrxmvn_17_32_kernelILj31E21rocsparse_complex_numIfEliS2_S2_S2_EEvT2_20rocsparse_direction_NS_24const_host_device_scalarIT0_EES3_PKS3_PKT1_SC_S9_PKT3_PKT4_S7_PT5_21rocsparse_index_base_b
    .private_segment_fixed_size: 0
    .sgpr_count:     26
    .sgpr_spill_count: 0
    .symbol:         _ZN9rocsparseL20bsrxmvn_17_32_kernelILj31E21rocsparse_complex_numIfEliS2_S2_S2_EEvT2_20rocsparse_direction_NS_24const_host_device_scalarIT0_EES3_PKS3_PKT1_SC_S9_PKT3_PKT4_S7_PT5_21rocsparse_index_base_b.kd
    .uniform_work_group_size: 1
    .uses_dynamic_stack: false
    .vgpr_count:     22
    .vgpr_spill_count: 0
    .wavefront_size: 64
  - .args:
      - .offset:         0
        .size:           4
        .value_kind:     by_value
      - .offset:         4
        .size:           4
        .value_kind:     by_value
      - .offset:         8
        .size:           8
        .value_kind:     by_value
      - .offset:         16
        .size:           4
        .value_kind:     by_value
      - .actual_access:  read_only
        .address_space:  global
        .offset:         24
        .size:           8
        .value_kind:     global_buffer
      - .actual_access:  read_only
        .address_space:  global
        .offset:         32
        .size:           8
        .value_kind:     global_buffer
      - .actual_access:  read_only
        .address_space:  global
        .offset:         40
        .size:           8
        .value_kind:     global_buffer
      - .actual_access:  read_only
        .address_space:  global
        .offset:         48
        .size:           8
        .value_kind:     global_buffer
      - .actual_access:  read_only
        .address_space:  global
        .offset:         56
        .size:           8
        .value_kind:     global_buffer
      - .actual_access:  read_only
        .address_space:  global
        .offset:         64
        .size:           8
        .value_kind:     global_buffer
      - .offset:         72
        .size:           8
        .value_kind:     by_value
      - .address_space:  global
        .offset:         80
        .size:           8
        .value_kind:     global_buffer
      - .offset:         88
        .size:           4
        .value_kind:     by_value
      - .offset:         92
        .size:           1
        .value_kind:     by_value
    .group_segment_fixed_size: 8192
    .kernarg_segment_align: 8
    .kernarg_segment_size: 96
    .language:       OpenCL C
    .language_version:
      - 2
      - 0
    .max_flat_workgroup_size: 1024
    .name:           _ZN9rocsparseL20bsrxmvn_17_32_kernelILj32E21rocsparse_complex_numIfEliS2_S2_S2_EEvT2_20rocsparse_direction_NS_24const_host_device_scalarIT0_EES3_PKS3_PKT1_SC_S9_PKT3_PKT4_S7_PT5_21rocsparse_index_base_b
    .private_segment_fixed_size: 0
    .sgpr_count:     28
    .sgpr_spill_count: 0
    .symbol:         _ZN9rocsparseL20bsrxmvn_17_32_kernelILj32E21rocsparse_complex_numIfEliS2_S2_S2_EEvT2_20rocsparse_direction_NS_24const_host_device_scalarIT0_EES3_PKS3_PKT1_SC_S9_PKT3_PKT4_S7_PT5_21rocsparse_index_base_b.kd
    .uniform_work_group_size: 1
    .uses_dynamic_stack: false
    .vgpr_count:     19
    .vgpr_spill_count: 0
    .wavefront_size: 64
  - .args:
      - .offset:         0
        .size:           4
        .value_kind:     by_value
      - .offset:         4
        .size:           4
        .value_kind:     by_value
      - .offset:         8
        .size:           16
        .value_kind:     by_value
      - .offset:         24
        .size:           4
        .value_kind:     by_value
      - .actual_access:  read_only
        .address_space:  global
        .offset:         32
        .size:           8
        .value_kind:     global_buffer
      - .actual_access:  read_only
        .address_space:  global
        .offset:         40
        .size:           8
        .value_kind:     global_buffer
      - .actual_access:  read_only
        .address_space:  global
        .offset:         48
        .size:           8
        .value_kind:     global_buffer
      - .actual_access:  read_only
        .address_space:  global
        .offset:         56
        .size:           8
        .value_kind:     global_buffer
      - .actual_access:  read_only
        .address_space:  global
        .offset:         64
        .size:           8
        .value_kind:     global_buffer
      - .actual_access:  read_only
        .address_space:  global
        .offset:         72
        .size:           8
        .value_kind:     global_buffer
      - .offset:         80
        .size:           16
        .value_kind:     by_value
      - .address_space:  global
        .offset:         96
        .size:           8
        .value_kind:     global_buffer
      - .offset:         104
        .size:           4
        .value_kind:     by_value
      - .offset:         108
        .size:           1
        .value_kind:     by_value
    .group_segment_fixed_size: 4624
    .kernarg_segment_align: 8
    .kernarg_segment_size: 112
    .language:       OpenCL C
    .language_version:
      - 2
      - 0
    .max_flat_workgroup_size: 289
    .name:           _ZN9rocsparseL20bsrxmvn_17_32_kernelILj17E21rocsparse_complex_numIdEliS2_S2_S2_EEvT2_20rocsparse_direction_NS_24const_host_device_scalarIT0_EES3_PKS3_PKT1_SC_S9_PKT3_PKT4_S7_PT5_21rocsparse_index_base_b
    .private_segment_fixed_size: 0
    .sgpr_count:     28
    .sgpr_spill_count: 0
    .symbol:         _ZN9rocsparseL20bsrxmvn_17_32_kernelILj17E21rocsparse_complex_numIdEliS2_S2_S2_EEvT2_20rocsparse_direction_NS_24const_host_device_scalarIT0_EES3_PKS3_PKT1_SC_S9_PKT3_PKT4_S7_PT5_21rocsparse_index_base_b.kd
    .uniform_work_group_size: 1
    .uses_dynamic_stack: false
    .vgpr_count:     31
    .vgpr_spill_count: 0
    .wavefront_size: 64
  - .args:
      - .offset:         0
        .size:           4
        .value_kind:     by_value
      - .offset:         4
        .size:           4
        .value_kind:     by_value
      - .offset:         8
        .size:           16
        .value_kind:     by_value
      - .offset:         24
        .size:           4
        .value_kind:     by_value
      - .actual_access:  read_only
        .address_space:  global
        .offset:         32
        .size:           8
        .value_kind:     global_buffer
      - .actual_access:  read_only
        .address_space:  global
        .offset:         40
        .size:           8
        .value_kind:     global_buffer
      - .actual_access:  read_only
        .address_space:  global
        .offset:         48
        .size:           8
        .value_kind:     global_buffer
      - .actual_access:  read_only
        .address_space:  global
        .offset:         56
        .size:           8
        .value_kind:     global_buffer
      - .actual_access:  read_only
        .address_space:  global
        .offset:         64
        .size:           8
        .value_kind:     global_buffer
      - .actual_access:  read_only
        .address_space:  global
        .offset:         72
        .size:           8
        .value_kind:     global_buffer
      - .offset:         80
        .size:           16
        .value_kind:     by_value
      - .address_space:  global
        .offset:         96
        .size:           8
        .value_kind:     global_buffer
      - .offset:         104
        .size:           4
        .value_kind:     by_value
      - .offset:         108
        .size:           1
        .value_kind:     by_value
    .group_segment_fixed_size: 5184
    .kernarg_segment_align: 8
    .kernarg_segment_size: 112
    .language:       OpenCL C
    .language_version:
      - 2
      - 0
    .max_flat_workgroup_size: 324
    .name:           _ZN9rocsparseL20bsrxmvn_17_32_kernelILj18E21rocsparse_complex_numIdEliS2_S2_S2_EEvT2_20rocsparse_direction_NS_24const_host_device_scalarIT0_EES3_PKS3_PKT1_SC_S9_PKT3_PKT4_S7_PT5_21rocsparse_index_base_b
    .private_segment_fixed_size: 0
    .sgpr_count:     28
    .sgpr_spill_count: 0
    .symbol:         _ZN9rocsparseL20bsrxmvn_17_32_kernelILj18E21rocsparse_complex_numIdEliS2_S2_S2_EEvT2_20rocsparse_direction_NS_24const_host_device_scalarIT0_EES3_PKS3_PKT1_SC_S9_PKT3_PKT4_S7_PT5_21rocsparse_index_base_b.kd
    .uniform_work_group_size: 1
    .uses_dynamic_stack: false
    .vgpr_count:     31
    .vgpr_spill_count: 0
    .wavefront_size: 64
  - .args:
      - .offset:         0
        .size:           4
        .value_kind:     by_value
      - .offset:         4
        .size:           4
        .value_kind:     by_value
      - .offset:         8
        .size:           16
        .value_kind:     by_value
      - .offset:         24
        .size:           4
        .value_kind:     by_value
      - .actual_access:  read_only
        .address_space:  global
        .offset:         32
        .size:           8
        .value_kind:     global_buffer
      - .actual_access:  read_only
        .address_space:  global
        .offset:         40
        .size:           8
        .value_kind:     global_buffer
      - .actual_access:  read_only
        .address_space:  global
        .offset:         48
        .size:           8
        .value_kind:     global_buffer
      - .actual_access:  read_only
        .address_space:  global
        .offset:         56
        .size:           8
        .value_kind:     global_buffer
      - .actual_access:  read_only
        .address_space:  global
        .offset:         64
        .size:           8
        .value_kind:     global_buffer
      - .actual_access:  read_only
        .address_space:  global
        .offset:         72
        .size:           8
        .value_kind:     global_buffer
      - .offset:         80
        .size:           16
        .value_kind:     by_value
      - .address_space:  global
        .offset:         96
        .size:           8
        .value_kind:     global_buffer
      - .offset:         104
        .size:           4
        .value_kind:     by_value
      - .offset:         108
        .size:           1
        .value_kind:     by_value
    .group_segment_fixed_size: 5776
    .kernarg_segment_align: 8
    .kernarg_segment_size: 112
    .language:       OpenCL C
    .language_version:
      - 2
      - 0
    .max_flat_workgroup_size: 361
    .name:           _ZN9rocsparseL20bsrxmvn_17_32_kernelILj19E21rocsparse_complex_numIdEliS2_S2_S2_EEvT2_20rocsparse_direction_NS_24const_host_device_scalarIT0_EES3_PKS3_PKT1_SC_S9_PKT3_PKT4_S7_PT5_21rocsparse_index_base_b
    .private_segment_fixed_size: 0
    .sgpr_count:     28
    .sgpr_spill_count: 0
    .symbol:         _ZN9rocsparseL20bsrxmvn_17_32_kernelILj19E21rocsparse_complex_numIdEliS2_S2_S2_EEvT2_20rocsparse_direction_NS_24const_host_device_scalarIT0_EES3_PKS3_PKT1_SC_S9_PKT3_PKT4_S7_PT5_21rocsparse_index_base_b.kd
    .uniform_work_group_size: 1
    .uses_dynamic_stack: false
    .vgpr_count:     31
    .vgpr_spill_count: 0
    .wavefront_size: 64
  - .args:
      - .offset:         0
        .size:           4
        .value_kind:     by_value
      - .offset:         4
        .size:           4
        .value_kind:     by_value
      - .offset:         8
        .size:           16
        .value_kind:     by_value
      - .offset:         24
        .size:           4
        .value_kind:     by_value
      - .actual_access:  read_only
        .address_space:  global
        .offset:         32
        .size:           8
        .value_kind:     global_buffer
      - .actual_access:  read_only
        .address_space:  global
        .offset:         40
        .size:           8
        .value_kind:     global_buffer
      - .actual_access:  read_only
        .address_space:  global
        .offset:         48
        .size:           8
        .value_kind:     global_buffer
      - .actual_access:  read_only
        .address_space:  global
        .offset:         56
        .size:           8
        .value_kind:     global_buffer
      - .actual_access:  read_only
        .address_space:  global
        .offset:         64
        .size:           8
        .value_kind:     global_buffer
      - .actual_access:  read_only
        .address_space:  global
        .offset:         72
        .size:           8
        .value_kind:     global_buffer
      - .offset:         80
        .size:           16
        .value_kind:     by_value
      - .address_space:  global
        .offset:         96
        .size:           8
        .value_kind:     global_buffer
      - .offset:         104
        .size:           4
        .value_kind:     by_value
      - .offset:         108
        .size:           1
        .value_kind:     by_value
    .group_segment_fixed_size: 6400
    .kernarg_segment_align: 8
    .kernarg_segment_size: 112
    .language:       OpenCL C
    .language_version:
      - 2
      - 0
    .max_flat_workgroup_size: 400
    .name:           _ZN9rocsparseL20bsrxmvn_17_32_kernelILj20E21rocsparse_complex_numIdEliS2_S2_S2_EEvT2_20rocsparse_direction_NS_24const_host_device_scalarIT0_EES3_PKS3_PKT1_SC_S9_PKT3_PKT4_S7_PT5_21rocsparse_index_base_b
    .private_segment_fixed_size: 0
    .sgpr_count:     28
    .sgpr_spill_count: 0
    .symbol:         _ZN9rocsparseL20bsrxmvn_17_32_kernelILj20E21rocsparse_complex_numIdEliS2_S2_S2_EEvT2_20rocsparse_direction_NS_24const_host_device_scalarIT0_EES3_PKS3_PKT1_SC_S9_PKT3_PKT4_S7_PT5_21rocsparse_index_base_b.kd
    .uniform_work_group_size: 1
    .uses_dynamic_stack: false
    .vgpr_count:     31
    .vgpr_spill_count: 0
    .wavefront_size: 64
  - .args:
      - .offset:         0
        .size:           4
        .value_kind:     by_value
      - .offset:         4
        .size:           4
        .value_kind:     by_value
      - .offset:         8
        .size:           16
        .value_kind:     by_value
      - .offset:         24
        .size:           4
        .value_kind:     by_value
      - .actual_access:  read_only
        .address_space:  global
        .offset:         32
        .size:           8
        .value_kind:     global_buffer
      - .actual_access:  read_only
        .address_space:  global
        .offset:         40
        .size:           8
        .value_kind:     global_buffer
      - .actual_access:  read_only
        .address_space:  global
        .offset:         48
        .size:           8
        .value_kind:     global_buffer
      - .actual_access:  read_only
        .address_space:  global
        .offset:         56
        .size:           8
        .value_kind:     global_buffer
      - .actual_access:  read_only
        .address_space:  global
        .offset:         64
        .size:           8
        .value_kind:     global_buffer
      - .actual_access:  read_only
        .address_space:  global
        .offset:         72
        .size:           8
        .value_kind:     global_buffer
      - .offset:         80
        .size:           16
        .value_kind:     by_value
      - .address_space:  global
        .offset:         96
        .size:           8
        .value_kind:     global_buffer
      - .offset:         104
        .size:           4
        .value_kind:     by_value
      - .offset:         108
        .size:           1
        .value_kind:     by_value
    .group_segment_fixed_size: 7056
    .kernarg_segment_align: 8
    .kernarg_segment_size: 112
    .language:       OpenCL C
    .language_version:
      - 2
      - 0
    .max_flat_workgroup_size: 441
    .name:           _ZN9rocsparseL20bsrxmvn_17_32_kernelILj21E21rocsparse_complex_numIdEliS2_S2_S2_EEvT2_20rocsparse_direction_NS_24const_host_device_scalarIT0_EES3_PKS3_PKT1_SC_S9_PKT3_PKT4_S7_PT5_21rocsparse_index_base_b
    .private_segment_fixed_size: 0
    .sgpr_count:     28
    .sgpr_spill_count: 0
    .symbol:         _ZN9rocsparseL20bsrxmvn_17_32_kernelILj21E21rocsparse_complex_numIdEliS2_S2_S2_EEvT2_20rocsparse_direction_NS_24const_host_device_scalarIT0_EES3_PKS3_PKT1_SC_S9_PKT3_PKT4_S7_PT5_21rocsparse_index_base_b.kd
    .uniform_work_group_size: 1
    .uses_dynamic_stack: false
    .vgpr_count:     31
    .vgpr_spill_count: 0
    .wavefront_size: 64
  - .args:
      - .offset:         0
        .size:           4
        .value_kind:     by_value
      - .offset:         4
        .size:           4
        .value_kind:     by_value
      - .offset:         8
        .size:           16
        .value_kind:     by_value
      - .offset:         24
        .size:           4
        .value_kind:     by_value
      - .actual_access:  read_only
        .address_space:  global
        .offset:         32
        .size:           8
        .value_kind:     global_buffer
      - .actual_access:  read_only
        .address_space:  global
        .offset:         40
        .size:           8
        .value_kind:     global_buffer
      - .actual_access:  read_only
        .address_space:  global
        .offset:         48
        .size:           8
        .value_kind:     global_buffer
      - .actual_access:  read_only
        .address_space:  global
        .offset:         56
        .size:           8
        .value_kind:     global_buffer
      - .actual_access:  read_only
        .address_space:  global
        .offset:         64
        .size:           8
        .value_kind:     global_buffer
      - .actual_access:  read_only
        .address_space:  global
        .offset:         72
        .size:           8
        .value_kind:     global_buffer
      - .offset:         80
        .size:           16
        .value_kind:     by_value
      - .address_space:  global
        .offset:         96
        .size:           8
        .value_kind:     global_buffer
      - .offset:         104
        .size:           4
        .value_kind:     by_value
      - .offset:         108
        .size:           1
        .value_kind:     by_value
    .group_segment_fixed_size: 7744
    .kernarg_segment_align: 8
    .kernarg_segment_size: 112
    .language:       OpenCL C
    .language_version:
      - 2
      - 0
    .max_flat_workgroup_size: 484
    .name:           _ZN9rocsparseL20bsrxmvn_17_32_kernelILj22E21rocsparse_complex_numIdEliS2_S2_S2_EEvT2_20rocsparse_direction_NS_24const_host_device_scalarIT0_EES3_PKS3_PKT1_SC_S9_PKT3_PKT4_S7_PT5_21rocsparse_index_base_b
    .private_segment_fixed_size: 0
    .sgpr_count:     28
    .sgpr_spill_count: 0
    .symbol:         _ZN9rocsparseL20bsrxmvn_17_32_kernelILj22E21rocsparse_complex_numIdEliS2_S2_S2_EEvT2_20rocsparse_direction_NS_24const_host_device_scalarIT0_EES3_PKS3_PKT1_SC_S9_PKT3_PKT4_S7_PT5_21rocsparse_index_base_b.kd
    .uniform_work_group_size: 1
    .uses_dynamic_stack: false
    .vgpr_count:     31
    .vgpr_spill_count: 0
    .wavefront_size: 64
  - .args:
      - .offset:         0
        .size:           4
        .value_kind:     by_value
      - .offset:         4
        .size:           4
        .value_kind:     by_value
      - .offset:         8
        .size:           16
        .value_kind:     by_value
      - .offset:         24
        .size:           4
        .value_kind:     by_value
      - .actual_access:  read_only
        .address_space:  global
        .offset:         32
        .size:           8
        .value_kind:     global_buffer
      - .actual_access:  read_only
        .address_space:  global
        .offset:         40
        .size:           8
        .value_kind:     global_buffer
      - .actual_access:  read_only
        .address_space:  global
        .offset:         48
        .size:           8
        .value_kind:     global_buffer
      - .actual_access:  read_only
        .address_space:  global
        .offset:         56
        .size:           8
        .value_kind:     global_buffer
      - .actual_access:  read_only
        .address_space:  global
        .offset:         64
        .size:           8
        .value_kind:     global_buffer
      - .actual_access:  read_only
        .address_space:  global
        .offset:         72
        .size:           8
        .value_kind:     global_buffer
      - .offset:         80
        .size:           16
        .value_kind:     by_value
      - .address_space:  global
        .offset:         96
        .size:           8
        .value_kind:     global_buffer
      - .offset:         104
        .size:           4
        .value_kind:     by_value
      - .offset:         108
        .size:           1
        .value_kind:     by_value
    .group_segment_fixed_size: 8464
    .kernarg_segment_align: 8
    .kernarg_segment_size: 112
    .language:       OpenCL C
    .language_version:
      - 2
      - 0
    .max_flat_workgroup_size: 529
    .name:           _ZN9rocsparseL20bsrxmvn_17_32_kernelILj23E21rocsparse_complex_numIdEliS2_S2_S2_EEvT2_20rocsparse_direction_NS_24const_host_device_scalarIT0_EES3_PKS3_PKT1_SC_S9_PKT3_PKT4_S7_PT5_21rocsparse_index_base_b
    .private_segment_fixed_size: 0
    .sgpr_count:     26
    .sgpr_spill_count: 0
    .symbol:         _ZN9rocsparseL20bsrxmvn_17_32_kernelILj23E21rocsparse_complex_numIdEliS2_S2_S2_EEvT2_20rocsparse_direction_NS_24const_host_device_scalarIT0_EES3_PKS3_PKT1_SC_S9_PKT3_PKT4_S7_PT5_21rocsparse_index_base_b.kd
    .uniform_work_group_size: 1
    .uses_dynamic_stack: false
    .vgpr_count:     31
    .vgpr_spill_count: 0
    .wavefront_size: 64
  - .args:
      - .offset:         0
        .size:           4
        .value_kind:     by_value
      - .offset:         4
        .size:           4
        .value_kind:     by_value
      - .offset:         8
        .size:           16
        .value_kind:     by_value
      - .offset:         24
        .size:           4
        .value_kind:     by_value
      - .actual_access:  read_only
        .address_space:  global
        .offset:         32
        .size:           8
        .value_kind:     global_buffer
      - .actual_access:  read_only
        .address_space:  global
        .offset:         40
        .size:           8
        .value_kind:     global_buffer
      - .actual_access:  read_only
        .address_space:  global
        .offset:         48
        .size:           8
        .value_kind:     global_buffer
      - .actual_access:  read_only
        .address_space:  global
        .offset:         56
        .size:           8
        .value_kind:     global_buffer
      - .actual_access:  read_only
        .address_space:  global
        .offset:         64
        .size:           8
        .value_kind:     global_buffer
      - .actual_access:  read_only
        .address_space:  global
        .offset:         72
        .size:           8
        .value_kind:     global_buffer
      - .offset:         80
        .size:           16
        .value_kind:     by_value
      - .address_space:  global
        .offset:         96
        .size:           8
        .value_kind:     global_buffer
      - .offset:         104
        .size:           4
        .value_kind:     by_value
      - .offset:         108
        .size:           1
        .value_kind:     by_value
    .group_segment_fixed_size: 9216
    .kernarg_segment_align: 8
    .kernarg_segment_size: 112
    .language:       OpenCL C
    .language_version:
      - 2
      - 0
    .max_flat_workgroup_size: 576
    .name:           _ZN9rocsparseL20bsrxmvn_17_32_kernelILj24E21rocsparse_complex_numIdEliS2_S2_S2_EEvT2_20rocsparse_direction_NS_24const_host_device_scalarIT0_EES3_PKS3_PKT1_SC_S9_PKT3_PKT4_S7_PT5_21rocsparse_index_base_b
    .private_segment_fixed_size: 0
    .sgpr_count:     26
    .sgpr_spill_count: 0
    .symbol:         _ZN9rocsparseL20bsrxmvn_17_32_kernelILj24E21rocsparse_complex_numIdEliS2_S2_S2_EEvT2_20rocsparse_direction_NS_24const_host_device_scalarIT0_EES3_PKS3_PKT1_SC_S9_PKT3_PKT4_S7_PT5_21rocsparse_index_base_b.kd
    .uniform_work_group_size: 1
    .uses_dynamic_stack: false
    .vgpr_count:     31
    .vgpr_spill_count: 0
    .wavefront_size: 64
  - .args:
      - .offset:         0
        .size:           4
        .value_kind:     by_value
      - .offset:         4
        .size:           4
        .value_kind:     by_value
      - .offset:         8
        .size:           16
        .value_kind:     by_value
      - .offset:         24
        .size:           4
        .value_kind:     by_value
      - .actual_access:  read_only
        .address_space:  global
        .offset:         32
        .size:           8
        .value_kind:     global_buffer
      - .actual_access:  read_only
        .address_space:  global
        .offset:         40
        .size:           8
        .value_kind:     global_buffer
      - .actual_access:  read_only
        .address_space:  global
        .offset:         48
        .size:           8
        .value_kind:     global_buffer
      - .actual_access:  read_only
        .address_space:  global
        .offset:         56
        .size:           8
        .value_kind:     global_buffer
      - .actual_access:  read_only
        .address_space:  global
        .offset:         64
        .size:           8
        .value_kind:     global_buffer
      - .actual_access:  read_only
        .address_space:  global
        .offset:         72
        .size:           8
        .value_kind:     global_buffer
      - .offset:         80
        .size:           16
        .value_kind:     by_value
      - .address_space:  global
        .offset:         96
        .size:           8
        .value_kind:     global_buffer
      - .offset:         104
        .size:           4
        .value_kind:     by_value
      - .offset:         108
        .size:           1
        .value_kind:     by_value
    .group_segment_fixed_size: 10000
    .kernarg_segment_align: 8
    .kernarg_segment_size: 112
    .language:       OpenCL C
    .language_version:
      - 2
      - 0
    .max_flat_workgroup_size: 625
    .name:           _ZN9rocsparseL20bsrxmvn_17_32_kernelILj25E21rocsparse_complex_numIdEliS2_S2_S2_EEvT2_20rocsparse_direction_NS_24const_host_device_scalarIT0_EES3_PKS3_PKT1_SC_S9_PKT3_PKT4_S7_PT5_21rocsparse_index_base_b
    .private_segment_fixed_size: 0
    .sgpr_count:     26
    .sgpr_spill_count: 0
    .symbol:         _ZN9rocsparseL20bsrxmvn_17_32_kernelILj25E21rocsparse_complex_numIdEliS2_S2_S2_EEvT2_20rocsparse_direction_NS_24const_host_device_scalarIT0_EES3_PKS3_PKT1_SC_S9_PKT3_PKT4_S7_PT5_21rocsparse_index_base_b.kd
    .uniform_work_group_size: 1
    .uses_dynamic_stack: false
    .vgpr_count:     31
    .vgpr_spill_count: 0
    .wavefront_size: 64
  - .args:
      - .offset:         0
        .size:           4
        .value_kind:     by_value
      - .offset:         4
        .size:           4
        .value_kind:     by_value
      - .offset:         8
        .size:           16
        .value_kind:     by_value
      - .offset:         24
        .size:           4
        .value_kind:     by_value
      - .actual_access:  read_only
        .address_space:  global
        .offset:         32
        .size:           8
        .value_kind:     global_buffer
      - .actual_access:  read_only
        .address_space:  global
        .offset:         40
        .size:           8
        .value_kind:     global_buffer
      - .actual_access:  read_only
        .address_space:  global
        .offset:         48
        .size:           8
        .value_kind:     global_buffer
      - .actual_access:  read_only
        .address_space:  global
        .offset:         56
        .size:           8
        .value_kind:     global_buffer
      - .actual_access:  read_only
        .address_space:  global
        .offset:         64
        .size:           8
        .value_kind:     global_buffer
      - .actual_access:  read_only
        .address_space:  global
        .offset:         72
        .size:           8
        .value_kind:     global_buffer
      - .offset:         80
        .size:           16
        .value_kind:     by_value
      - .address_space:  global
        .offset:         96
        .size:           8
        .value_kind:     global_buffer
      - .offset:         104
        .size:           4
        .value_kind:     by_value
      - .offset:         108
        .size:           1
        .value_kind:     by_value
    .group_segment_fixed_size: 10816
    .kernarg_segment_align: 8
    .kernarg_segment_size: 112
    .language:       OpenCL C
    .language_version:
      - 2
      - 0
    .max_flat_workgroup_size: 676
    .name:           _ZN9rocsparseL20bsrxmvn_17_32_kernelILj26E21rocsparse_complex_numIdEliS2_S2_S2_EEvT2_20rocsparse_direction_NS_24const_host_device_scalarIT0_EES3_PKS3_PKT1_SC_S9_PKT3_PKT4_S7_PT5_21rocsparse_index_base_b
    .private_segment_fixed_size: 0
    .sgpr_count:     26
    .sgpr_spill_count: 0
    .symbol:         _ZN9rocsparseL20bsrxmvn_17_32_kernelILj26E21rocsparse_complex_numIdEliS2_S2_S2_EEvT2_20rocsparse_direction_NS_24const_host_device_scalarIT0_EES3_PKS3_PKT1_SC_S9_PKT3_PKT4_S7_PT5_21rocsparse_index_base_b.kd
    .uniform_work_group_size: 1
    .uses_dynamic_stack: false
    .vgpr_count:     31
    .vgpr_spill_count: 0
    .wavefront_size: 64
  - .args:
      - .offset:         0
        .size:           4
        .value_kind:     by_value
      - .offset:         4
        .size:           4
        .value_kind:     by_value
      - .offset:         8
        .size:           16
        .value_kind:     by_value
      - .offset:         24
        .size:           4
        .value_kind:     by_value
      - .actual_access:  read_only
        .address_space:  global
        .offset:         32
        .size:           8
        .value_kind:     global_buffer
      - .actual_access:  read_only
        .address_space:  global
        .offset:         40
        .size:           8
        .value_kind:     global_buffer
      - .actual_access:  read_only
        .address_space:  global
        .offset:         48
        .size:           8
        .value_kind:     global_buffer
      - .actual_access:  read_only
        .address_space:  global
        .offset:         56
        .size:           8
        .value_kind:     global_buffer
      - .actual_access:  read_only
        .address_space:  global
        .offset:         64
        .size:           8
        .value_kind:     global_buffer
      - .actual_access:  read_only
        .address_space:  global
        .offset:         72
        .size:           8
        .value_kind:     global_buffer
      - .offset:         80
        .size:           16
        .value_kind:     by_value
      - .address_space:  global
        .offset:         96
        .size:           8
        .value_kind:     global_buffer
      - .offset:         104
        .size:           4
        .value_kind:     by_value
      - .offset:         108
        .size:           1
        .value_kind:     by_value
    .group_segment_fixed_size: 11664
    .kernarg_segment_align: 8
    .kernarg_segment_size: 112
    .language:       OpenCL C
    .language_version:
      - 2
      - 0
    .max_flat_workgroup_size: 729
    .name:           _ZN9rocsparseL20bsrxmvn_17_32_kernelILj27E21rocsparse_complex_numIdEliS2_S2_S2_EEvT2_20rocsparse_direction_NS_24const_host_device_scalarIT0_EES3_PKS3_PKT1_SC_S9_PKT3_PKT4_S7_PT5_21rocsparse_index_base_b
    .private_segment_fixed_size: 0
    .sgpr_count:     26
    .sgpr_spill_count: 0
    .symbol:         _ZN9rocsparseL20bsrxmvn_17_32_kernelILj27E21rocsparse_complex_numIdEliS2_S2_S2_EEvT2_20rocsparse_direction_NS_24const_host_device_scalarIT0_EES3_PKS3_PKT1_SC_S9_PKT3_PKT4_S7_PT5_21rocsparse_index_base_b.kd
    .uniform_work_group_size: 1
    .uses_dynamic_stack: false
    .vgpr_count:     31
    .vgpr_spill_count: 0
    .wavefront_size: 64
  - .args:
      - .offset:         0
        .size:           4
        .value_kind:     by_value
      - .offset:         4
        .size:           4
        .value_kind:     by_value
      - .offset:         8
        .size:           16
        .value_kind:     by_value
      - .offset:         24
        .size:           4
        .value_kind:     by_value
      - .actual_access:  read_only
        .address_space:  global
        .offset:         32
        .size:           8
        .value_kind:     global_buffer
      - .actual_access:  read_only
        .address_space:  global
        .offset:         40
        .size:           8
        .value_kind:     global_buffer
      - .actual_access:  read_only
        .address_space:  global
        .offset:         48
        .size:           8
        .value_kind:     global_buffer
      - .actual_access:  read_only
        .address_space:  global
        .offset:         56
        .size:           8
        .value_kind:     global_buffer
      - .actual_access:  read_only
        .address_space:  global
        .offset:         64
        .size:           8
        .value_kind:     global_buffer
      - .actual_access:  read_only
        .address_space:  global
        .offset:         72
        .size:           8
        .value_kind:     global_buffer
      - .offset:         80
        .size:           16
        .value_kind:     by_value
      - .address_space:  global
        .offset:         96
        .size:           8
        .value_kind:     global_buffer
      - .offset:         104
        .size:           4
        .value_kind:     by_value
      - .offset:         108
        .size:           1
        .value_kind:     by_value
    .group_segment_fixed_size: 12544
    .kernarg_segment_align: 8
    .kernarg_segment_size: 112
    .language:       OpenCL C
    .language_version:
      - 2
      - 0
    .max_flat_workgroup_size: 784
    .name:           _ZN9rocsparseL20bsrxmvn_17_32_kernelILj28E21rocsparse_complex_numIdEliS2_S2_S2_EEvT2_20rocsparse_direction_NS_24const_host_device_scalarIT0_EES3_PKS3_PKT1_SC_S9_PKT3_PKT4_S7_PT5_21rocsparse_index_base_b
    .private_segment_fixed_size: 0
    .sgpr_count:     26
    .sgpr_spill_count: 0
    .symbol:         _ZN9rocsparseL20bsrxmvn_17_32_kernelILj28E21rocsparse_complex_numIdEliS2_S2_S2_EEvT2_20rocsparse_direction_NS_24const_host_device_scalarIT0_EES3_PKS3_PKT1_SC_S9_PKT3_PKT4_S7_PT5_21rocsparse_index_base_b.kd
    .uniform_work_group_size: 1
    .uses_dynamic_stack: false
    .vgpr_count:     31
    .vgpr_spill_count: 0
    .wavefront_size: 64
  - .args:
      - .offset:         0
        .size:           4
        .value_kind:     by_value
      - .offset:         4
        .size:           4
        .value_kind:     by_value
      - .offset:         8
        .size:           16
        .value_kind:     by_value
      - .offset:         24
        .size:           4
        .value_kind:     by_value
      - .actual_access:  read_only
        .address_space:  global
        .offset:         32
        .size:           8
        .value_kind:     global_buffer
      - .actual_access:  read_only
        .address_space:  global
        .offset:         40
        .size:           8
        .value_kind:     global_buffer
      - .actual_access:  read_only
        .address_space:  global
        .offset:         48
        .size:           8
        .value_kind:     global_buffer
      - .actual_access:  read_only
        .address_space:  global
        .offset:         56
        .size:           8
        .value_kind:     global_buffer
      - .actual_access:  read_only
        .address_space:  global
        .offset:         64
        .size:           8
        .value_kind:     global_buffer
      - .actual_access:  read_only
        .address_space:  global
        .offset:         72
        .size:           8
        .value_kind:     global_buffer
      - .offset:         80
        .size:           16
        .value_kind:     by_value
      - .address_space:  global
        .offset:         96
        .size:           8
        .value_kind:     global_buffer
      - .offset:         104
        .size:           4
        .value_kind:     by_value
      - .offset:         108
        .size:           1
        .value_kind:     by_value
    .group_segment_fixed_size: 13456
    .kernarg_segment_align: 8
    .kernarg_segment_size: 112
    .language:       OpenCL C
    .language_version:
      - 2
      - 0
    .max_flat_workgroup_size: 841
    .name:           _ZN9rocsparseL20bsrxmvn_17_32_kernelILj29E21rocsparse_complex_numIdEliS2_S2_S2_EEvT2_20rocsparse_direction_NS_24const_host_device_scalarIT0_EES3_PKS3_PKT1_SC_S9_PKT3_PKT4_S7_PT5_21rocsparse_index_base_b
    .private_segment_fixed_size: 0
    .sgpr_count:     26
    .sgpr_spill_count: 0
    .symbol:         _ZN9rocsparseL20bsrxmvn_17_32_kernelILj29E21rocsparse_complex_numIdEliS2_S2_S2_EEvT2_20rocsparse_direction_NS_24const_host_device_scalarIT0_EES3_PKS3_PKT1_SC_S9_PKT3_PKT4_S7_PT5_21rocsparse_index_base_b.kd
    .uniform_work_group_size: 1
    .uses_dynamic_stack: false
    .vgpr_count:     31
    .vgpr_spill_count: 0
    .wavefront_size: 64
  - .args:
      - .offset:         0
        .size:           4
        .value_kind:     by_value
      - .offset:         4
        .size:           4
        .value_kind:     by_value
      - .offset:         8
        .size:           16
        .value_kind:     by_value
      - .offset:         24
        .size:           4
        .value_kind:     by_value
      - .actual_access:  read_only
        .address_space:  global
        .offset:         32
        .size:           8
        .value_kind:     global_buffer
      - .actual_access:  read_only
        .address_space:  global
        .offset:         40
        .size:           8
        .value_kind:     global_buffer
      - .actual_access:  read_only
        .address_space:  global
        .offset:         48
        .size:           8
        .value_kind:     global_buffer
      - .actual_access:  read_only
        .address_space:  global
        .offset:         56
        .size:           8
        .value_kind:     global_buffer
      - .actual_access:  read_only
        .address_space:  global
        .offset:         64
        .size:           8
        .value_kind:     global_buffer
      - .actual_access:  read_only
        .address_space:  global
        .offset:         72
        .size:           8
        .value_kind:     global_buffer
      - .offset:         80
        .size:           16
        .value_kind:     by_value
      - .address_space:  global
        .offset:         96
        .size:           8
        .value_kind:     global_buffer
      - .offset:         104
        .size:           4
        .value_kind:     by_value
      - .offset:         108
        .size:           1
        .value_kind:     by_value
    .group_segment_fixed_size: 14400
    .kernarg_segment_align: 8
    .kernarg_segment_size: 112
    .language:       OpenCL C
    .language_version:
      - 2
      - 0
    .max_flat_workgroup_size: 900
    .name:           _ZN9rocsparseL20bsrxmvn_17_32_kernelILj30E21rocsparse_complex_numIdEliS2_S2_S2_EEvT2_20rocsparse_direction_NS_24const_host_device_scalarIT0_EES3_PKS3_PKT1_SC_S9_PKT3_PKT4_S7_PT5_21rocsparse_index_base_b
    .private_segment_fixed_size: 0
    .sgpr_count:     26
    .sgpr_spill_count: 0
    .symbol:         _ZN9rocsparseL20bsrxmvn_17_32_kernelILj30E21rocsparse_complex_numIdEliS2_S2_S2_EEvT2_20rocsparse_direction_NS_24const_host_device_scalarIT0_EES3_PKS3_PKT1_SC_S9_PKT3_PKT4_S7_PT5_21rocsparse_index_base_b.kd
    .uniform_work_group_size: 1
    .uses_dynamic_stack: false
    .vgpr_count:     31
    .vgpr_spill_count: 0
    .wavefront_size: 64
  - .args:
      - .offset:         0
        .size:           4
        .value_kind:     by_value
      - .offset:         4
        .size:           4
        .value_kind:     by_value
      - .offset:         8
        .size:           16
        .value_kind:     by_value
      - .offset:         24
        .size:           4
        .value_kind:     by_value
      - .actual_access:  read_only
        .address_space:  global
        .offset:         32
        .size:           8
        .value_kind:     global_buffer
      - .actual_access:  read_only
        .address_space:  global
        .offset:         40
        .size:           8
        .value_kind:     global_buffer
      - .actual_access:  read_only
        .address_space:  global
        .offset:         48
        .size:           8
        .value_kind:     global_buffer
      - .actual_access:  read_only
        .address_space:  global
        .offset:         56
        .size:           8
        .value_kind:     global_buffer
      - .actual_access:  read_only
        .address_space:  global
        .offset:         64
        .size:           8
        .value_kind:     global_buffer
      - .actual_access:  read_only
        .address_space:  global
        .offset:         72
        .size:           8
        .value_kind:     global_buffer
      - .offset:         80
        .size:           16
        .value_kind:     by_value
      - .address_space:  global
        .offset:         96
        .size:           8
        .value_kind:     global_buffer
      - .offset:         104
        .size:           4
        .value_kind:     by_value
      - .offset:         108
        .size:           1
        .value_kind:     by_value
    .group_segment_fixed_size: 15376
    .kernarg_segment_align: 8
    .kernarg_segment_size: 112
    .language:       OpenCL C
    .language_version:
      - 2
      - 0
    .max_flat_workgroup_size: 961
    .name:           _ZN9rocsparseL20bsrxmvn_17_32_kernelILj31E21rocsparse_complex_numIdEliS2_S2_S2_EEvT2_20rocsparse_direction_NS_24const_host_device_scalarIT0_EES3_PKS3_PKT1_SC_S9_PKT3_PKT4_S7_PT5_21rocsparse_index_base_b
    .private_segment_fixed_size: 0
    .sgpr_count:     26
    .sgpr_spill_count: 0
    .symbol:         _ZN9rocsparseL20bsrxmvn_17_32_kernelILj31E21rocsparse_complex_numIdEliS2_S2_S2_EEvT2_20rocsparse_direction_NS_24const_host_device_scalarIT0_EES3_PKS3_PKT1_SC_S9_PKT3_PKT4_S7_PT5_21rocsparse_index_base_b.kd
    .uniform_work_group_size: 1
    .uses_dynamic_stack: false
    .vgpr_count:     31
    .vgpr_spill_count: 0
    .wavefront_size: 64
  - .args:
      - .offset:         0
        .size:           4
        .value_kind:     by_value
      - .offset:         4
        .size:           4
        .value_kind:     by_value
      - .offset:         8
        .size:           16
        .value_kind:     by_value
      - .offset:         24
        .size:           4
        .value_kind:     by_value
      - .actual_access:  read_only
        .address_space:  global
        .offset:         32
        .size:           8
        .value_kind:     global_buffer
      - .actual_access:  read_only
        .address_space:  global
        .offset:         40
        .size:           8
        .value_kind:     global_buffer
      - .actual_access:  read_only
        .address_space:  global
        .offset:         48
        .size:           8
        .value_kind:     global_buffer
      - .actual_access:  read_only
        .address_space:  global
        .offset:         56
        .size:           8
        .value_kind:     global_buffer
      - .actual_access:  read_only
        .address_space:  global
        .offset:         64
        .size:           8
        .value_kind:     global_buffer
      - .actual_access:  read_only
        .address_space:  global
        .offset:         72
        .size:           8
        .value_kind:     global_buffer
      - .offset:         80
        .size:           16
        .value_kind:     by_value
      - .address_space:  global
        .offset:         96
        .size:           8
        .value_kind:     global_buffer
      - .offset:         104
        .size:           4
        .value_kind:     by_value
      - .offset:         108
        .size:           1
        .value_kind:     by_value
    .group_segment_fixed_size: 16384
    .kernarg_segment_align: 8
    .kernarg_segment_size: 112
    .language:       OpenCL C
    .language_version:
      - 2
      - 0
    .max_flat_workgroup_size: 1024
    .name:           _ZN9rocsparseL20bsrxmvn_17_32_kernelILj32E21rocsparse_complex_numIdEliS2_S2_S2_EEvT2_20rocsparse_direction_NS_24const_host_device_scalarIT0_EES3_PKS3_PKT1_SC_S9_PKT3_PKT4_S7_PT5_21rocsparse_index_base_b
    .private_segment_fixed_size: 0
    .sgpr_count:     28
    .sgpr_spill_count: 0
    .symbol:         _ZN9rocsparseL20bsrxmvn_17_32_kernelILj32E21rocsparse_complex_numIdEliS2_S2_S2_EEvT2_20rocsparse_direction_NS_24const_host_device_scalarIT0_EES3_PKS3_PKT1_SC_S9_PKT3_PKT4_S7_PT5_21rocsparse_index_base_b.kd
    .uniform_work_group_size: 1
    .uses_dynamic_stack: false
    .vgpr_count:     29
    .vgpr_spill_count: 0
    .wavefront_size: 64
  - .args:
      - .offset:         0
        .size:           8
        .value_kind:     by_value
      - .offset:         8
        .size:           4
        .value_kind:     by_value
      - .offset:         16
        .size:           8
        .value_kind:     by_value
      - .offset:         24
        .size:           8
        .value_kind:     by_value
      - .actual_access:  read_only
        .address_space:  global
        .offset:         32
        .size:           8
        .value_kind:     global_buffer
      - .actual_access:  read_only
        .address_space:  global
        .offset:         40
        .size:           8
        .value_kind:     global_buffer
      - .actual_access:  read_only
        .address_space:  global
        .offset:         48
        .size:           8
        .value_kind:     global_buffer
      - .actual_access:  read_only
        .address_space:  global
        .offset:         56
        .size:           8
        .value_kind:     global_buffer
      - .actual_access:  read_only
        .address_space:  global
        .offset:         64
        .size:           8
        .value_kind:     global_buffer
      - .actual_access:  read_only
        .address_space:  global
        .offset:         72
        .size:           8
        .value_kind:     global_buffer
      - .offset:         80
        .size:           8
        .value_kind:     by_value
      - .address_space:  global
        .offset:         88
        .size:           8
        .value_kind:     global_buffer
      - .offset:         96
        .size:           4
        .value_kind:     by_value
      - .offset:         100
        .size:           1
        .value_kind:     by_value
    .group_segment_fixed_size: 1156
    .kernarg_segment_align: 8
    .kernarg_segment_size: 104
    .language:       OpenCL C
    .language_version:
      - 2
      - 0
    .max_flat_workgroup_size: 289
    .name:           _ZN9rocsparseL20bsrxmvn_17_32_kernelILj17EfllfffEEvT2_20rocsparse_direction_NS_24const_host_device_scalarIT0_EES1_PKS1_PKT1_SA_S7_PKT3_PKT4_S5_PT5_21rocsparse_index_base_b
    .private_segment_fixed_size: 0
    .sgpr_count:     30
    .sgpr_spill_count: 0
    .symbol:         _ZN9rocsparseL20bsrxmvn_17_32_kernelILj17EfllfffEEvT2_20rocsparse_direction_NS_24const_host_device_scalarIT0_EES1_PKS1_PKT1_SA_S7_PKT3_PKT4_S5_PT5_21rocsparse_index_base_b.kd
    .uniform_work_group_size: 1
    .uses_dynamic_stack: false
    .vgpr_count:     14
    .vgpr_spill_count: 0
    .wavefront_size: 64
  - .args:
      - .offset:         0
        .size:           8
        .value_kind:     by_value
      - .offset:         8
        .size:           4
        .value_kind:     by_value
      - .offset:         16
        .size:           8
        .value_kind:     by_value
      - .offset:         24
        .size:           8
        .value_kind:     by_value
      - .actual_access:  read_only
        .address_space:  global
        .offset:         32
        .size:           8
        .value_kind:     global_buffer
      - .actual_access:  read_only
        .address_space:  global
        .offset:         40
        .size:           8
        .value_kind:     global_buffer
      - .actual_access:  read_only
        .address_space:  global
        .offset:         48
        .size:           8
        .value_kind:     global_buffer
      - .actual_access:  read_only
        .address_space:  global
        .offset:         56
        .size:           8
        .value_kind:     global_buffer
      - .actual_access:  read_only
        .address_space:  global
        .offset:         64
        .size:           8
        .value_kind:     global_buffer
      - .actual_access:  read_only
        .address_space:  global
        .offset:         72
        .size:           8
        .value_kind:     global_buffer
      - .offset:         80
        .size:           8
        .value_kind:     by_value
      - .address_space:  global
        .offset:         88
        .size:           8
        .value_kind:     global_buffer
      - .offset:         96
        .size:           4
        .value_kind:     by_value
      - .offset:         100
        .size:           1
        .value_kind:     by_value
    .group_segment_fixed_size: 1296
    .kernarg_segment_align: 8
    .kernarg_segment_size: 104
    .language:       OpenCL C
    .language_version:
      - 2
      - 0
    .max_flat_workgroup_size: 324
    .name:           _ZN9rocsparseL20bsrxmvn_17_32_kernelILj18EfllfffEEvT2_20rocsparse_direction_NS_24const_host_device_scalarIT0_EES1_PKS1_PKT1_SA_S7_PKT3_PKT4_S5_PT5_21rocsparse_index_base_b
    .private_segment_fixed_size: 0
    .sgpr_count:     30
    .sgpr_spill_count: 0
    .symbol:         _ZN9rocsparseL20bsrxmvn_17_32_kernelILj18EfllfffEEvT2_20rocsparse_direction_NS_24const_host_device_scalarIT0_EES1_PKS1_PKT1_SA_S7_PKT3_PKT4_S5_PT5_21rocsparse_index_base_b.kd
    .uniform_work_group_size: 1
    .uses_dynamic_stack: false
    .vgpr_count:     14
    .vgpr_spill_count: 0
    .wavefront_size: 64
  - .args:
      - .offset:         0
        .size:           8
        .value_kind:     by_value
      - .offset:         8
        .size:           4
        .value_kind:     by_value
      - .offset:         16
        .size:           8
        .value_kind:     by_value
      - .offset:         24
        .size:           8
        .value_kind:     by_value
      - .actual_access:  read_only
        .address_space:  global
        .offset:         32
        .size:           8
        .value_kind:     global_buffer
      - .actual_access:  read_only
        .address_space:  global
        .offset:         40
        .size:           8
        .value_kind:     global_buffer
      - .actual_access:  read_only
        .address_space:  global
        .offset:         48
        .size:           8
        .value_kind:     global_buffer
      - .actual_access:  read_only
        .address_space:  global
        .offset:         56
        .size:           8
        .value_kind:     global_buffer
      - .actual_access:  read_only
        .address_space:  global
        .offset:         64
        .size:           8
        .value_kind:     global_buffer
      - .actual_access:  read_only
        .address_space:  global
        .offset:         72
        .size:           8
        .value_kind:     global_buffer
      - .offset:         80
        .size:           8
        .value_kind:     by_value
      - .address_space:  global
        .offset:         88
        .size:           8
        .value_kind:     global_buffer
      - .offset:         96
        .size:           4
        .value_kind:     by_value
      - .offset:         100
        .size:           1
        .value_kind:     by_value
    .group_segment_fixed_size: 1444
    .kernarg_segment_align: 8
    .kernarg_segment_size: 104
    .language:       OpenCL C
    .language_version:
      - 2
      - 0
    .max_flat_workgroup_size: 361
    .name:           _ZN9rocsparseL20bsrxmvn_17_32_kernelILj19EfllfffEEvT2_20rocsparse_direction_NS_24const_host_device_scalarIT0_EES1_PKS1_PKT1_SA_S7_PKT3_PKT4_S5_PT5_21rocsparse_index_base_b
    .private_segment_fixed_size: 0
    .sgpr_count:     30
    .sgpr_spill_count: 0
    .symbol:         _ZN9rocsparseL20bsrxmvn_17_32_kernelILj19EfllfffEEvT2_20rocsparse_direction_NS_24const_host_device_scalarIT0_EES1_PKS1_PKT1_SA_S7_PKT3_PKT4_S5_PT5_21rocsparse_index_base_b.kd
    .uniform_work_group_size: 1
    .uses_dynamic_stack: false
    .vgpr_count:     14
    .vgpr_spill_count: 0
    .wavefront_size: 64
  - .args:
      - .offset:         0
        .size:           8
        .value_kind:     by_value
      - .offset:         8
        .size:           4
        .value_kind:     by_value
      - .offset:         16
        .size:           8
        .value_kind:     by_value
      - .offset:         24
        .size:           8
        .value_kind:     by_value
      - .actual_access:  read_only
        .address_space:  global
        .offset:         32
        .size:           8
        .value_kind:     global_buffer
      - .actual_access:  read_only
        .address_space:  global
        .offset:         40
        .size:           8
        .value_kind:     global_buffer
      - .actual_access:  read_only
        .address_space:  global
        .offset:         48
        .size:           8
        .value_kind:     global_buffer
      - .actual_access:  read_only
        .address_space:  global
        .offset:         56
        .size:           8
        .value_kind:     global_buffer
      - .actual_access:  read_only
        .address_space:  global
        .offset:         64
        .size:           8
        .value_kind:     global_buffer
      - .actual_access:  read_only
        .address_space:  global
        .offset:         72
        .size:           8
        .value_kind:     global_buffer
      - .offset:         80
        .size:           8
        .value_kind:     by_value
      - .address_space:  global
        .offset:         88
        .size:           8
        .value_kind:     global_buffer
      - .offset:         96
        .size:           4
        .value_kind:     by_value
      - .offset:         100
        .size:           1
        .value_kind:     by_value
    .group_segment_fixed_size: 1600
    .kernarg_segment_align: 8
    .kernarg_segment_size: 104
    .language:       OpenCL C
    .language_version:
      - 2
      - 0
    .max_flat_workgroup_size: 400
    .name:           _ZN9rocsparseL20bsrxmvn_17_32_kernelILj20EfllfffEEvT2_20rocsparse_direction_NS_24const_host_device_scalarIT0_EES1_PKS1_PKT1_SA_S7_PKT3_PKT4_S5_PT5_21rocsparse_index_base_b
    .private_segment_fixed_size: 0
    .sgpr_count:     30
    .sgpr_spill_count: 0
    .symbol:         _ZN9rocsparseL20bsrxmvn_17_32_kernelILj20EfllfffEEvT2_20rocsparse_direction_NS_24const_host_device_scalarIT0_EES1_PKS1_PKT1_SA_S7_PKT3_PKT4_S5_PT5_21rocsparse_index_base_b.kd
    .uniform_work_group_size: 1
    .uses_dynamic_stack: false
    .vgpr_count:     14
    .vgpr_spill_count: 0
    .wavefront_size: 64
  - .args:
      - .offset:         0
        .size:           8
        .value_kind:     by_value
      - .offset:         8
        .size:           4
        .value_kind:     by_value
      - .offset:         16
        .size:           8
        .value_kind:     by_value
      - .offset:         24
        .size:           8
        .value_kind:     by_value
      - .actual_access:  read_only
        .address_space:  global
        .offset:         32
        .size:           8
        .value_kind:     global_buffer
      - .actual_access:  read_only
        .address_space:  global
        .offset:         40
        .size:           8
        .value_kind:     global_buffer
      - .actual_access:  read_only
        .address_space:  global
        .offset:         48
        .size:           8
        .value_kind:     global_buffer
      - .actual_access:  read_only
        .address_space:  global
        .offset:         56
        .size:           8
        .value_kind:     global_buffer
      - .actual_access:  read_only
        .address_space:  global
        .offset:         64
        .size:           8
        .value_kind:     global_buffer
      - .actual_access:  read_only
        .address_space:  global
        .offset:         72
        .size:           8
        .value_kind:     global_buffer
      - .offset:         80
        .size:           8
        .value_kind:     by_value
      - .address_space:  global
        .offset:         88
        .size:           8
        .value_kind:     global_buffer
      - .offset:         96
        .size:           4
        .value_kind:     by_value
      - .offset:         100
        .size:           1
        .value_kind:     by_value
    .group_segment_fixed_size: 1764
    .kernarg_segment_align: 8
    .kernarg_segment_size: 104
    .language:       OpenCL C
    .language_version:
      - 2
      - 0
    .max_flat_workgroup_size: 441
    .name:           _ZN9rocsparseL20bsrxmvn_17_32_kernelILj21EfllfffEEvT2_20rocsparse_direction_NS_24const_host_device_scalarIT0_EES1_PKS1_PKT1_SA_S7_PKT3_PKT4_S5_PT5_21rocsparse_index_base_b
    .private_segment_fixed_size: 0
    .sgpr_count:     30
    .sgpr_spill_count: 0
    .symbol:         _ZN9rocsparseL20bsrxmvn_17_32_kernelILj21EfllfffEEvT2_20rocsparse_direction_NS_24const_host_device_scalarIT0_EES1_PKS1_PKT1_SA_S7_PKT3_PKT4_S5_PT5_21rocsparse_index_base_b.kd
    .uniform_work_group_size: 1
    .uses_dynamic_stack: false
    .vgpr_count:     14
    .vgpr_spill_count: 0
    .wavefront_size: 64
  - .args:
      - .offset:         0
        .size:           8
        .value_kind:     by_value
      - .offset:         8
        .size:           4
        .value_kind:     by_value
      - .offset:         16
        .size:           8
        .value_kind:     by_value
      - .offset:         24
        .size:           8
        .value_kind:     by_value
      - .actual_access:  read_only
        .address_space:  global
        .offset:         32
        .size:           8
        .value_kind:     global_buffer
      - .actual_access:  read_only
        .address_space:  global
        .offset:         40
        .size:           8
        .value_kind:     global_buffer
      - .actual_access:  read_only
        .address_space:  global
        .offset:         48
        .size:           8
        .value_kind:     global_buffer
      - .actual_access:  read_only
        .address_space:  global
        .offset:         56
        .size:           8
        .value_kind:     global_buffer
      - .actual_access:  read_only
        .address_space:  global
        .offset:         64
        .size:           8
        .value_kind:     global_buffer
      - .actual_access:  read_only
        .address_space:  global
        .offset:         72
        .size:           8
        .value_kind:     global_buffer
      - .offset:         80
        .size:           8
        .value_kind:     by_value
      - .address_space:  global
        .offset:         88
        .size:           8
        .value_kind:     global_buffer
      - .offset:         96
        .size:           4
        .value_kind:     by_value
      - .offset:         100
        .size:           1
        .value_kind:     by_value
    .group_segment_fixed_size: 1936
    .kernarg_segment_align: 8
    .kernarg_segment_size: 104
    .language:       OpenCL C
    .language_version:
      - 2
      - 0
    .max_flat_workgroup_size: 484
    .name:           _ZN9rocsparseL20bsrxmvn_17_32_kernelILj22EfllfffEEvT2_20rocsparse_direction_NS_24const_host_device_scalarIT0_EES1_PKS1_PKT1_SA_S7_PKT3_PKT4_S5_PT5_21rocsparse_index_base_b
    .private_segment_fixed_size: 0
    .sgpr_count:     30
    .sgpr_spill_count: 0
    .symbol:         _ZN9rocsparseL20bsrxmvn_17_32_kernelILj22EfllfffEEvT2_20rocsparse_direction_NS_24const_host_device_scalarIT0_EES1_PKS1_PKT1_SA_S7_PKT3_PKT4_S5_PT5_21rocsparse_index_base_b.kd
    .uniform_work_group_size: 1
    .uses_dynamic_stack: false
    .vgpr_count:     14
    .vgpr_spill_count: 0
    .wavefront_size: 64
  - .args:
      - .offset:         0
        .size:           8
        .value_kind:     by_value
      - .offset:         8
        .size:           4
        .value_kind:     by_value
      - .offset:         16
        .size:           8
        .value_kind:     by_value
      - .offset:         24
        .size:           8
        .value_kind:     by_value
      - .actual_access:  read_only
        .address_space:  global
        .offset:         32
        .size:           8
        .value_kind:     global_buffer
      - .actual_access:  read_only
        .address_space:  global
        .offset:         40
        .size:           8
        .value_kind:     global_buffer
      - .actual_access:  read_only
        .address_space:  global
        .offset:         48
        .size:           8
        .value_kind:     global_buffer
      - .actual_access:  read_only
        .address_space:  global
        .offset:         56
        .size:           8
        .value_kind:     global_buffer
      - .actual_access:  read_only
        .address_space:  global
        .offset:         64
        .size:           8
        .value_kind:     global_buffer
      - .actual_access:  read_only
        .address_space:  global
        .offset:         72
        .size:           8
        .value_kind:     global_buffer
      - .offset:         80
        .size:           8
        .value_kind:     by_value
      - .address_space:  global
        .offset:         88
        .size:           8
        .value_kind:     global_buffer
      - .offset:         96
        .size:           4
        .value_kind:     by_value
      - .offset:         100
        .size:           1
        .value_kind:     by_value
    .group_segment_fixed_size: 2116
    .kernarg_segment_align: 8
    .kernarg_segment_size: 104
    .language:       OpenCL C
    .language_version:
      - 2
      - 0
    .max_flat_workgroup_size: 529
    .name:           _ZN9rocsparseL20bsrxmvn_17_32_kernelILj23EfllfffEEvT2_20rocsparse_direction_NS_24const_host_device_scalarIT0_EES1_PKS1_PKT1_SA_S7_PKT3_PKT4_S5_PT5_21rocsparse_index_base_b
    .private_segment_fixed_size: 0
    .sgpr_count:     30
    .sgpr_spill_count: 0
    .symbol:         _ZN9rocsparseL20bsrxmvn_17_32_kernelILj23EfllfffEEvT2_20rocsparse_direction_NS_24const_host_device_scalarIT0_EES1_PKS1_PKT1_SA_S7_PKT3_PKT4_S5_PT5_21rocsparse_index_base_b.kd
    .uniform_work_group_size: 1
    .uses_dynamic_stack: false
    .vgpr_count:     14
    .vgpr_spill_count: 0
    .wavefront_size: 64
  - .args:
      - .offset:         0
        .size:           8
        .value_kind:     by_value
      - .offset:         8
        .size:           4
        .value_kind:     by_value
      - .offset:         16
        .size:           8
        .value_kind:     by_value
      - .offset:         24
        .size:           8
        .value_kind:     by_value
      - .actual_access:  read_only
        .address_space:  global
        .offset:         32
        .size:           8
        .value_kind:     global_buffer
      - .actual_access:  read_only
        .address_space:  global
        .offset:         40
        .size:           8
        .value_kind:     global_buffer
      - .actual_access:  read_only
        .address_space:  global
        .offset:         48
        .size:           8
        .value_kind:     global_buffer
      - .actual_access:  read_only
        .address_space:  global
        .offset:         56
        .size:           8
        .value_kind:     global_buffer
      - .actual_access:  read_only
        .address_space:  global
        .offset:         64
        .size:           8
        .value_kind:     global_buffer
      - .actual_access:  read_only
        .address_space:  global
        .offset:         72
        .size:           8
        .value_kind:     global_buffer
      - .offset:         80
        .size:           8
        .value_kind:     by_value
      - .address_space:  global
        .offset:         88
        .size:           8
        .value_kind:     global_buffer
      - .offset:         96
        .size:           4
        .value_kind:     by_value
      - .offset:         100
        .size:           1
        .value_kind:     by_value
    .group_segment_fixed_size: 2304
    .kernarg_segment_align: 8
    .kernarg_segment_size: 104
    .language:       OpenCL C
    .language_version:
      - 2
      - 0
    .max_flat_workgroup_size: 576
    .name:           _ZN9rocsparseL20bsrxmvn_17_32_kernelILj24EfllfffEEvT2_20rocsparse_direction_NS_24const_host_device_scalarIT0_EES1_PKS1_PKT1_SA_S7_PKT3_PKT4_S5_PT5_21rocsparse_index_base_b
    .private_segment_fixed_size: 0
    .sgpr_count:     30
    .sgpr_spill_count: 0
    .symbol:         _ZN9rocsparseL20bsrxmvn_17_32_kernelILj24EfllfffEEvT2_20rocsparse_direction_NS_24const_host_device_scalarIT0_EES1_PKS1_PKT1_SA_S7_PKT3_PKT4_S5_PT5_21rocsparse_index_base_b.kd
    .uniform_work_group_size: 1
    .uses_dynamic_stack: false
    .vgpr_count:     14
    .vgpr_spill_count: 0
    .wavefront_size: 64
  - .args:
      - .offset:         0
        .size:           8
        .value_kind:     by_value
      - .offset:         8
        .size:           4
        .value_kind:     by_value
      - .offset:         16
        .size:           8
        .value_kind:     by_value
      - .offset:         24
        .size:           8
        .value_kind:     by_value
      - .actual_access:  read_only
        .address_space:  global
        .offset:         32
        .size:           8
        .value_kind:     global_buffer
      - .actual_access:  read_only
        .address_space:  global
        .offset:         40
        .size:           8
        .value_kind:     global_buffer
      - .actual_access:  read_only
        .address_space:  global
        .offset:         48
        .size:           8
        .value_kind:     global_buffer
      - .actual_access:  read_only
        .address_space:  global
        .offset:         56
        .size:           8
        .value_kind:     global_buffer
      - .actual_access:  read_only
        .address_space:  global
        .offset:         64
        .size:           8
        .value_kind:     global_buffer
      - .actual_access:  read_only
        .address_space:  global
        .offset:         72
        .size:           8
        .value_kind:     global_buffer
      - .offset:         80
        .size:           8
        .value_kind:     by_value
      - .address_space:  global
        .offset:         88
        .size:           8
        .value_kind:     global_buffer
      - .offset:         96
        .size:           4
        .value_kind:     by_value
      - .offset:         100
        .size:           1
        .value_kind:     by_value
    .group_segment_fixed_size: 2500
    .kernarg_segment_align: 8
    .kernarg_segment_size: 104
    .language:       OpenCL C
    .language_version:
      - 2
      - 0
    .max_flat_workgroup_size: 625
    .name:           _ZN9rocsparseL20bsrxmvn_17_32_kernelILj25EfllfffEEvT2_20rocsparse_direction_NS_24const_host_device_scalarIT0_EES1_PKS1_PKT1_SA_S7_PKT3_PKT4_S5_PT5_21rocsparse_index_base_b
    .private_segment_fixed_size: 0
    .sgpr_count:     30
    .sgpr_spill_count: 0
    .symbol:         _ZN9rocsparseL20bsrxmvn_17_32_kernelILj25EfllfffEEvT2_20rocsparse_direction_NS_24const_host_device_scalarIT0_EES1_PKS1_PKT1_SA_S7_PKT3_PKT4_S5_PT5_21rocsparse_index_base_b.kd
    .uniform_work_group_size: 1
    .uses_dynamic_stack: false
    .vgpr_count:     16
    .vgpr_spill_count: 0
    .wavefront_size: 64
  - .args:
      - .offset:         0
        .size:           8
        .value_kind:     by_value
      - .offset:         8
        .size:           4
        .value_kind:     by_value
      - .offset:         16
        .size:           8
        .value_kind:     by_value
      - .offset:         24
        .size:           8
        .value_kind:     by_value
      - .actual_access:  read_only
        .address_space:  global
        .offset:         32
        .size:           8
        .value_kind:     global_buffer
      - .actual_access:  read_only
        .address_space:  global
        .offset:         40
        .size:           8
        .value_kind:     global_buffer
      - .actual_access:  read_only
        .address_space:  global
        .offset:         48
        .size:           8
        .value_kind:     global_buffer
      - .actual_access:  read_only
        .address_space:  global
        .offset:         56
        .size:           8
        .value_kind:     global_buffer
      - .actual_access:  read_only
        .address_space:  global
        .offset:         64
        .size:           8
        .value_kind:     global_buffer
      - .actual_access:  read_only
        .address_space:  global
        .offset:         72
        .size:           8
        .value_kind:     global_buffer
      - .offset:         80
        .size:           8
        .value_kind:     by_value
      - .address_space:  global
        .offset:         88
        .size:           8
        .value_kind:     global_buffer
      - .offset:         96
        .size:           4
        .value_kind:     by_value
      - .offset:         100
        .size:           1
        .value_kind:     by_value
    .group_segment_fixed_size: 2704
    .kernarg_segment_align: 8
    .kernarg_segment_size: 104
    .language:       OpenCL C
    .language_version:
      - 2
      - 0
    .max_flat_workgroup_size: 676
    .name:           _ZN9rocsparseL20bsrxmvn_17_32_kernelILj26EfllfffEEvT2_20rocsparse_direction_NS_24const_host_device_scalarIT0_EES1_PKS1_PKT1_SA_S7_PKT3_PKT4_S5_PT5_21rocsparse_index_base_b
    .private_segment_fixed_size: 0
    .sgpr_count:     30
    .sgpr_spill_count: 0
    .symbol:         _ZN9rocsparseL20bsrxmvn_17_32_kernelILj26EfllfffEEvT2_20rocsparse_direction_NS_24const_host_device_scalarIT0_EES1_PKS1_PKT1_SA_S7_PKT3_PKT4_S5_PT5_21rocsparse_index_base_b.kd
    .uniform_work_group_size: 1
    .uses_dynamic_stack: false
    .vgpr_count:     16
    .vgpr_spill_count: 0
    .wavefront_size: 64
  - .args:
      - .offset:         0
        .size:           8
        .value_kind:     by_value
      - .offset:         8
        .size:           4
        .value_kind:     by_value
      - .offset:         16
        .size:           8
        .value_kind:     by_value
      - .offset:         24
        .size:           8
        .value_kind:     by_value
      - .actual_access:  read_only
        .address_space:  global
        .offset:         32
        .size:           8
        .value_kind:     global_buffer
      - .actual_access:  read_only
        .address_space:  global
        .offset:         40
        .size:           8
        .value_kind:     global_buffer
      - .actual_access:  read_only
        .address_space:  global
        .offset:         48
        .size:           8
        .value_kind:     global_buffer
      - .actual_access:  read_only
        .address_space:  global
        .offset:         56
        .size:           8
        .value_kind:     global_buffer
      - .actual_access:  read_only
        .address_space:  global
        .offset:         64
        .size:           8
        .value_kind:     global_buffer
      - .actual_access:  read_only
        .address_space:  global
        .offset:         72
        .size:           8
        .value_kind:     global_buffer
      - .offset:         80
        .size:           8
        .value_kind:     by_value
      - .address_space:  global
        .offset:         88
        .size:           8
        .value_kind:     global_buffer
      - .offset:         96
        .size:           4
        .value_kind:     by_value
      - .offset:         100
        .size:           1
        .value_kind:     by_value
    .group_segment_fixed_size: 2916
    .kernarg_segment_align: 8
    .kernarg_segment_size: 104
    .language:       OpenCL C
    .language_version:
      - 2
      - 0
    .max_flat_workgroup_size: 729
    .name:           _ZN9rocsparseL20bsrxmvn_17_32_kernelILj27EfllfffEEvT2_20rocsparse_direction_NS_24const_host_device_scalarIT0_EES1_PKS1_PKT1_SA_S7_PKT3_PKT4_S5_PT5_21rocsparse_index_base_b
    .private_segment_fixed_size: 0
    .sgpr_count:     30
    .sgpr_spill_count: 0
    .symbol:         _ZN9rocsparseL20bsrxmvn_17_32_kernelILj27EfllfffEEvT2_20rocsparse_direction_NS_24const_host_device_scalarIT0_EES1_PKS1_PKT1_SA_S7_PKT3_PKT4_S5_PT5_21rocsparse_index_base_b.kd
    .uniform_work_group_size: 1
    .uses_dynamic_stack: false
    .vgpr_count:     16
    .vgpr_spill_count: 0
    .wavefront_size: 64
  - .args:
      - .offset:         0
        .size:           8
        .value_kind:     by_value
      - .offset:         8
        .size:           4
        .value_kind:     by_value
      - .offset:         16
        .size:           8
        .value_kind:     by_value
      - .offset:         24
        .size:           8
        .value_kind:     by_value
      - .actual_access:  read_only
        .address_space:  global
        .offset:         32
        .size:           8
        .value_kind:     global_buffer
      - .actual_access:  read_only
        .address_space:  global
        .offset:         40
        .size:           8
        .value_kind:     global_buffer
      - .actual_access:  read_only
        .address_space:  global
        .offset:         48
        .size:           8
        .value_kind:     global_buffer
      - .actual_access:  read_only
        .address_space:  global
        .offset:         56
        .size:           8
        .value_kind:     global_buffer
      - .actual_access:  read_only
        .address_space:  global
        .offset:         64
        .size:           8
        .value_kind:     global_buffer
      - .actual_access:  read_only
        .address_space:  global
        .offset:         72
        .size:           8
        .value_kind:     global_buffer
      - .offset:         80
        .size:           8
        .value_kind:     by_value
      - .address_space:  global
        .offset:         88
        .size:           8
        .value_kind:     global_buffer
      - .offset:         96
        .size:           4
        .value_kind:     by_value
      - .offset:         100
        .size:           1
        .value_kind:     by_value
    .group_segment_fixed_size: 3136
    .kernarg_segment_align: 8
    .kernarg_segment_size: 104
    .language:       OpenCL C
    .language_version:
      - 2
      - 0
    .max_flat_workgroup_size: 784
    .name:           _ZN9rocsparseL20bsrxmvn_17_32_kernelILj28EfllfffEEvT2_20rocsparse_direction_NS_24const_host_device_scalarIT0_EES1_PKS1_PKT1_SA_S7_PKT3_PKT4_S5_PT5_21rocsparse_index_base_b
    .private_segment_fixed_size: 0
    .sgpr_count:     30
    .sgpr_spill_count: 0
    .symbol:         _ZN9rocsparseL20bsrxmvn_17_32_kernelILj28EfllfffEEvT2_20rocsparse_direction_NS_24const_host_device_scalarIT0_EES1_PKS1_PKT1_SA_S7_PKT3_PKT4_S5_PT5_21rocsparse_index_base_b.kd
    .uniform_work_group_size: 1
    .uses_dynamic_stack: false
    .vgpr_count:     16
    .vgpr_spill_count: 0
    .wavefront_size: 64
  - .args:
      - .offset:         0
        .size:           8
        .value_kind:     by_value
      - .offset:         8
        .size:           4
        .value_kind:     by_value
      - .offset:         16
        .size:           8
        .value_kind:     by_value
      - .offset:         24
        .size:           8
        .value_kind:     by_value
      - .actual_access:  read_only
        .address_space:  global
        .offset:         32
        .size:           8
        .value_kind:     global_buffer
      - .actual_access:  read_only
        .address_space:  global
        .offset:         40
        .size:           8
        .value_kind:     global_buffer
      - .actual_access:  read_only
        .address_space:  global
        .offset:         48
        .size:           8
        .value_kind:     global_buffer
      - .actual_access:  read_only
        .address_space:  global
        .offset:         56
        .size:           8
        .value_kind:     global_buffer
      - .actual_access:  read_only
        .address_space:  global
        .offset:         64
        .size:           8
        .value_kind:     global_buffer
      - .actual_access:  read_only
        .address_space:  global
        .offset:         72
        .size:           8
        .value_kind:     global_buffer
      - .offset:         80
        .size:           8
        .value_kind:     by_value
      - .address_space:  global
        .offset:         88
        .size:           8
        .value_kind:     global_buffer
      - .offset:         96
        .size:           4
        .value_kind:     by_value
      - .offset:         100
        .size:           1
        .value_kind:     by_value
    .group_segment_fixed_size: 3364
    .kernarg_segment_align: 8
    .kernarg_segment_size: 104
    .language:       OpenCL C
    .language_version:
      - 2
      - 0
    .max_flat_workgroup_size: 841
    .name:           _ZN9rocsparseL20bsrxmvn_17_32_kernelILj29EfllfffEEvT2_20rocsparse_direction_NS_24const_host_device_scalarIT0_EES1_PKS1_PKT1_SA_S7_PKT3_PKT4_S5_PT5_21rocsparse_index_base_b
    .private_segment_fixed_size: 0
    .sgpr_count:     30
    .sgpr_spill_count: 0
    .symbol:         _ZN9rocsparseL20bsrxmvn_17_32_kernelILj29EfllfffEEvT2_20rocsparse_direction_NS_24const_host_device_scalarIT0_EES1_PKS1_PKT1_SA_S7_PKT3_PKT4_S5_PT5_21rocsparse_index_base_b.kd
    .uniform_work_group_size: 1
    .uses_dynamic_stack: false
    .vgpr_count:     16
    .vgpr_spill_count: 0
    .wavefront_size: 64
  - .args:
      - .offset:         0
        .size:           8
        .value_kind:     by_value
      - .offset:         8
        .size:           4
        .value_kind:     by_value
      - .offset:         16
        .size:           8
        .value_kind:     by_value
      - .offset:         24
        .size:           8
        .value_kind:     by_value
      - .actual_access:  read_only
        .address_space:  global
        .offset:         32
        .size:           8
        .value_kind:     global_buffer
      - .actual_access:  read_only
        .address_space:  global
        .offset:         40
        .size:           8
        .value_kind:     global_buffer
      - .actual_access:  read_only
        .address_space:  global
        .offset:         48
        .size:           8
        .value_kind:     global_buffer
      - .actual_access:  read_only
        .address_space:  global
        .offset:         56
        .size:           8
        .value_kind:     global_buffer
      - .actual_access:  read_only
        .address_space:  global
        .offset:         64
        .size:           8
        .value_kind:     global_buffer
      - .actual_access:  read_only
        .address_space:  global
        .offset:         72
        .size:           8
        .value_kind:     global_buffer
      - .offset:         80
        .size:           8
        .value_kind:     by_value
      - .address_space:  global
        .offset:         88
        .size:           8
        .value_kind:     global_buffer
      - .offset:         96
        .size:           4
        .value_kind:     by_value
      - .offset:         100
        .size:           1
        .value_kind:     by_value
    .group_segment_fixed_size: 3600
    .kernarg_segment_align: 8
    .kernarg_segment_size: 104
    .language:       OpenCL C
    .language_version:
      - 2
      - 0
    .max_flat_workgroup_size: 900
    .name:           _ZN9rocsparseL20bsrxmvn_17_32_kernelILj30EfllfffEEvT2_20rocsparse_direction_NS_24const_host_device_scalarIT0_EES1_PKS1_PKT1_SA_S7_PKT3_PKT4_S5_PT5_21rocsparse_index_base_b
    .private_segment_fixed_size: 0
    .sgpr_count:     30
    .sgpr_spill_count: 0
    .symbol:         _ZN9rocsparseL20bsrxmvn_17_32_kernelILj30EfllfffEEvT2_20rocsparse_direction_NS_24const_host_device_scalarIT0_EES1_PKS1_PKT1_SA_S7_PKT3_PKT4_S5_PT5_21rocsparse_index_base_b.kd
    .uniform_work_group_size: 1
    .uses_dynamic_stack: false
    .vgpr_count:     16
    .vgpr_spill_count: 0
    .wavefront_size: 64
  - .args:
      - .offset:         0
        .size:           8
        .value_kind:     by_value
      - .offset:         8
        .size:           4
        .value_kind:     by_value
      - .offset:         16
        .size:           8
        .value_kind:     by_value
      - .offset:         24
        .size:           8
        .value_kind:     by_value
      - .actual_access:  read_only
        .address_space:  global
        .offset:         32
        .size:           8
        .value_kind:     global_buffer
      - .actual_access:  read_only
        .address_space:  global
        .offset:         40
        .size:           8
        .value_kind:     global_buffer
      - .actual_access:  read_only
        .address_space:  global
        .offset:         48
        .size:           8
        .value_kind:     global_buffer
      - .actual_access:  read_only
        .address_space:  global
        .offset:         56
        .size:           8
        .value_kind:     global_buffer
      - .actual_access:  read_only
        .address_space:  global
        .offset:         64
        .size:           8
        .value_kind:     global_buffer
      - .actual_access:  read_only
        .address_space:  global
        .offset:         72
        .size:           8
        .value_kind:     global_buffer
      - .offset:         80
        .size:           8
        .value_kind:     by_value
      - .address_space:  global
        .offset:         88
        .size:           8
        .value_kind:     global_buffer
      - .offset:         96
        .size:           4
        .value_kind:     by_value
      - .offset:         100
        .size:           1
        .value_kind:     by_value
    .group_segment_fixed_size: 3844
    .kernarg_segment_align: 8
    .kernarg_segment_size: 104
    .language:       OpenCL C
    .language_version:
      - 2
      - 0
    .max_flat_workgroup_size: 961
    .name:           _ZN9rocsparseL20bsrxmvn_17_32_kernelILj31EfllfffEEvT2_20rocsparse_direction_NS_24const_host_device_scalarIT0_EES1_PKS1_PKT1_SA_S7_PKT3_PKT4_S5_PT5_21rocsparse_index_base_b
    .private_segment_fixed_size: 0
    .sgpr_count:     30
    .sgpr_spill_count: 0
    .symbol:         _ZN9rocsparseL20bsrxmvn_17_32_kernelILj31EfllfffEEvT2_20rocsparse_direction_NS_24const_host_device_scalarIT0_EES1_PKS1_PKT1_SA_S7_PKT3_PKT4_S5_PT5_21rocsparse_index_base_b.kd
    .uniform_work_group_size: 1
    .uses_dynamic_stack: false
    .vgpr_count:     16
    .vgpr_spill_count: 0
    .wavefront_size: 64
  - .args:
      - .offset:         0
        .size:           8
        .value_kind:     by_value
      - .offset:         8
        .size:           4
        .value_kind:     by_value
      - .offset:         16
        .size:           8
        .value_kind:     by_value
      - .offset:         24
        .size:           8
        .value_kind:     by_value
      - .actual_access:  read_only
        .address_space:  global
        .offset:         32
        .size:           8
        .value_kind:     global_buffer
      - .actual_access:  read_only
        .address_space:  global
        .offset:         40
        .size:           8
        .value_kind:     global_buffer
      - .actual_access:  read_only
        .address_space:  global
        .offset:         48
        .size:           8
        .value_kind:     global_buffer
      - .actual_access:  read_only
        .address_space:  global
        .offset:         56
        .size:           8
        .value_kind:     global_buffer
      - .actual_access:  read_only
        .address_space:  global
        .offset:         64
        .size:           8
        .value_kind:     global_buffer
      - .actual_access:  read_only
        .address_space:  global
        .offset:         72
        .size:           8
        .value_kind:     global_buffer
      - .offset:         80
        .size:           8
        .value_kind:     by_value
      - .address_space:  global
        .offset:         88
        .size:           8
        .value_kind:     global_buffer
      - .offset:         96
        .size:           4
        .value_kind:     by_value
      - .offset:         100
        .size:           1
        .value_kind:     by_value
    .group_segment_fixed_size: 4096
    .kernarg_segment_align: 8
    .kernarg_segment_size: 104
    .language:       OpenCL C
    .language_version:
      - 2
      - 0
    .max_flat_workgroup_size: 1024
    .name:           _ZN9rocsparseL20bsrxmvn_17_32_kernelILj32EfllfffEEvT2_20rocsparse_direction_NS_24const_host_device_scalarIT0_EES1_PKS1_PKT1_SA_S7_PKT3_PKT4_S5_PT5_21rocsparse_index_base_b
    .private_segment_fixed_size: 0
    .sgpr_count:     30
    .sgpr_spill_count: 0
    .symbol:         _ZN9rocsparseL20bsrxmvn_17_32_kernelILj32EfllfffEEvT2_20rocsparse_direction_NS_24const_host_device_scalarIT0_EES1_PKS1_PKT1_SA_S7_PKT3_PKT4_S5_PT5_21rocsparse_index_base_b.kd
    .uniform_work_group_size: 1
    .uses_dynamic_stack: false
    .vgpr_count:     13
    .vgpr_spill_count: 0
    .wavefront_size: 64
  - .args:
      - .offset:         0
        .size:           8
        .value_kind:     by_value
      - .offset:         8
        .size:           4
        .value_kind:     by_value
      - .offset:         16
        .size:           8
        .value_kind:     by_value
      - .offset:         24
        .size:           8
        .value_kind:     by_value
      - .actual_access:  read_only
        .address_space:  global
        .offset:         32
        .size:           8
        .value_kind:     global_buffer
      - .actual_access:  read_only
        .address_space:  global
        .offset:         40
        .size:           8
        .value_kind:     global_buffer
      - .actual_access:  read_only
        .address_space:  global
        .offset:         48
        .size:           8
        .value_kind:     global_buffer
      - .actual_access:  read_only
        .address_space:  global
        .offset:         56
        .size:           8
        .value_kind:     global_buffer
      - .actual_access:  read_only
        .address_space:  global
        .offset:         64
        .size:           8
        .value_kind:     global_buffer
      - .actual_access:  read_only
        .address_space:  global
        .offset:         72
        .size:           8
        .value_kind:     global_buffer
      - .offset:         80
        .size:           8
        .value_kind:     by_value
      - .address_space:  global
        .offset:         88
        .size:           8
        .value_kind:     global_buffer
      - .offset:         96
        .size:           4
        .value_kind:     by_value
      - .offset:         100
        .size:           1
        .value_kind:     by_value
    .group_segment_fixed_size: 2312
    .kernarg_segment_align: 8
    .kernarg_segment_size: 104
    .language:       OpenCL C
    .language_version:
      - 2
      - 0
    .max_flat_workgroup_size: 289
    .name:           _ZN9rocsparseL20bsrxmvn_17_32_kernelILj17EdlldddEEvT2_20rocsparse_direction_NS_24const_host_device_scalarIT0_EES1_PKS1_PKT1_SA_S7_PKT3_PKT4_S5_PT5_21rocsparse_index_base_b
    .private_segment_fixed_size: 0
    .sgpr_count:     26
    .sgpr_spill_count: 0
    .symbol:         _ZN9rocsparseL20bsrxmvn_17_32_kernelILj17EdlldddEEvT2_20rocsparse_direction_NS_24const_host_device_scalarIT0_EES1_PKS1_PKT1_SA_S7_PKT3_PKT4_S5_PT5_21rocsparse_index_base_b.kd
    .uniform_work_group_size: 1
    .uses_dynamic_stack: false
    .vgpr_count:     20
    .vgpr_spill_count: 0
    .wavefront_size: 64
  - .args:
      - .offset:         0
        .size:           8
        .value_kind:     by_value
      - .offset:         8
        .size:           4
        .value_kind:     by_value
      - .offset:         16
        .size:           8
        .value_kind:     by_value
      - .offset:         24
        .size:           8
        .value_kind:     by_value
      - .actual_access:  read_only
        .address_space:  global
        .offset:         32
        .size:           8
        .value_kind:     global_buffer
      - .actual_access:  read_only
        .address_space:  global
        .offset:         40
        .size:           8
        .value_kind:     global_buffer
      - .actual_access:  read_only
        .address_space:  global
        .offset:         48
        .size:           8
        .value_kind:     global_buffer
      - .actual_access:  read_only
        .address_space:  global
        .offset:         56
        .size:           8
        .value_kind:     global_buffer
      - .actual_access:  read_only
        .address_space:  global
        .offset:         64
        .size:           8
        .value_kind:     global_buffer
      - .actual_access:  read_only
        .address_space:  global
        .offset:         72
        .size:           8
        .value_kind:     global_buffer
      - .offset:         80
        .size:           8
        .value_kind:     by_value
      - .address_space:  global
        .offset:         88
        .size:           8
        .value_kind:     global_buffer
      - .offset:         96
        .size:           4
        .value_kind:     by_value
      - .offset:         100
        .size:           1
        .value_kind:     by_value
    .group_segment_fixed_size: 2592
    .kernarg_segment_align: 8
    .kernarg_segment_size: 104
    .language:       OpenCL C
    .language_version:
      - 2
      - 0
    .max_flat_workgroup_size: 324
    .name:           _ZN9rocsparseL20bsrxmvn_17_32_kernelILj18EdlldddEEvT2_20rocsparse_direction_NS_24const_host_device_scalarIT0_EES1_PKS1_PKT1_SA_S7_PKT3_PKT4_S5_PT5_21rocsparse_index_base_b
    .private_segment_fixed_size: 0
    .sgpr_count:     26
    .sgpr_spill_count: 0
    .symbol:         _ZN9rocsparseL20bsrxmvn_17_32_kernelILj18EdlldddEEvT2_20rocsparse_direction_NS_24const_host_device_scalarIT0_EES1_PKS1_PKT1_SA_S7_PKT3_PKT4_S5_PT5_21rocsparse_index_base_b.kd
    .uniform_work_group_size: 1
    .uses_dynamic_stack: false
    .vgpr_count:     20
    .vgpr_spill_count: 0
    .wavefront_size: 64
  - .args:
      - .offset:         0
        .size:           8
        .value_kind:     by_value
      - .offset:         8
        .size:           4
        .value_kind:     by_value
      - .offset:         16
        .size:           8
        .value_kind:     by_value
      - .offset:         24
        .size:           8
        .value_kind:     by_value
      - .actual_access:  read_only
        .address_space:  global
        .offset:         32
        .size:           8
        .value_kind:     global_buffer
      - .actual_access:  read_only
        .address_space:  global
        .offset:         40
        .size:           8
        .value_kind:     global_buffer
      - .actual_access:  read_only
        .address_space:  global
        .offset:         48
        .size:           8
        .value_kind:     global_buffer
      - .actual_access:  read_only
        .address_space:  global
        .offset:         56
        .size:           8
        .value_kind:     global_buffer
      - .actual_access:  read_only
        .address_space:  global
        .offset:         64
        .size:           8
        .value_kind:     global_buffer
      - .actual_access:  read_only
        .address_space:  global
        .offset:         72
        .size:           8
        .value_kind:     global_buffer
      - .offset:         80
        .size:           8
        .value_kind:     by_value
      - .address_space:  global
        .offset:         88
        .size:           8
        .value_kind:     global_buffer
      - .offset:         96
        .size:           4
        .value_kind:     by_value
      - .offset:         100
        .size:           1
        .value_kind:     by_value
    .group_segment_fixed_size: 2888
    .kernarg_segment_align: 8
    .kernarg_segment_size: 104
    .language:       OpenCL C
    .language_version:
      - 2
      - 0
    .max_flat_workgroup_size: 361
    .name:           _ZN9rocsparseL20bsrxmvn_17_32_kernelILj19EdlldddEEvT2_20rocsparse_direction_NS_24const_host_device_scalarIT0_EES1_PKS1_PKT1_SA_S7_PKT3_PKT4_S5_PT5_21rocsparse_index_base_b
    .private_segment_fixed_size: 0
    .sgpr_count:     26
    .sgpr_spill_count: 0
    .symbol:         _ZN9rocsparseL20bsrxmvn_17_32_kernelILj19EdlldddEEvT2_20rocsparse_direction_NS_24const_host_device_scalarIT0_EES1_PKS1_PKT1_SA_S7_PKT3_PKT4_S5_PT5_21rocsparse_index_base_b.kd
    .uniform_work_group_size: 1
    .uses_dynamic_stack: false
    .vgpr_count:     22
    .vgpr_spill_count: 0
    .wavefront_size: 64
  - .args:
      - .offset:         0
        .size:           8
        .value_kind:     by_value
      - .offset:         8
        .size:           4
        .value_kind:     by_value
      - .offset:         16
        .size:           8
        .value_kind:     by_value
      - .offset:         24
        .size:           8
        .value_kind:     by_value
      - .actual_access:  read_only
        .address_space:  global
        .offset:         32
        .size:           8
        .value_kind:     global_buffer
      - .actual_access:  read_only
        .address_space:  global
        .offset:         40
        .size:           8
        .value_kind:     global_buffer
      - .actual_access:  read_only
        .address_space:  global
        .offset:         48
        .size:           8
        .value_kind:     global_buffer
      - .actual_access:  read_only
        .address_space:  global
        .offset:         56
        .size:           8
        .value_kind:     global_buffer
      - .actual_access:  read_only
        .address_space:  global
        .offset:         64
        .size:           8
        .value_kind:     global_buffer
      - .actual_access:  read_only
        .address_space:  global
        .offset:         72
        .size:           8
        .value_kind:     global_buffer
      - .offset:         80
        .size:           8
        .value_kind:     by_value
      - .address_space:  global
        .offset:         88
        .size:           8
        .value_kind:     global_buffer
      - .offset:         96
        .size:           4
        .value_kind:     by_value
      - .offset:         100
        .size:           1
        .value_kind:     by_value
    .group_segment_fixed_size: 3200
    .kernarg_segment_align: 8
    .kernarg_segment_size: 104
    .language:       OpenCL C
    .language_version:
      - 2
      - 0
    .max_flat_workgroup_size: 400
    .name:           _ZN9rocsparseL20bsrxmvn_17_32_kernelILj20EdlldddEEvT2_20rocsparse_direction_NS_24const_host_device_scalarIT0_EES1_PKS1_PKT1_SA_S7_PKT3_PKT4_S5_PT5_21rocsparse_index_base_b
    .private_segment_fixed_size: 0
    .sgpr_count:     26
    .sgpr_spill_count: 0
    .symbol:         _ZN9rocsparseL20bsrxmvn_17_32_kernelILj20EdlldddEEvT2_20rocsparse_direction_NS_24const_host_device_scalarIT0_EES1_PKS1_PKT1_SA_S7_PKT3_PKT4_S5_PT5_21rocsparse_index_base_b.kd
    .uniform_work_group_size: 1
    .uses_dynamic_stack: false
    .vgpr_count:     22
    .vgpr_spill_count: 0
    .wavefront_size: 64
  - .args:
      - .offset:         0
        .size:           8
        .value_kind:     by_value
      - .offset:         8
        .size:           4
        .value_kind:     by_value
      - .offset:         16
        .size:           8
        .value_kind:     by_value
      - .offset:         24
        .size:           8
        .value_kind:     by_value
      - .actual_access:  read_only
        .address_space:  global
        .offset:         32
        .size:           8
        .value_kind:     global_buffer
      - .actual_access:  read_only
        .address_space:  global
        .offset:         40
        .size:           8
        .value_kind:     global_buffer
      - .actual_access:  read_only
        .address_space:  global
        .offset:         48
        .size:           8
        .value_kind:     global_buffer
      - .actual_access:  read_only
        .address_space:  global
        .offset:         56
        .size:           8
        .value_kind:     global_buffer
      - .actual_access:  read_only
        .address_space:  global
        .offset:         64
        .size:           8
        .value_kind:     global_buffer
      - .actual_access:  read_only
        .address_space:  global
        .offset:         72
        .size:           8
        .value_kind:     global_buffer
      - .offset:         80
        .size:           8
        .value_kind:     by_value
      - .address_space:  global
        .offset:         88
        .size:           8
        .value_kind:     global_buffer
      - .offset:         96
        .size:           4
        .value_kind:     by_value
      - .offset:         100
        .size:           1
        .value_kind:     by_value
    .group_segment_fixed_size: 3528
    .kernarg_segment_align: 8
    .kernarg_segment_size: 104
    .language:       OpenCL C
    .language_version:
      - 2
      - 0
    .max_flat_workgroup_size: 441
    .name:           _ZN9rocsparseL20bsrxmvn_17_32_kernelILj21EdlldddEEvT2_20rocsparse_direction_NS_24const_host_device_scalarIT0_EES1_PKS1_PKT1_SA_S7_PKT3_PKT4_S5_PT5_21rocsparse_index_base_b
    .private_segment_fixed_size: 0
    .sgpr_count:     26
    .sgpr_spill_count: 0
    .symbol:         _ZN9rocsparseL20bsrxmvn_17_32_kernelILj21EdlldddEEvT2_20rocsparse_direction_NS_24const_host_device_scalarIT0_EES1_PKS1_PKT1_SA_S7_PKT3_PKT4_S5_PT5_21rocsparse_index_base_b.kd
    .uniform_work_group_size: 1
    .uses_dynamic_stack: false
    .vgpr_count:     22
    .vgpr_spill_count: 0
    .wavefront_size: 64
  - .args:
      - .offset:         0
        .size:           8
        .value_kind:     by_value
      - .offset:         8
        .size:           4
        .value_kind:     by_value
      - .offset:         16
        .size:           8
        .value_kind:     by_value
      - .offset:         24
        .size:           8
        .value_kind:     by_value
      - .actual_access:  read_only
        .address_space:  global
        .offset:         32
        .size:           8
        .value_kind:     global_buffer
      - .actual_access:  read_only
        .address_space:  global
        .offset:         40
        .size:           8
        .value_kind:     global_buffer
      - .actual_access:  read_only
        .address_space:  global
        .offset:         48
        .size:           8
        .value_kind:     global_buffer
      - .actual_access:  read_only
        .address_space:  global
        .offset:         56
        .size:           8
        .value_kind:     global_buffer
      - .actual_access:  read_only
        .address_space:  global
        .offset:         64
        .size:           8
        .value_kind:     global_buffer
      - .actual_access:  read_only
        .address_space:  global
        .offset:         72
        .size:           8
        .value_kind:     global_buffer
      - .offset:         80
        .size:           8
        .value_kind:     by_value
      - .address_space:  global
        .offset:         88
        .size:           8
        .value_kind:     global_buffer
      - .offset:         96
        .size:           4
        .value_kind:     by_value
      - .offset:         100
        .size:           1
        .value_kind:     by_value
    .group_segment_fixed_size: 3872
    .kernarg_segment_align: 8
    .kernarg_segment_size: 104
    .language:       OpenCL C
    .language_version:
      - 2
      - 0
    .max_flat_workgroup_size: 484
    .name:           _ZN9rocsparseL20bsrxmvn_17_32_kernelILj22EdlldddEEvT2_20rocsparse_direction_NS_24const_host_device_scalarIT0_EES1_PKS1_PKT1_SA_S7_PKT3_PKT4_S5_PT5_21rocsparse_index_base_b
    .private_segment_fixed_size: 0
    .sgpr_count:     26
    .sgpr_spill_count: 0
    .symbol:         _ZN9rocsparseL20bsrxmvn_17_32_kernelILj22EdlldddEEvT2_20rocsparse_direction_NS_24const_host_device_scalarIT0_EES1_PKS1_PKT1_SA_S7_PKT3_PKT4_S5_PT5_21rocsparse_index_base_b.kd
    .uniform_work_group_size: 1
    .uses_dynamic_stack: false
    .vgpr_count:     22
    .vgpr_spill_count: 0
    .wavefront_size: 64
  - .args:
      - .offset:         0
        .size:           8
        .value_kind:     by_value
      - .offset:         8
        .size:           4
        .value_kind:     by_value
      - .offset:         16
        .size:           8
        .value_kind:     by_value
      - .offset:         24
        .size:           8
        .value_kind:     by_value
      - .actual_access:  read_only
        .address_space:  global
        .offset:         32
        .size:           8
        .value_kind:     global_buffer
      - .actual_access:  read_only
        .address_space:  global
        .offset:         40
        .size:           8
        .value_kind:     global_buffer
      - .actual_access:  read_only
        .address_space:  global
        .offset:         48
        .size:           8
        .value_kind:     global_buffer
      - .actual_access:  read_only
        .address_space:  global
        .offset:         56
        .size:           8
        .value_kind:     global_buffer
      - .actual_access:  read_only
        .address_space:  global
        .offset:         64
        .size:           8
        .value_kind:     global_buffer
      - .actual_access:  read_only
        .address_space:  global
        .offset:         72
        .size:           8
        .value_kind:     global_buffer
      - .offset:         80
        .size:           8
        .value_kind:     by_value
      - .address_space:  global
        .offset:         88
        .size:           8
        .value_kind:     global_buffer
      - .offset:         96
        .size:           4
        .value_kind:     by_value
      - .offset:         100
        .size:           1
        .value_kind:     by_value
    .group_segment_fixed_size: 4232
    .kernarg_segment_align: 8
    .kernarg_segment_size: 104
    .language:       OpenCL C
    .language_version:
      - 2
      - 0
    .max_flat_workgroup_size: 529
    .name:           _ZN9rocsparseL20bsrxmvn_17_32_kernelILj23EdlldddEEvT2_20rocsparse_direction_NS_24const_host_device_scalarIT0_EES1_PKS1_PKT1_SA_S7_PKT3_PKT4_S5_PT5_21rocsparse_index_base_b
    .private_segment_fixed_size: 0
    .sgpr_count:     26
    .sgpr_spill_count: 0
    .symbol:         _ZN9rocsparseL20bsrxmvn_17_32_kernelILj23EdlldddEEvT2_20rocsparse_direction_NS_24const_host_device_scalarIT0_EES1_PKS1_PKT1_SA_S7_PKT3_PKT4_S5_PT5_21rocsparse_index_base_b.kd
    .uniform_work_group_size: 1
    .uses_dynamic_stack: false
    .vgpr_count:     22
    .vgpr_spill_count: 0
    .wavefront_size: 64
  - .args:
      - .offset:         0
        .size:           8
        .value_kind:     by_value
      - .offset:         8
        .size:           4
        .value_kind:     by_value
      - .offset:         16
        .size:           8
        .value_kind:     by_value
      - .offset:         24
        .size:           8
        .value_kind:     by_value
      - .actual_access:  read_only
        .address_space:  global
        .offset:         32
        .size:           8
        .value_kind:     global_buffer
      - .actual_access:  read_only
        .address_space:  global
        .offset:         40
        .size:           8
        .value_kind:     global_buffer
      - .actual_access:  read_only
        .address_space:  global
        .offset:         48
        .size:           8
        .value_kind:     global_buffer
      - .actual_access:  read_only
        .address_space:  global
        .offset:         56
        .size:           8
        .value_kind:     global_buffer
      - .actual_access:  read_only
        .address_space:  global
        .offset:         64
        .size:           8
        .value_kind:     global_buffer
      - .actual_access:  read_only
        .address_space:  global
        .offset:         72
        .size:           8
        .value_kind:     global_buffer
      - .offset:         80
        .size:           8
        .value_kind:     by_value
      - .address_space:  global
        .offset:         88
        .size:           8
        .value_kind:     global_buffer
      - .offset:         96
        .size:           4
        .value_kind:     by_value
      - .offset:         100
        .size:           1
        .value_kind:     by_value
    .group_segment_fixed_size: 4608
    .kernarg_segment_align: 8
    .kernarg_segment_size: 104
    .language:       OpenCL C
    .language_version:
      - 2
      - 0
    .max_flat_workgroup_size: 576
    .name:           _ZN9rocsparseL20bsrxmvn_17_32_kernelILj24EdlldddEEvT2_20rocsparse_direction_NS_24const_host_device_scalarIT0_EES1_PKS1_PKT1_SA_S7_PKT3_PKT4_S5_PT5_21rocsparse_index_base_b
    .private_segment_fixed_size: 0
    .sgpr_count:     26
    .sgpr_spill_count: 0
    .symbol:         _ZN9rocsparseL20bsrxmvn_17_32_kernelILj24EdlldddEEvT2_20rocsparse_direction_NS_24const_host_device_scalarIT0_EES1_PKS1_PKT1_SA_S7_PKT3_PKT4_S5_PT5_21rocsparse_index_base_b.kd
    .uniform_work_group_size: 1
    .uses_dynamic_stack: false
    .vgpr_count:     22
    .vgpr_spill_count: 0
    .wavefront_size: 64
  - .args:
      - .offset:         0
        .size:           8
        .value_kind:     by_value
      - .offset:         8
        .size:           4
        .value_kind:     by_value
      - .offset:         16
        .size:           8
        .value_kind:     by_value
      - .offset:         24
        .size:           8
        .value_kind:     by_value
      - .actual_access:  read_only
        .address_space:  global
        .offset:         32
        .size:           8
        .value_kind:     global_buffer
      - .actual_access:  read_only
        .address_space:  global
        .offset:         40
        .size:           8
        .value_kind:     global_buffer
      - .actual_access:  read_only
        .address_space:  global
        .offset:         48
        .size:           8
        .value_kind:     global_buffer
      - .actual_access:  read_only
        .address_space:  global
        .offset:         56
        .size:           8
        .value_kind:     global_buffer
      - .actual_access:  read_only
        .address_space:  global
        .offset:         64
        .size:           8
        .value_kind:     global_buffer
      - .actual_access:  read_only
        .address_space:  global
        .offset:         72
        .size:           8
        .value_kind:     global_buffer
      - .offset:         80
        .size:           8
        .value_kind:     by_value
      - .address_space:  global
        .offset:         88
        .size:           8
        .value_kind:     global_buffer
      - .offset:         96
        .size:           4
        .value_kind:     by_value
      - .offset:         100
        .size:           1
        .value_kind:     by_value
    .group_segment_fixed_size: 5000
    .kernarg_segment_align: 8
    .kernarg_segment_size: 104
    .language:       OpenCL C
    .language_version:
      - 2
      - 0
    .max_flat_workgroup_size: 625
    .name:           _ZN9rocsparseL20bsrxmvn_17_32_kernelILj25EdlldddEEvT2_20rocsparse_direction_NS_24const_host_device_scalarIT0_EES1_PKS1_PKT1_SA_S7_PKT3_PKT4_S5_PT5_21rocsparse_index_base_b
    .private_segment_fixed_size: 0
    .sgpr_count:     26
    .sgpr_spill_count: 0
    .symbol:         _ZN9rocsparseL20bsrxmvn_17_32_kernelILj25EdlldddEEvT2_20rocsparse_direction_NS_24const_host_device_scalarIT0_EES1_PKS1_PKT1_SA_S7_PKT3_PKT4_S5_PT5_21rocsparse_index_base_b.kd
    .uniform_work_group_size: 1
    .uses_dynamic_stack: false
    .vgpr_count:     22
    .vgpr_spill_count: 0
    .wavefront_size: 64
  - .args:
      - .offset:         0
        .size:           8
        .value_kind:     by_value
      - .offset:         8
        .size:           4
        .value_kind:     by_value
      - .offset:         16
        .size:           8
        .value_kind:     by_value
      - .offset:         24
        .size:           8
        .value_kind:     by_value
      - .actual_access:  read_only
        .address_space:  global
        .offset:         32
        .size:           8
        .value_kind:     global_buffer
      - .actual_access:  read_only
        .address_space:  global
        .offset:         40
        .size:           8
        .value_kind:     global_buffer
      - .actual_access:  read_only
        .address_space:  global
        .offset:         48
        .size:           8
        .value_kind:     global_buffer
      - .actual_access:  read_only
        .address_space:  global
        .offset:         56
        .size:           8
        .value_kind:     global_buffer
      - .actual_access:  read_only
        .address_space:  global
        .offset:         64
        .size:           8
        .value_kind:     global_buffer
      - .actual_access:  read_only
        .address_space:  global
        .offset:         72
        .size:           8
        .value_kind:     global_buffer
      - .offset:         80
        .size:           8
        .value_kind:     by_value
      - .address_space:  global
        .offset:         88
        .size:           8
        .value_kind:     global_buffer
      - .offset:         96
        .size:           4
        .value_kind:     by_value
      - .offset:         100
        .size:           1
        .value_kind:     by_value
    .group_segment_fixed_size: 5408
    .kernarg_segment_align: 8
    .kernarg_segment_size: 104
    .language:       OpenCL C
    .language_version:
      - 2
      - 0
    .max_flat_workgroup_size: 676
    .name:           _ZN9rocsparseL20bsrxmvn_17_32_kernelILj26EdlldddEEvT2_20rocsparse_direction_NS_24const_host_device_scalarIT0_EES1_PKS1_PKT1_SA_S7_PKT3_PKT4_S5_PT5_21rocsparse_index_base_b
    .private_segment_fixed_size: 0
    .sgpr_count:     26
    .sgpr_spill_count: 0
    .symbol:         _ZN9rocsparseL20bsrxmvn_17_32_kernelILj26EdlldddEEvT2_20rocsparse_direction_NS_24const_host_device_scalarIT0_EES1_PKS1_PKT1_SA_S7_PKT3_PKT4_S5_PT5_21rocsparse_index_base_b.kd
    .uniform_work_group_size: 1
    .uses_dynamic_stack: false
    .vgpr_count:     22
    .vgpr_spill_count: 0
    .wavefront_size: 64
  - .args:
      - .offset:         0
        .size:           8
        .value_kind:     by_value
      - .offset:         8
        .size:           4
        .value_kind:     by_value
      - .offset:         16
        .size:           8
        .value_kind:     by_value
      - .offset:         24
        .size:           8
        .value_kind:     by_value
      - .actual_access:  read_only
        .address_space:  global
        .offset:         32
        .size:           8
        .value_kind:     global_buffer
      - .actual_access:  read_only
        .address_space:  global
        .offset:         40
        .size:           8
        .value_kind:     global_buffer
      - .actual_access:  read_only
        .address_space:  global
        .offset:         48
        .size:           8
        .value_kind:     global_buffer
      - .actual_access:  read_only
        .address_space:  global
        .offset:         56
        .size:           8
        .value_kind:     global_buffer
      - .actual_access:  read_only
        .address_space:  global
        .offset:         64
        .size:           8
        .value_kind:     global_buffer
      - .actual_access:  read_only
        .address_space:  global
        .offset:         72
        .size:           8
        .value_kind:     global_buffer
      - .offset:         80
        .size:           8
        .value_kind:     by_value
      - .address_space:  global
        .offset:         88
        .size:           8
        .value_kind:     global_buffer
      - .offset:         96
        .size:           4
        .value_kind:     by_value
      - .offset:         100
        .size:           1
        .value_kind:     by_value
    .group_segment_fixed_size: 5832
    .kernarg_segment_align: 8
    .kernarg_segment_size: 104
    .language:       OpenCL C
    .language_version:
      - 2
      - 0
    .max_flat_workgroup_size: 729
    .name:           _ZN9rocsparseL20bsrxmvn_17_32_kernelILj27EdlldddEEvT2_20rocsparse_direction_NS_24const_host_device_scalarIT0_EES1_PKS1_PKT1_SA_S7_PKT3_PKT4_S5_PT5_21rocsparse_index_base_b
    .private_segment_fixed_size: 0
    .sgpr_count:     26
    .sgpr_spill_count: 0
    .symbol:         _ZN9rocsparseL20bsrxmvn_17_32_kernelILj27EdlldddEEvT2_20rocsparse_direction_NS_24const_host_device_scalarIT0_EES1_PKS1_PKT1_SA_S7_PKT3_PKT4_S5_PT5_21rocsparse_index_base_b.kd
    .uniform_work_group_size: 1
    .uses_dynamic_stack: false
    .vgpr_count:     22
    .vgpr_spill_count: 0
    .wavefront_size: 64
  - .args:
      - .offset:         0
        .size:           8
        .value_kind:     by_value
      - .offset:         8
        .size:           4
        .value_kind:     by_value
      - .offset:         16
        .size:           8
        .value_kind:     by_value
      - .offset:         24
        .size:           8
        .value_kind:     by_value
      - .actual_access:  read_only
        .address_space:  global
        .offset:         32
        .size:           8
        .value_kind:     global_buffer
      - .actual_access:  read_only
        .address_space:  global
        .offset:         40
        .size:           8
        .value_kind:     global_buffer
      - .actual_access:  read_only
        .address_space:  global
        .offset:         48
        .size:           8
        .value_kind:     global_buffer
      - .actual_access:  read_only
        .address_space:  global
        .offset:         56
        .size:           8
        .value_kind:     global_buffer
      - .actual_access:  read_only
        .address_space:  global
        .offset:         64
        .size:           8
        .value_kind:     global_buffer
      - .actual_access:  read_only
        .address_space:  global
        .offset:         72
        .size:           8
        .value_kind:     global_buffer
      - .offset:         80
        .size:           8
        .value_kind:     by_value
      - .address_space:  global
        .offset:         88
        .size:           8
        .value_kind:     global_buffer
      - .offset:         96
        .size:           4
        .value_kind:     by_value
      - .offset:         100
        .size:           1
        .value_kind:     by_value
    .group_segment_fixed_size: 6272
    .kernarg_segment_align: 8
    .kernarg_segment_size: 104
    .language:       OpenCL C
    .language_version:
      - 2
      - 0
    .max_flat_workgroup_size: 784
    .name:           _ZN9rocsparseL20bsrxmvn_17_32_kernelILj28EdlldddEEvT2_20rocsparse_direction_NS_24const_host_device_scalarIT0_EES1_PKS1_PKT1_SA_S7_PKT3_PKT4_S5_PT5_21rocsparse_index_base_b
    .private_segment_fixed_size: 0
    .sgpr_count:     26
    .sgpr_spill_count: 0
    .symbol:         _ZN9rocsparseL20bsrxmvn_17_32_kernelILj28EdlldddEEvT2_20rocsparse_direction_NS_24const_host_device_scalarIT0_EES1_PKS1_PKT1_SA_S7_PKT3_PKT4_S5_PT5_21rocsparse_index_base_b.kd
    .uniform_work_group_size: 1
    .uses_dynamic_stack: false
    .vgpr_count:     22
    .vgpr_spill_count: 0
    .wavefront_size: 64
  - .args:
      - .offset:         0
        .size:           8
        .value_kind:     by_value
      - .offset:         8
        .size:           4
        .value_kind:     by_value
      - .offset:         16
        .size:           8
        .value_kind:     by_value
      - .offset:         24
        .size:           8
        .value_kind:     by_value
      - .actual_access:  read_only
        .address_space:  global
        .offset:         32
        .size:           8
        .value_kind:     global_buffer
      - .actual_access:  read_only
        .address_space:  global
        .offset:         40
        .size:           8
        .value_kind:     global_buffer
      - .actual_access:  read_only
        .address_space:  global
        .offset:         48
        .size:           8
        .value_kind:     global_buffer
      - .actual_access:  read_only
        .address_space:  global
        .offset:         56
        .size:           8
        .value_kind:     global_buffer
      - .actual_access:  read_only
        .address_space:  global
        .offset:         64
        .size:           8
        .value_kind:     global_buffer
      - .actual_access:  read_only
        .address_space:  global
        .offset:         72
        .size:           8
        .value_kind:     global_buffer
      - .offset:         80
        .size:           8
        .value_kind:     by_value
      - .address_space:  global
        .offset:         88
        .size:           8
        .value_kind:     global_buffer
      - .offset:         96
        .size:           4
        .value_kind:     by_value
      - .offset:         100
        .size:           1
        .value_kind:     by_value
    .group_segment_fixed_size: 6728
    .kernarg_segment_align: 8
    .kernarg_segment_size: 104
    .language:       OpenCL C
    .language_version:
      - 2
      - 0
    .max_flat_workgroup_size: 841
    .name:           _ZN9rocsparseL20bsrxmvn_17_32_kernelILj29EdlldddEEvT2_20rocsparse_direction_NS_24const_host_device_scalarIT0_EES1_PKS1_PKT1_SA_S7_PKT3_PKT4_S5_PT5_21rocsparse_index_base_b
    .private_segment_fixed_size: 0
    .sgpr_count:     26
    .sgpr_spill_count: 0
    .symbol:         _ZN9rocsparseL20bsrxmvn_17_32_kernelILj29EdlldddEEvT2_20rocsparse_direction_NS_24const_host_device_scalarIT0_EES1_PKS1_PKT1_SA_S7_PKT3_PKT4_S5_PT5_21rocsparse_index_base_b.kd
    .uniform_work_group_size: 1
    .uses_dynamic_stack: false
    .vgpr_count:     22
    .vgpr_spill_count: 0
    .wavefront_size: 64
  - .args:
      - .offset:         0
        .size:           8
        .value_kind:     by_value
      - .offset:         8
        .size:           4
        .value_kind:     by_value
      - .offset:         16
        .size:           8
        .value_kind:     by_value
      - .offset:         24
        .size:           8
        .value_kind:     by_value
      - .actual_access:  read_only
        .address_space:  global
        .offset:         32
        .size:           8
        .value_kind:     global_buffer
      - .actual_access:  read_only
        .address_space:  global
        .offset:         40
        .size:           8
        .value_kind:     global_buffer
      - .actual_access:  read_only
        .address_space:  global
        .offset:         48
        .size:           8
        .value_kind:     global_buffer
      - .actual_access:  read_only
        .address_space:  global
        .offset:         56
        .size:           8
        .value_kind:     global_buffer
      - .actual_access:  read_only
        .address_space:  global
        .offset:         64
        .size:           8
        .value_kind:     global_buffer
      - .actual_access:  read_only
        .address_space:  global
        .offset:         72
        .size:           8
        .value_kind:     global_buffer
      - .offset:         80
        .size:           8
        .value_kind:     by_value
      - .address_space:  global
        .offset:         88
        .size:           8
        .value_kind:     global_buffer
      - .offset:         96
        .size:           4
        .value_kind:     by_value
      - .offset:         100
        .size:           1
        .value_kind:     by_value
    .group_segment_fixed_size: 7200
    .kernarg_segment_align: 8
    .kernarg_segment_size: 104
    .language:       OpenCL C
    .language_version:
      - 2
      - 0
    .max_flat_workgroup_size: 900
    .name:           _ZN9rocsparseL20bsrxmvn_17_32_kernelILj30EdlldddEEvT2_20rocsparse_direction_NS_24const_host_device_scalarIT0_EES1_PKS1_PKT1_SA_S7_PKT3_PKT4_S5_PT5_21rocsparse_index_base_b
    .private_segment_fixed_size: 0
    .sgpr_count:     26
    .sgpr_spill_count: 0
    .symbol:         _ZN9rocsparseL20bsrxmvn_17_32_kernelILj30EdlldddEEvT2_20rocsparse_direction_NS_24const_host_device_scalarIT0_EES1_PKS1_PKT1_SA_S7_PKT3_PKT4_S5_PT5_21rocsparse_index_base_b.kd
    .uniform_work_group_size: 1
    .uses_dynamic_stack: false
    .vgpr_count:     22
    .vgpr_spill_count: 0
    .wavefront_size: 64
  - .args:
      - .offset:         0
        .size:           8
        .value_kind:     by_value
      - .offset:         8
        .size:           4
        .value_kind:     by_value
      - .offset:         16
        .size:           8
        .value_kind:     by_value
      - .offset:         24
        .size:           8
        .value_kind:     by_value
      - .actual_access:  read_only
        .address_space:  global
        .offset:         32
        .size:           8
        .value_kind:     global_buffer
      - .actual_access:  read_only
        .address_space:  global
        .offset:         40
        .size:           8
        .value_kind:     global_buffer
      - .actual_access:  read_only
        .address_space:  global
        .offset:         48
        .size:           8
        .value_kind:     global_buffer
      - .actual_access:  read_only
        .address_space:  global
        .offset:         56
        .size:           8
        .value_kind:     global_buffer
      - .actual_access:  read_only
        .address_space:  global
        .offset:         64
        .size:           8
        .value_kind:     global_buffer
      - .actual_access:  read_only
        .address_space:  global
        .offset:         72
        .size:           8
        .value_kind:     global_buffer
      - .offset:         80
        .size:           8
        .value_kind:     by_value
      - .address_space:  global
        .offset:         88
        .size:           8
        .value_kind:     global_buffer
      - .offset:         96
        .size:           4
        .value_kind:     by_value
      - .offset:         100
        .size:           1
        .value_kind:     by_value
    .group_segment_fixed_size: 7688
    .kernarg_segment_align: 8
    .kernarg_segment_size: 104
    .language:       OpenCL C
    .language_version:
      - 2
      - 0
    .max_flat_workgroup_size: 961
    .name:           _ZN9rocsparseL20bsrxmvn_17_32_kernelILj31EdlldddEEvT2_20rocsparse_direction_NS_24const_host_device_scalarIT0_EES1_PKS1_PKT1_SA_S7_PKT3_PKT4_S5_PT5_21rocsparse_index_base_b
    .private_segment_fixed_size: 0
    .sgpr_count:     26
    .sgpr_spill_count: 0
    .symbol:         _ZN9rocsparseL20bsrxmvn_17_32_kernelILj31EdlldddEEvT2_20rocsparse_direction_NS_24const_host_device_scalarIT0_EES1_PKS1_PKT1_SA_S7_PKT3_PKT4_S5_PT5_21rocsparse_index_base_b.kd
    .uniform_work_group_size: 1
    .uses_dynamic_stack: false
    .vgpr_count:     22
    .vgpr_spill_count: 0
    .wavefront_size: 64
  - .args:
      - .offset:         0
        .size:           8
        .value_kind:     by_value
      - .offset:         8
        .size:           4
        .value_kind:     by_value
      - .offset:         16
        .size:           8
        .value_kind:     by_value
      - .offset:         24
        .size:           8
        .value_kind:     by_value
      - .actual_access:  read_only
        .address_space:  global
        .offset:         32
        .size:           8
        .value_kind:     global_buffer
      - .actual_access:  read_only
        .address_space:  global
        .offset:         40
        .size:           8
        .value_kind:     global_buffer
      - .actual_access:  read_only
        .address_space:  global
        .offset:         48
        .size:           8
        .value_kind:     global_buffer
      - .actual_access:  read_only
        .address_space:  global
        .offset:         56
        .size:           8
        .value_kind:     global_buffer
      - .actual_access:  read_only
        .address_space:  global
        .offset:         64
        .size:           8
        .value_kind:     global_buffer
      - .actual_access:  read_only
        .address_space:  global
        .offset:         72
        .size:           8
        .value_kind:     global_buffer
      - .offset:         80
        .size:           8
        .value_kind:     by_value
      - .address_space:  global
        .offset:         88
        .size:           8
        .value_kind:     global_buffer
      - .offset:         96
        .size:           4
        .value_kind:     by_value
      - .offset:         100
        .size:           1
        .value_kind:     by_value
    .group_segment_fixed_size: 8192
    .kernarg_segment_align: 8
    .kernarg_segment_size: 104
    .language:       OpenCL C
    .language_version:
      - 2
      - 0
    .max_flat_workgroup_size: 1024
    .name:           _ZN9rocsparseL20bsrxmvn_17_32_kernelILj32EdlldddEEvT2_20rocsparse_direction_NS_24const_host_device_scalarIT0_EES1_PKS1_PKT1_SA_S7_PKT3_PKT4_S5_PT5_21rocsparse_index_base_b
    .private_segment_fixed_size: 0
    .sgpr_count:     26
    .sgpr_spill_count: 0
    .symbol:         _ZN9rocsparseL20bsrxmvn_17_32_kernelILj32EdlldddEEvT2_20rocsparse_direction_NS_24const_host_device_scalarIT0_EES1_PKS1_PKT1_SA_S7_PKT3_PKT4_S5_PT5_21rocsparse_index_base_b.kd
    .uniform_work_group_size: 1
    .uses_dynamic_stack: false
    .vgpr_count:     19
    .vgpr_spill_count: 0
    .wavefront_size: 64
  - .args:
      - .offset:         0
        .size:           8
        .value_kind:     by_value
      - .offset:         8
        .size:           4
        .value_kind:     by_value
      - .offset:         16
        .size:           8
        .value_kind:     by_value
      - .offset:         24
        .size:           8
        .value_kind:     by_value
      - .actual_access:  read_only
        .address_space:  global
        .offset:         32
        .size:           8
        .value_kind:     global_buffer
      - .actual_access:  read_only
        .address_space:  global
        .offset:         40
        .size:           8
        .value_kind:     global_buffer
      - .actual_access:  read_only
        .address_space:  global
        .offset:         48
        .size:           8
        .value_kind:     global_buffer
      - .actual_access:  read_only
        .address_space:  global
        .offset:         56
        .size:           8
        .value_kind:     global_buffer
      - .actual_access:  read_only
        .address_space:  global
        .offset:         64
        .size:           8
        .value_kind:     global_buffer
      - .actual_access:  read_only
        .address_space:  global
        .offset:         72
        .size:           8
        .value_kind:     global_buffer
      - .offset:         80
        .size:           8
        .value_kind:     by_value
      - .address_space:  global
        .offset:         88
        .size:           8
        .value_kind:     global_buffer
      - .offset:         96
        .size:           4
        .value_kind:     by_value
      - .offset:         100
        .size:           1
        .value_kind:     by_value
    .group_segment_fixed_size: 2312
    .kernarg_segment_align: 8
    .kernarg_segment_size: 104
    .language:       OpenCL C
    .language_version:
      - 2
      - 0
    .max_flat_workgroup_size: 289
    .name:           _ZN9rocsparseL20bsrxmvn_17_32_kernelILj17E21rocsparse_complex_numIfEllS2_S2_S2_EEvT2_20rocsparse_direction_NS_24const_host_device_scalarIT0_EES3_PKS3_PKT1_SC_S9_PKT3_PKT4_S7_PT5_21rocsparse_index_base_b
    .private_segment_fixed_size: 0
    .sgpr_count:     26
    .sgpr_spill_count: 0
    .symbol:         _ZN9rocsparseL20bsrxmvn_17_32_kernelILj17E21rocsparse_complex_numIfEllS2_S2_S2_EEvT2_20rocsparse_direction_NS_24const_host_device_scalarIT0_EES3_PKS3_PKT1_SC_S9_PKT3_PKT4_S7_PT5_21rocsparse_index_base_b.kd
    .uniform_work_group_size: 1
    .uses_dynamic_stack: false
    .vgpr_count:     20
    .vgpr_spill_count: 0
    .wavefront_size: 64
  - .args:
      - .offset:         0
        .size:           8
        .value_kind:     by_value
      - .offset:         8
        .size:           4
        .value_kind:     by_value
      - .offset:         16
        .size:           8
        .value_kind:     by_value
      - .offset:         24
        .size:           8
        .value_kind:     by_value
      - .actual_access:  read_only
        .address_space:  global
        .offset:         32
        .size:           8
        .value_kind:     global_buffer
      - .actual_access:  read_only
        .address_space:  global
        .offset:         40
        .size:           8
        .value_kind:     global_buffer
      - .actual_access:  read_only
        .address_space:  global
        .offset:         48
        .size:           8
        .value_kind:     global_buffer
      - .actual_access:  read_only
        .address_space:  global
        .offset:         56
        .size:           8
        .value_kind:     global_buffer
      - .actual_access:  read_only
        .address_space:  global
        .offset:         64
        .size:           8
        .value_kind:     global_buffer
      - .actual_access:  read_only
        .address_space:  global
        .offset:         72
        .size:           8
        .value_kind:     global_buffer
      - .offset:         80
        .size:           8
        .value_kind:     by_value
      - .address_space:  global
        .offset:         88
        .size:           8
        .value_kind:     global_buffer
      - .offset:         96
        .size:           4
        .value_kind:     by_value
      - .offset:         100
        .size:           1
        .value_kind:     by_value
    .group_segment_fixed_size: 2592
    .kernarg_segment_align: 8
    .kernarg_segment_size: 104
    .language:       OpenCL C
    .language_version:
      - 2
      - 0
    .max_flat_workgroup_size: 324
    .name:           _ZN9rocsparseL20bsrxmvn_17_32_kernelILj18E21rocsparse_complex_numIfEllS2_S2_S2_EEvT2_20rocsparse_direction_NS_24const_host_device_scalarIT0_EES3_PKS3_PKT1_SC_S9_PKT3_PKT4_S7_PT5_21rocsparse_index_base_b
    .private_segment_fixed_size: 0
    .sgpr_count:     26
    .sgpr_spill_count: 0
    .symbol:         _ZN9rocsparseL20bsrxmvn_17_32_kernelILj18E21rocsparse_complex_numIfEllS2_S2_S2_EEvT2_20rocsparse_direction_NS_24const_host_device_scalarIT0_EES3_PKS3_PKT1_SC_S9_PKT3_PKT4_S7_PT5_21rocsparse_index_base_b.kd
    .uniform_work_group_size: 1
    .uses_dynamic_stack: false
    .vgpr_count:     20
    .vgpr_spill_count: 0
    .wavefront_size: 64
  - .args:
      - .offset:         0
        .size:           8
        .value_kind:     by_value
      - .offset:         8
        .size:           4
        .value_kind:     by_value
      - .offset:         16
        .size:           8
        .value_kind:     by_value
      - .offset:         24
        .size:           8
        .value_kind:     by_value
      - .actual_access:  read_only
        .address_space:  global
        .offset:         32
        .size:           8
        .value_kind:     global_buffer
      - .actual_access:  read_only
        .address_space:  global
        .offset:         40
        .size:           8
        .value_kind:     global_buffer
      - .actual_access:  read_only
        .address_space:  global
        .offset:         48
        .size:           8
        .value_kind:     global_buffer
      - .actual_access:  read_only
        .address_space:  global
        .offset:         56
        .size:           8
        .value_kind:     global_buffer
      - .actual_access:  read_only
        .address_space:  global
        .offset:         64
        .size:           8
        .value_kind:     global_buffer
      - .actual_access:  read_only
        .address_space:  global
        .offset:         72
        .size:           8
        .value_kind:     global_buffer
      - .offset:         80
        .size:           8
        .value_kind:     by_value
      - .address_space:  global
        .offset:         88
        .size:           8
        .value_kind:     global_buffer
      - .offset:         96
        .size:           4
        .value_kind:     by_value
      - .offset:         100
        .size:           1
        .value_kind:     by_value
    .group_segment_fixed_size: 2888
    .kernarg_segment_align: 8
    .kernarg_segment_size: 104
    .language:       OpenCL C
    .language_version:
      - 2
      - 0
    .max_flat_workgroup_size: 361
    .name:           _ZN9rocsparseL20bsrxmvn_17_32_kernelILj19E21rocsparse_complex_numIfEllS2_S2_S2_EEvT2_20rocsparse_direction_NS_24const_host_device_scalarIT0_EES3_PKS3_PKT1_SC_S9_PKT3_PKT4_S7_PT5_21rocsparse_index_base_b
    .private_segment_fixed_size: 0
    .sgpr_count:     26
    .sgpr_spill_count: 0
    .symbol:         _ZN9rocsparseL20bsrxmvn_17_32_kernelILj19E21rocsparse_complex_numIfEllS2_S2_S2_EEvT2_20rocsparse_direction_NS_24const_host_device_scalarIT0_EES3_PKS3_PKT1_SC_S9_PKT3_PKT4_S7_PT5_21rocsparse_index_base_b.kd
    .uniform_work_group_size: 1
    .uses_dynamic_stack: false
    .vgpr_count:     22
    .vgpr_spill_count: 0
    .wavefront_size: 64
  - .args:
      - .offset:         0
        .size:           8
        .value_kind:     by_value
      - .offset:         8
        .size:           4
        .value_kind:     by_value
      - .offset:         16
        .size:           8
        .value_kind:     by_value
      - .offset:         24
        .size:           8
        .value_kind:     by_value
      - .actual_access:  read_only
        .address_space:  global
        .offset:         32
        .size:           8
        .value_kind:     global_buffer
      - .actual_access:  read_only
        .address_space:  global
        .offset:         40
        .size:           8
        .value_kind:     global_buffer
      - .actual_access:  read_only
        .address_space:  global
        .offset:         48
        .size:           8
        .value_kind:     global_buffer
      - .actual_access:  read_only
        .address_space:  global
        .offset:         56
        .size:           8
        .value_kind:     global_buffer
      - .actual_access:  read_only
        .address_space:  global
        .offset:         64
        .size:           8
        .value_kind:     global_buffer
      - .actual_access:  read_only
        .address_space:  global
        .offset:         72
        .size:           8
        .value_kind:     global_buffer
      - .offset:         80
        .size:           8
        .value_kind:     by_value
      - .address_space:  global
        .offset:         88
        .size:           8
        .value_kind:     global_buffer
      - .offset:         96
        .size:           4
        .value_kind:     by_value
      - .offset:         100
        .size:           1
        .value_kind:     by_value
    .group_segment_fixed_size: 3200
    .kernarg_segment_align: 8
    .kernarg_segment_size: 104
    .language:       OpenCL C
    .language_version:
      - 2
      - 0
    .max_flat_workgroup_size: 400
    .name:           _ZN9rocsparseL20bsrxmvn_17_32_kernelILj20E21rocsparse_complex_numIfEllS2_S2_S2_EEvT2_20rocsparse_direction_NS_24const_host_device_scalarIT0_EES3_PKS3_PKT1_SC_S9_PKT3_PKT4_S7_PT5_21rocsparse_index_base_b
    .private_segment_fixed_size: 0
    .sgpr_count:     26
    .sgpr_spill_count: 0
    .symbol:         _ZN9rocsparseL20bsrxmvn_17_32_kernelILj20E21rocsparse_complex_numIfEllS2_S2_S2_EEvT2_20rocsparse_direction_NS_24const_host_device_scalarIT0_EES3_PKS3_PKT1_SC_S9_PKT3_PKT4_S7_PT5_21rocsparse_index_base_b.kd
    .uniform_work_group_size: 1
    .uses_dynamic_stack: false
    .vgpr_count:     22
    .vgpr_spill_count: 0
    .wavefront_size: 64
  - .args:
      - .offset:         0
        .size:           8
        .value_kind:     by_value
      - .offset:         8
        .size:           4
        .value_kind:     by_value
      - .offset:         16
        .size:           8
        .value_kind:     by_value
      - .offset:         24
        .size:           8
        .value_kind:     by_value
      - .actual_access:  read_only
        .address_space:  global
        .offset:         32
        .size:           8
        .value_kind:     global_buffer
      - .actual_access:  read_only
        .address_space:  global
        .offset:         40
        .size:           8
        .value_kind:     global_buffer
      - .actual_access:  read_only
        .address_space:  global
        .offset:         48
        .size:           8
        .value_kind:     global_buffer
      - .actual_access:  read_only
        .address_space:  global
        .offset:         56
        .size:           8
        .value_kind:     global_buffer
      - .actual_access:  read_only
        .address_space:  global
        .offset:         64
        .size:           8
        .value_kind:     global_buffer
      - .actual_access:  read_only
        .address_space:  global
        .offset:         72
        .size:           8
        .value_kind:     global_buffer
      - .offset:         80
        .size:           8
        .value_kind:     by_value
      - .address_space:  global
        .offset:         88
        .size:           8
        .value_kind:     global_buffer
      - .offset:         96
        .size:           4
        .value_kind:     by_value
      - .offset:         100
        .size:           1
        .value_kind:     by_value
    .group_segment_fixed_size: 3528
    .kernarg_segment_align: 8
    .kernarg_segment_size: 104
    .language:       OpenCL C
    .language_version:
      - 2
      - 0
    .max_flat_workgroup_size: 441
    .name:           _ZN9rocsparseL20bsrxmvn_17_32_kernelILj21E21rocsparse_complex_numIfEllS2_S2_S2_EEvT2_20rocsparse_direction_NS_24const_host_device_scalarIT0_EES3_PKS3_PKT1_SC_S9_PKT3_PKT4_S7_PT5_21rocsparse_index_base_b
    .private_segment_fixed_size: 0
    .sgpr_count:     26
    .sgpr_spill_count: 0
    .symbol:         _ZN9rocsparseL20bsrxmvn_17_32_kernelILj21E21rocsparse_complex_numIfEllS2_S2_S2_EEvT2_20rocsparse_direction_NS_24const_host_device_scalarIT0_EES3_PKS3_PKT1_SC_S9_PKT3_PKT4_S7_PT5_21rocsparse_index_base_b.kd
    .uniform_work_group_size: 1
    .uses_dynamic_stack: false
    .vgpr_count:     22
    .vgpr_spill_count: 0
    .wavefront_size: 64
  - .args:
      - .offset:         0
        .size:           8
        .value_kind:     by_value
      - .offset:         8
        .size:           4
        .value_kind:     by_value
      - .offset:         16
        .size:           8
        .value_kind:     by_value
      - .offset:         24
        .size:           8
        .value_kind:     by_value
      - .actual_access:  read_only
        .address_space:  global
        .offset:         32
        .size:           8
        .value_kind:     global_buffer
      - .actual_access:  read_only
        .address_space:  global
        .offset:         40
        .size:           8
        .value_kind:     global_buffer
      - .actual_access:  read_only
        .address_space:  global
        .offset:         48
        .size:           8
        .value_kind:     global_buffer
      - .actual_access:  read_only
        .address_space:  global
        .offset:         56
        .size:           8
        .value_kind:     global_buffer
      - .actual_access:  read_only
        .address_space:  global
        .offset:         64
        .size:           8
        .value_kind:     global_buffer
      - .actual_access:  read_only
        .address_space:  global
        .offset:         72
        .size:           8
        .value_kind:     global_buffer
      - .offset:         80
        .size:           8
        .value_kind:     by_value
      - .address_space:  global
        .offset:         88
        .size:           8
        .value_kind:     global_buffer
      - .offset:         96
        .size:           4
        .value_kind:     by_value
      - .offset:         100
        .size:           1
        .value_kind:     by_value
    .group_segment_fixed_size: 3872
    .kernarg_segment_align: 8
    .kernarg_segment_size: 104
    .language:       OpenCL C
    .language_version:
      - 2
      - 0
    .max_flat_workgroup_size: 484
    .name:           _ZN9rocsparseL20bsrxmvn_17_32_kernelILj22E21rocsparse_complex_numIfEllS2_S2_S2_EEvT2_20rocsparse_direction_NS_24const_host_device_scalarIT0_EES3_PKS3_PKT1_SC_S9_PKT3_PKT4_S7_PT5_21rocsparse_index_base_b
    .private_segment_fixed_size: 0
    .sgpr_count:     26
    .sgpr_spill_count: 0
    .symbol:         _ZN9rocsparseL20bsrxmvn_17_32_kernelILj22E21rocsparse_complex_numIfEllS2_S2_S2_EEvT2_20rocsparse_direction_NS_24const_host_device_scalarIT0_EES3_PKS3_PKT1_SC_S9_PKT3_PKT4_S7_PT5_21rocsparse_index_base_b.kd
    .uniform_work_group_size: 1
    .uses_dynamic_stack: false
    .vgpr_count:     22
    .vgpr_spill_count: 0
    .wavefront_size: 64
  - .args:
      - .offset:         0
        .size:           8
        .value_kind:     by_value
      - .offset:         8
        .size:           4
        .value_kind:     by_value
      - .offset:         16
        .size:           8
        .value_kind:     by_value
      - .offset:         24
        .size:           8
        .value_kind:     by_value
      - .actual_access:  read_only
        .address_space:  global
        .offset:         32
        .size:           8
        .value_kind:     global_buffer
      - .actual_access:  read_only
        .address_space:  global
        .offset:         40
        .size:           8
        .value_kind:     global_buffer
      - .actual_access:  read_only
        .address_space:  global
        .offset:         48
        .size:           8
        .value_kind:     global_buffer
      - .actual_access:  read_only
        .address_space:  global
        .offset:         56
        .size:           8
        .value_kind:     global_buffer
      - .actual_access:  read_only
        .address_space:  global
        .offset:         64
        .size:           8
        .value_kind:     global_buffer
      - .actual_access:  read_only
        .address_space:  global
        .offset:         72
        .size:           8
        .value_kind:     global_buffer
      - .offset:         80
        .size:           8
        .value_kind:     by_value
      - .address_space:  global
        .offset:         88
        .size:           8
        .value_kind:     global_buffer
      - .offset:         96
        .size:           4
        .value_kind:     by_value
      - .offset:         100
        .size:           1
        .value_kind:     by_value
    .group_segment_fixed_size: 4232
    .kernarg_segment_align: 8
    .kernarg_segment_size: 104
    .language:       OpenCL C
    .language_version:
      - 2
      - 0
    .max_flat_workgroup_size: 529
    .name:           _ZN9rocsparseL20bsrxmvn_17_32_kernelILj23E21rocsparse_complex_numIfEllS2_S2_S2_EEvT2_20rocsparse_direction_NS_24const_host_device_scalarIT0_EES3_PKS3_PKT1_SC_S9_PKT3_PKT4_S7_PT5_21rocsparse_index_base_b
    .private_segment_fixed_size: 0
    .sgpr_count:     26
    .sgpr_spill_count: 0
    .symbol:         _ZN9rocsparseL20bsrxmvn_17_32_kernelILj23E21rocsparse_complex_numIfEllS2_S2_S2_EEvT2_20rocsparse_direction_NS_24const_host_device_scalarIT0_EES3_PKS3_PKT1_SC_S9_PKT3_PKT4_S7_PT5_21rocsparse_index_base_b.kd
    .uniform_work_group_size: 1
    .uses_dynamic_stack: false
    .vgpr_count:     22
    .vgpr_spill_count: 0
    .wavefront_size: 64
  - .args:
      - .offset:         0
        .size:           8
        .value_kind:     by_value
      - .offset:         8
        .size:           4
        .value_kind:     by_value
      - .offset:         16
        .size:           8
        .value_kind:     by_value
      - .offset:         24
        .size:           8
        .value_kind:     by_value
      - .actual_access:  read_only
        .address_space:  global
        .offset:         32
        .size:           8
        .value_kind:     global_buffer
      - .actual_access:  read_only
        .address_space:  global
        .offset:         40
        .size:           8
        .value_kind:     global_buffer
      - .actual_access:  read_only
        .address_space:  global
        .offset:         48
        .size:           8
        .value_kind:     global_buffer
      - .actual_access:  read_only
        .address_space:  global
        .offset:         56
        .size:           8
        .value_kind:     global_buffer
      - .actual_access:  read_only
        .address_space:  global
        .offset:         64
        .size:           8
        .value_kind:     global_buffer
      - .actual_access:  read_only
        .address_space:  global
        .offset:         72
        .size:           8
        .value_kind:     global_buffer
      - .offset:         80
        .size:           8
        .value_kind:     by_value
      - .address_space:  global
        .offset:         88
        .size:           8
        .value_kind:     global_buffer
      - .offset:         96
        .size:           4
        .value_kind:     by_value
      - .offset:         100
        .size:           1
        .value_kind:     by_value
    .group_segment_fixed_size: 4608
    .kernarg_segment_align: 8
    .kernarg_segment_size: 104
    .language:       OpenCL C
    .language_version:
      - 2
      - 0
    .max_flat_workgroup_size: 576
    .name:           _ZN9rocsparseL20bsrxmvn_17_32_kernelILj24E21rocsparse_complex_numIfEllS2_S2_S2_EEvT2_20rocsparse_direction_NS_24const_host_device_scalarIT0_EES3_PKS3_PKT1_SC_S9_PKT3_PKT4_S7_PT5_21rocsparse_index_base_b
    .private_segment_fixed_size: 0
    .sgpr_count:     26
    .sgpr_spill_count: 0
    .symbol:         _ZN9rocsparseL20bsrxmvn_17_32_kernelILj24E21rocsparse_complex_numIfEllS2_S2_S2_EEvT2_20rocsparse_direction_NS_24const_host_device_scalarIT0_EES3_PKS3_PKT1_SC_S9_PKT3_PKT4_S7_PT5_21rocsparse_index_base_b.kd
    .uniform_work_group_size: 1
    .uses_dynamic_stack: false
    .vgpr_count:     22
    .vgpr_spill_count: 0
    .wavefront_size: 64
  - .args:
      - .offset:         0
        .size:           8
        .value_kind:     by_value
      - .offset:         8
        .size:           4
        .value_kind:     by_value
      - .offset:         16
        .size:           8
        .value_kind:     by_value
      - .offset:         24
        .size:           8
        .value_kind:     by_value
      - .actual_access:  read_only
        .address_space:  global
        .offset:         32
        .size:           8
        .value_kind:     global_buffer
      - .actual_access:  read_only
        .address_space:  global
        .offset:         40
        .size:           8
        .value_kind:     global_buffer
      - .actual_access:  read_only
        .address_space:  global
        .offset:         48
        .size:           8
        .value_kind:     global_buffer
      - .actual_access:  read_only
        .address_space:  global
        .offset:         56
        .size:           8
        .value_kind:     global_buffer
      - .actual_access:  read_only
        .address_space:  global
        .offset:         64
        .size:           8
        .value_kind:     global_buffer
      - .actual_access:  read_only
        .address_space:  global
        .offset:         72
        .size:           8
        .value_kind:     global_buffer
      - .offset:         80
        .size:           8
        .value_kind:     by_value
      - .address_space:  global
        .offset:         88
        .size:           8
        .value_kind:     global_buffer
      - .offset:         96
        .size:           4
        .value_kind:     by_value
      - .offset:         100
        .size:           1
        .value_kind:     by_value
    .group_segment_fixed_size: 5000
    .kernarg_segment_align: 8
    .kernarg_segment_size: 104
    .language:       OpenCL C
    .language_version:
      - 2
      - 0
    .max_flat_workgroup_size: 625
    .name:           _ZN9rocsparseL20bsrxmvn_17_32_kernelILj25E21rocsparse_complex_numIfEllS2_S2_S2_EEvT2_20rocsparse_direction_NS_24const_host_device_scalarIT0_EES3_PKS3_PKT1_SC_S9_PKT3_PKT4_S7_PT5_21rocsparse_index_base_b
    .private_segment_fixed_size: 0
    .sgpr_count:     26
    .sgpr_spill_count: 0
    .symbol:         _ZN9rocsparseL20bsrxmvn_17_32_kernelILj25E21rocsparse_complex_numIfEllS2_S2_S2_EEvT2_20rocsparse_direction_NS_24const_host_device_scalarIT0_EES3_PKS3_PKT1_SC_S9_PKT3_PKT4_S7_PT5_21rocsparse_index_base_b.kd
    .uniform_work_group_size: 1
    .uses_dynamic_stack: false
    .vgpr_count:     22
    .vgpr_spill_count: 0
    .wavefront_size: 64
  - .args:
      - .offset:         0
        .size:           8
        .value_kind:     by_value
      - .offset:         8
        .size:           4
        .value_kind:     by_value
      - .offset:         16
        .size:           8
        .value_kind:     by_value
      - .offset:         24
        .size:           8
        .value_kind:     by_value
      - .actual_access:  read_only
        .address_space:  global
        .offset:         32
        .size:           8
        .value_kind:     global_buffer
      - .actual_access:  read_only
        .address_space:  global
        .offset:         40
        .size:           8
        .value_kind:     global_buffer
      - .actual_access:  read_only
        .address_space:  global
        .offset:         48
        .size:           8
        .value_kind:     global_buffer
      - .actual_access:  read_only
        .address_space:  global
        .offset:         56
        .size:           8
        .value_kind:     global_buffer
      - .actual_access:  read_only
        .address_space:  global
        .offset:         64
        .size:           8
        .value_kind:     global_buffer
      - .actual_access:  read_only
        .address_space:  global
        .offset:         72
        .size:           8
        .value_kind:     global_buffer
      - .offset:         80
        .size:           8
        .value_kind:     by_value
      - .address_space:  global
        .offset:         88
        .size:           8
        .value_kind:     global_buffer
      - .offset:         96
        .size:           4
        .value_kind:     by_value
      - .offset:         100
        .size:           1
        .value_kind:     by_value
    .group_segment_fixed_size: 5408
    .kernarg_segment_align: 8
    .kernarg_segment_size: 104
    .language:       OpenCL C
    .language_version:
      - 2
      - 0
    .max_flat_workgroup_size: 676
    .name:           _ZN9rocsparseL20bsrxmvn_17_32_kernelILj26E21rocsparse_complex_numIfEllS2_S2_S2_EEvT2_20rocsparse_direction_NS_24const_host_device_scalarIT0_EES3_PKS3_PKT1_SC_S9_PKT3_PKT4_S7_PT5_21rocsparse_index_base_b
    .private_segment_fixed_size: 0
    .sgpr_count:     26
    .sgpr_spill_count: 0
    .symbol:         _ZN9rocsparseL20bsrxmvn_17_32_kernelILj26E21rocsparse_complex_numIfEllS2_S2_S2_EEvT2_20rocsparse_direction_NS_24const_host_device_scalarIT0_EES3_PKS3_PKT1_SC_S9_PKT3_PKT4_S7_PT5_21rocsparse_index_base_b.kd
    .uniform_work_group_size: 1
    .uses_dynamic_stack: false
    .vgpr_count:     22
    .vgpr_spill_count: 0
    .wavefront_size: 64
  - .args:
      - .offset:         0
        .size:           8
        .value_kind:     by_value
      - .offset:         8
        .size:           4
        .value_kind:     by_value
      - .offset:         16
        .size:           8
        .value_kind:     by_value
      - .offset:         24
        .size:           8
        .value_kind:     by_value
      - .actual_access:  read_only
        .address_space:  global
        .offset:         32
        .size:           8
        .value_kind:     global_buffer
      - .actual_access:  read_only
        .address_space:  global
        .offset:         40
        .size:           8
        .value_kind:     global_buffer
      - .actual_access:  read_only
        .address_space:  global
        .offset:         48
        .size:           8
        .value_kind:     global_buffer
      - .actual_access:  read_only
        .address_space:  global
        .offset:         56
        .size:           8
        .value_kind:     global_buffer
      - .actual_access:  read_only
        .address_space:  global
        .offset:         64
        .size:           8
        .value_kind:     global_buffer
      - .actual_access:  read_only
        .address_space:  global
        .offset:         72
        .size:           8
        .value_kind:     global_buffer
      - .offset:         80
        .size:           8
        .value_kind:     by_value
      - .address_space:  global
        .offset:         88
        .size:           8
        .value_kind:     global_buffer
      - .offset:         96
        .size:           4
        .value_kind:     by_value
      - .offset:         100
        .size:           1
        .value_kind:     by_value
    .group_segment_fixed_size: 5832
    .kernarg_segment_align: 8
    .kernarg_segment_size: 104
    .language:       OpenCL C
    .language_version:
      - 2
      - 0
    .max_flat_workgroup_size: 729
    .name:           _ZN9rocsparseL20bsrxmvn_17_32_kernelILj27E21rocsparse_complex_numIfEllS2_S2_S2_EEvT2_20rocsparse_direction_NS_24const_host_device_scalarIT0_EES3_PKS3_PKT1_SC_S9_PKT3_PKT4_S7_PT5_21rocsparse_index_base_b
    .private_segment_fixed_size: 0
    .sgpr_count:     26
    .sgpr_spill_count: 0
    .symbol:         _ZN9rocsparseL20bsrxmvn_17_32_kernelILj27E21rocsparse_complex_numIfEllS2_S2_S2_EEvT2_20rocsparse_direction_NS_24const_host_device_scalarIT0_EES3_PKS3_PKT1_SC_S9_PKT3_PKT4_S7_PT5_21rocsparse_index_base_b.kd
    .uniform_work_group_size: 1
    .uses_dynamic_stack: false
    .vgpr_count:     22
    .vgpr_spill_count: 0
    .wavefront_size: 64
  - .args:
      - .offset:         0
        .size:           8
        .value_kind:     by_value
      - .offset:         8
        .size:           4
        .value_kind:     by_value
      - .offset:         16
        .size:           8
        .value_kind:     by_value
      - .offset:         24
        .size:           8
        .value_kind:     by_value
      - .actual_access:  read_only
        .address_space:  global
        .offset:         32
        .size:           8
        .value_kind:     global_buffer
      - .actual_access:  read_only
        .address_space:  global
        .offset:         40
        .size:           8
        .value_kind:     global_buffer
      - .actual_access:  read_only
        .address_space:  global
        .offset:         48
        .size:           8
        .value_kind:     global_buffer
      - .actual_access:  read_only
        .address_space:  global
        .offset:         56
        .size:           8
        .value_kind:     global_buffer
      - .actual_access:  read_only
        .address_space:  global
        .offset:         64
        .size:           8
        .value_kind:     global_buffer
      - .actual_access:  read_only
        .address_space:  global
        .offset:         72
        .size:           8
        .value_kind:     global_buffer
      - .offset:         80
        .size:           8
        .value_kind:     by_value
      - .address_space:  global
        .offset:         88
        .size:           8
        .value_kind:     global_buffer
      - .offset:         96
        .size:           4
        .value_kind:     by_value
      - .offset:         100
        .size:           1
        .value_kind:     by_value
    .group_segment_fixed_size: 6272
    .kernarg_segment_align: 8
    .kernarg_segment_size: 104
    .language:       OpenCL C
    .language_version:
      - 2
      - 0
    .max_flat_workgroup_size: 784
    .name:           _ZN9rocsparseL20bsrxmvn_17_32_kernelILj28E21rocsparse_complex_numIfEllS2_S2_S2_EEvT2_20rocsparse_direction_NS_24const_host_device_scalarIT0_EES3_PKS3_PKT1_SC_S9_PKT3_PKT4_S7_PT5_21rocsparse_index_base_b
    .private_segment_fixed_size: 0
    .sgpr_count:     26
    .sgpr_spill_count: 0
    .symbol:         _ZN9rocsparseL20bsrxmvn_17_32_kernelILj28E21rocsparse_complex_numIfEllS2_S2_S2_EEvT2_20rocsparse_direction_NS_24const_host_device_scalarIT0_EES3_PKS3_PKT1_SC_S9_PKT3_PKT4_S7_PT5_21rocsparse_index_base_b.kd
    .uniform_work_group_size: 1
    .uses_dynamic_stack: false
    .vgpr_count:     22
    .vgpr_spill_count: 0
    .wavefront_size: 64
  - .args:
      - .offset:         0
        .size:           8
        .value_kind:     by_value
      - .offset:         8
        .size:           4
        .value_kind:     by_value
      - .offset:         16
        .size:           8
        .value_kind:     by_value
      - .offset:         24
        .size:           8
        .value_kind:     by_value
      - .actual_access:  read_only
        .address_space:  global
        .offset:         32
        .size:           8
        .value_kind:     global_buffer
      - .actual_access:  read_only
        .address_space:  global
        .offset:         40
        .size:           8
        .value_kind:     global_buffer
      - .actual_access:  read_only
        .address_space:  global
        .offset:         48
        .size:           8
        .value_kind:     global_buffer
      - .actual_access:  read_only
        .address_space:  global
        .offset:         56
        .size:           8
        .value_kind:     global_buffer
      - .actual_access:  read_only
        .address_space:  global
        .offset:         64
        .size:           8
        .value_kind:     global_buffer
      - .actual_access:  read_only
        .address_space:  global
        .offset:         72
        .size:           8
        .value_kind:     global_buffer
      - .offset:         80
        .size:           8
        .value_kind:     by_value
      - .address_space:  global
        .offset:         88
        .size:           8
        .value_kind:     global_buffer
      - .offset:         96
        .size:           4
        .value_kind:     by_value
      - .offset:         100
        .size:           1
        .value_kind:     by_value
    .group_segment_fixed_size: 6728
    .kernarg_segment_align: 8
    .kernarg_segment_size: 104
    .language:       OpenCL C
    .language_version:
      - 2
      - 0
    .max_flat_workgroup_size: 841
    .name:           _ZN9rocsparseL20bsrxmvn_17_32_kernelILj29E21rocsparse_complex_numIfEllS2_S2_S2_EEvT2_20rocsparse_direction_NS_24const_host_device_scalarIT0_EES3_PKS3_PKT1_SC_S9_PKT3_PKT4_S7_PT5_21rocsparse_index_base_b
    .private_segment_fixed_size: 0
    .sgpr_count:     26
    .sgpr_spill_count: 0
    .symbol:         _ZN9rocsparseL20bsrxmvn_17_32_kernelILj29E21rocsparse_complex_numIfEllS2_S2_S2_EEvT2_20rocsparse_direction_NS_24const_host_device_scalarIT0_EES3_PKS3_PKT1_SC_S9_PKT3_PKT4_S7_PT5_21rocsparse_index_base_b.kd
    .uniform_work_group_size: 1
    .uses_dynamic_stack: false
    .vgpr_count:     22
    .vgpr_spill_count: 0
    .wavefront_size: 64
  - .args:
      - .offset:         0
        .size:           8
        .value_kind:     by_value
      - .offset:         8
        .size:           4
        .value_kind:     by_value
      - .offset:         16
        .size:           8
        .value_kind:     by_value
      - .offset:         24
        .size:           8
        .value_kind:     by_value
      - .actual_access:  read_only
        .address_space:  global
        .offset:         32
        .size:           8
        .value_kind:     global_buffer
      - .actual_access:  read_only
        .address_space:  global
        .offset:         40
        .size:           8
        .value_kind:     global_buffer
      - .actual_access:  read_only
        .address_space:  global
        .offset:         48
        .size:           8
        .value_kind:     global_buffer
      - .actual_access:  read_only
        .address_space:  global
        .offset:         56
        .size:           8
        .value_kind:     global_buffer
      - .actual_access:  read_only
        .address_space:  global
        .offset:         64
        .size:           8
        .value_kind:     global_buffer
      - .actual_access:  read_only
        .address_space:  global
        .offset:         72
        .size:           8
        .value_kind:     global_buffer
      - .offset:         80
        .size:           8
        .value_kind:     by_value
      - .address_space:  global
        .offset:         88
        .size:           8
        .value_kind:     global_buffer
      - .offset:         96
        .size:           4
        .value_kind:     by_value
      - .offset:         100
        .size:           1
        .value_kind:     by_value
    .group_segment_fixed_size: 7200
    .kernarg_segment_align: 8
    .kernarg_segment_size: 104
    .language:       OpenCL C
    .language_version:
      - 2
      - 0
    .max_flat_workgroup_size: 900
    .name:           _ZN9rocsparseL20bsrxmvn_17_32_kernelILj30E21rocsparse_complex_numIfEllS2_S2_S2_EEvT2_20rocsparse_direction_NS_24const_host_device_scalarIT0_EES3_PKS3_PKT1_SC_S9_PKT3_PKT4_S7_PT5_21rocsparse_index_base_b
    .private_segment_fixed_size: 0
    .sgpr_count:     26
    .sgpr_spill_count: 0
    .symbol:         _ZN9rocsparseL20bsrxmvn_17_32_kernelILj30E21rocsparse_complex_numIfEllS2_S2_S2_EEvT2_20rocsparse_direction_NS_24const_host_device_scalarIT0_EES3_PKS3_PKT1_SC_S9_PKT3_PKT4_S7_PT5_21rocsparse_index_base_b.kd
    .uniform_work_group_size: 1
    .uses_dynamic_stack: false
    .vgpr_count:     22
    .vgpr_spill_count: 0
    .wavefront_size: 64
  - .args:
      - .offset:         0
        .size:           8
        .value_kind:     by_value
      - .offset:         8
        .size:           4
        .value_kind:     by_value
      - .offset:         16
        .size:           8
        .value_kind:     by_value
      - .offset:         24
        .size:           8
        .value_kind:     by_value
      - .actual_access:  read_only
        .address_space:  global
        .offset:         32
        .size:           8
        .value_kind:     global_buffer
      - .actual_access:  read_only
        .address_space:  global
        .offset:         40
        .size:           8
        .value_kind:     global_buffer
      - .actual_access:  read_only
        .address_space:  global
        .offset:         48
        .size:           8
        .value_kind:     global_buffer
      - .actual_access:  read_only
        .address_space:  global
        .offset:         56
        .size:           8
        .value_kind:     global_buffer
      - .actual_access:  read_only
        .address_space:  global
        .offset:         64
        .size:           8
        .value_kind:     global_buffer
      - .actual_access:  read_only
        .address_space:  global
        .offset:         72
        .size:           8
        .value_kind:     global_buffer
      - .offset:         80
        .size:           8
        .value_kind:     by_value
      - .address_space:  global
        .offset:         88
        .size:           8
        .value_kind:     global_buffer
      - .offset:         96
        .size:           4
        .value_kind:     by_value
      - .offset:         100
        .size:           1
        .value_kind:     by_value
    .group_segment_fixed_size: 7688
    .kernarg_segment_align: 8
    .kernarg_segment_size: 104
    .language:       OpenCL C
    .language_version:
      - 2
      - 0
    .max_flat_workgroup_size: 961
    .name:           _ZN9rocsparseL20bsrxmvn_17_32_kernelILj31E21rocsparse_complex_numIfEllS2_S2_S2_EEvT2_20rocsparse_direction_NS_24const_host_device_scalarIT0_EES3_PKS3_PKT1_SC_S9_PKT3_PKT4_S7_PT5_21rocsparse_index_base_b
    .private_segment_fixed_size: 0
    .sgpr_count:     26
    .sgpr_spill_count: 0
    .symbol:         _ZN9rocsparseL20bsrxmvn_17_32_kernelILj31E21rocsparse_complex_numIfEllS2_S2_S2_EEvT2_20rocsparse_direction_NS_24const_host_device_scalarIT0_EES3_PKS3_PKT1_SC_S9_PKT3_PKT4_S7_PT5_21rocsparse_index_base_b.kd
    .uniform_work_group_size: 1
    .uses_dynamic_stack: false
    .vgpr_count:     22
    .vgpr_spill_count: 0
    .wavefront_size: 64
  - .args:
      - .offset:         0
        .size:           8
        .value_kind:     by_value
      - .offset:         8
        .size:           4
        .value_kind:     by_value
      - .offset:         16
        .size:           8
        .value_kind:     by_value
      - .offset:         24
        .size:           8
        .value_kind:     by_value
      - .actual_access:  read_only
        .address_space:  global
        .offset:         32
        .size:           8
        .value_kind:     global_buffer
      - .actual_access:  read_only
        .address_space:  global
        .offset:         40
        .size:           8
        .value_kind:     global_buffer
      - .actual_access:  read_only
        .address_space:  global
        .offset:         48
        .size:           8
        .value_kind:     global_buffer
      - .actual_access:  read_only
        .address_space:  global
        .offset:         56
        .size:           8
        .value_kind:     global_buffer
      - .actual_access:  read_only
        .address_space:  global
        .offset:         64
        .size:           8
        .value_kind:     global_buffer
      - .actual_access:  read_only
        .address_space:  global
        .offset:         72
        .size:           8
        .value_kind:     global_buffer
      - .offset:         80
        .size:           8
        .value_kind:     by_value
      - .address_space:  global
        .offset:         88
        .size:           8
        .value_kind:     global_buffer
      - .offset:         96
        .size:           4
        .value_kind:     by_value
      - .offset:         100
        .size:           1
        .value_kind:     by_value
    .group_segment_fixed_size: 8192
    .kernarg_segment_align: 8
    .kernarg_segment_size: 104
    .language:       OpenCL C
    .language_version:
      - 2
      - 0
    .max_flat_workgroup_size: 1024
    .name:           _ZN9rocsparseL20bsrxmvn_17_32_kernelILj32E21rocsparse_complex_numIfEllS2_S2_S2_EEvT2_20rocsparse_direction_NS_24const_host_device_scalarIT0_EES3_PKS3_PKT1_SC_S9_PKT3_PKT4_S7_PT5_21rocsparse_index_base_b
    .private_segment_fixed_size: 0
    .sgpr_count:     26
    .sgpr_spill_count: 0
    .symbol:         _ZN9rocsparseL20bsrxmvn_17_32_kernelILj32E21rocsparse_complex_numIfEllS2_S2_S2_EEvT2_20rocsparse_direction_NS_24const_host_device_scalarIT0_EES3_PKS3_PKT1_SC_S9_PKT3_PKT4_S7_PT5_21rocsparse_index_base_b.kd
    .uniform_work_group_size: 1
    .uses_dynamic_stack: false
    .vgpr_count:     19
    .vgpr_spill_count: 0
    .wavefront_size: 64
  - .args:
      - .offset:         0
        .size:           8
        .value_kind:     by_value
      - .offset:         8
        .size:           4
        .value_kind:     by_value
      - .offset:         16
        .size:           16
        .value_kind:     by_value
      - .offset:         32
        .size:           8
        .value_kind:     by_value
      - .actual_access:  read_only
        .address_space:  global
        .offset:         40
        .size:           8
        .value_kind:     global_buffer
      - .actual_access:  read_only
        .address_space:  global
        .offset:         48
        .size:           8
        .value_kind:     global_buffer
      - .actual_access:  read_only
        .address_space:  global
        .offset:         56
        .size:           8
        .value_kind:     global_buffer
      - .actual_access:  read_only
        .address_space:  global
        .offset:         64
        .size:           8
        .value_kind:     global_buffer
      - .actual_access:  read_only
        .address_space:  global
        .offset:         72
        .size:           8
        .value_kind:     global_buffer
      - .actual_access:  read_only
        .address_space:  global
        .offset:         80
        .size:           8
        .value_kind:     global_buffer
      - .offset:         88
        .size:           16
        .value_kind:     by_value
      - .address_space:  global
        .offset:         104
        .size:           8
        .value_kind:     global_buffer
      - .offset:         112
        .size:           4
        .value_kind:     by_value
      - .offset:         116
        .size:           1
        .value_kind:     by_value
    .group_segment_fixed_size: 4624
    .kernarg_segment_align: 8
    .kernarg_segment_size: 120
    .language:       OpenCL C
    .language_version:
      - 2
      - 0
    .max_flat_workgroup_size: 289
    .name:           _ZN9rocsparseL20bsrxmvn_17_32_kernelILj17E21rocsparse_complex_numIdEllS2_S2_S2_EEvT2_20rocsparse_direction_NS_24const_host_device_scalarIT0_EES3_PKS3_PKT1_SC_S9_PKT3_PKT4_S7_PT5_21rocsparse_index_base_b
    .private_segment_fixed_size: 0
    .sgpr_count:     26
    .sgpr_spill_count: 0
    .symbol:         _ZN9rocsparseL20bsrxmvn_17_32_kernelILj17E21rocsparse_complex_numIdEllS2_S2_S2_EEvT2_20rocsparse_direction_NS_24const_host_device_scalarIT0_EES3_PKS3_PKT1_SC_S9_PKT3_PKT4_S7_PT5_21rocsparse_index_base_b.kd
    .uniform_work_group_size: 1
    .uses_dynamic_stack: false
    .vgpr_count:     32
    .vgpr_spill_count: 0
    .wavefront_size: 64
  - .args:
      - .offset:         0
        .size:           8
        .value_kind:     by_value
      - .offset:         8
        .size:           4
        .value_kind:     by_value
      - .offset:         16
        .size:           16
        .value_kind:     by_value
      - .offset:         32
        .size:           8
        .value_kind:     by_value
      - .actual_access:  read_only
        .address_space:  global
        .offset:         40
        .size:           8
        .value_kind:     global_buffer
      - .actual_access:  read_only
        .address_space:  global
        .offset:         48
        .size:           8
        .value_kind:     global_buffer
      - .actual_access:  read_only
        .address_space:  global
        .offset:         56
        .size:           8
        .value_kind:     global_buffer
      - .actual_access:  read_only
        .address_space:  global
        .offset:         64
        .size:           8
        .value_kind:     global_buffer
      - .actual_access:  read_only
        .address_space:  global
        .offset:         72
        .size:           8
        .value_kind:     global_buffer
      - .actual_access:  read_only
        .address_space:  global
        .offset:         80
        .size:           8
        .value_kind:     global_buffer
      - .offset:         88
        .size:           16
        .value_kind:     by_value
      - .address_space:  global
        .offset:         104
        .size:           8
        .value_kind:     global_buffer
      - .offset:         112
        .size:           4
        .value_kind:     by_value
      - .offset:         116
        .size:           1
        .value_kind:     by_value
    .group_segment_fixed_size: 5184
    .kernarg_segment_align: 8
    .kernarg_segment_size: 120
    .language:       OpenCL C
    .language_version:
      - 2
      - 0
    .max_flat_workgroup_size: 324
    .name:           _ZN9rocsparseL20bsrxmvn_17_32_kernelILj18E21rocsparse_complex_numIdEllS2_S2_S2_EEvT2_20rocsparse_direction_NS_24const_host_device_scalarIT0_EES3_PKS3_PKT1_SC_S9_PKT3_PKT4_S7_PT5_21rocsparse_index_base_b
    .private_segment_fixed_size: 0
    .sgpr_count:     26
    .sgpr_spill_count: 0
    .symbol:         _ZN9rocsparseL20bsrxmvn_17_32_kernelILj18E21rocsparse_complex_numIdEllS2_S2_S2_EEvT2_20rocsparse_direction_NS_24const_host_device_scalarIT0_EES3_PKS3_PKT1_SC_S9_PKT3_PKT4_S7_PT5_21rocsparse_index_base_b.kd
    .uniform_work_group_size: 1
    .uses_dynamic_stack: false
    .vgpr_count:     32
    .vgpr_spill_count: 0
    .wavefront_size: 64
  - .args:
      - .offset:         0
        .size:           8
        .value_kind:     by_value
      - .offset:         8
        .size:           4
        .value_kind:     by_value
      - .offset:         16
        .size:           16
        .value_kind:     by_value
      - .offset:         32
        .size:           8
        .value_kind:     by_value
      - .actual_access:  read_only
        .address_space:  global
        .offset:         40
        .size:           8
        .value_kind:     global_buffer
      - .actual_access:  read_only
        .address_space:  global
        .offset:         48
        .size:           8
        .value_kind:     global_buffer
      - .actual_access:  read_only
        .address_space:  global
        .offset:         56
        .size:           8
        .value_kind:     global_buffer
      - .actual_access:  read_only
        .address_space:  global
        .offset:         64
        .size:           8
        .value_kind:     global_buffer
      - .actual_access:  read_only
        .address_space:  global
        .offset:         72
        .size:           8
        .value_kind:     global_buffer
      - .actual_access:  read_only
        .address_space:  global
        .offset:         80
        .size:           8
        .value_kind:     global_buffer
      - .offset:         88
        .size:           16
        .value_kind:     by_value
      - .address_space:  global
        .offset:         104
        .size:           8
        .value_kind:     global_buffer
      - .offset:         112
        .size:           4
        .value_kind:     by_value
      - .offset:         116
        .size:           1
        .value_kind:     by_value
    .group_segment_fixed_size: 5776
    .kernarg_segment_align: 8
    .kernarg_segment_size: 120
    .language:       OpenCL C
    .language_version:
      - 2
      - 0
    .max_flat_workgroup_size: 361
    .name:           _ZN9rocsparseL20bsrxmvn_17_32_kernelILj19E21rocsparse_complex_numIdEllS2_S2_S2_EEvT2_20rocsparse_direction_NS_24const_host_device_scalarIT0_EES3_PKS3_PKT1_SC_S9_PKT3_PKT4_S7_PT5_21rocsparse_index_base_b
    .private_segment_fixed_size: 0
    .sgpr_count:     26
    .sgpr_spill_count: 0
    .symbol:         _ZN9rocsparseL20bsrxmvn_17_32_kernelILj19E21rocsparse_complex_numIdEllS2_S2_S2_EEvT2_20rocsparse_direction_NS_24const_host_device_scalarIT0_EES3_PKS3_PKT1_SC_S9_PKT3_PKT4_S7_PT5_21rocsparse_index_base_b.kd
    .uniform_work_group_size: 1
    .uses_dynamic_stack: false
    .vgpr_count:     32
    .vgpr_spill_count: 0
    .wavefront_size: 64
  - .args:
      - .offset:         0
        .size:           8
        .value_kind:     by_value
      - .offset:         8
        .size:           4
        .value_kind:     by_value
      - .offset:         16
        .size:           16
        .value_kind:     by_value
      - .offset:         32
        .size:           8
        .value_kind:     by_value
      - .actual_access:  read_only
        .address_space:  global
        .offset:         40
        .size:           8
        .value_kind:     global_buffer
      - .actual_access:  read_only
        .address_space:  global
        .offset:         48
        .size:           8
        .value_kind:     global_buffer
      - .actual_access:  read_only
        .address_space:  global
        .offset:         56
        .size:           8
        .value_kind:     global_buffer
      - .actual_access:  read_only
        .address_space:  global
        .offset:         64
        .size:           8
        .value_kind:     global_buffer
      - .actual_access:  read_only
        .address_space:  global
        .offset:         72
        .size:           8
        .value_kind:     global_buffer
      - .actual_access:  read_only
        .address_space:  global
        .offset:         80
        .size:           8
        .value_kind:     global_buffer
      - .offset:         88
        .size:           16
        .value_kind:     by_value
      - .address_space:  global
        .offset:         104
        .size:           8
        .value_kind:     global_buffer
      - .offset:         112
        .size:           4
        .value_kind:     by_value
      - .offset:         116
        .size:           1
        .value_kind:     by_value
    .group_segment_fixed_size: 6400
    .kernarg_segment_align: 8
    .kernarg_segment_size: 120
    .language:       OpenCL C
    .language_version:
      - 2
      - 0
    .max_flat_workgroup_size: 400
    .name:           _ZN9rocsparseL20bsrxmvn_17_32_kernelILj20E21rocsparse_complex_numIdEllS2_S2_S2_EEvT2_20rocsparse_direction_NS_24const_host_device_scalarIT0_EES3_PKS3_PKT1_SC_S9_PKT3_PKT4_S7_PT5_21rocsparse_index_base_b
    .private_segment_fixed_size: 0
    .sgpr_count:     26
    .sgpr_spill_count: 0
    .symbol:         _ZN9rocsparseL20bsrxmvn_17_32_kernelILj20E21rocsparse_complex_numIdEllS2_S2_S2_EEvT2_20rocsparse_direction_NS_24const_host_device_scalarIT0_EES3_PKS3_PKT1_SC_S9_PKT3_PKT4_S7_PT5_21rocsparse_index_base_b.kd
    .uniform_work_group_size: 1
    .uses_dynamic_stack: false
    .vgpr_count:     32
    .vgpr_spill_count: 0
    .wavefront_size: 64
  - .args:
      - .offset:         0
        .size:           8
        .value_kind:     by_value
      - .offset:         8
        .size:           4
        .value_kind:     by_value
      - .offset:         16
        .size:           16
        .value_kind:     by_value
      - .offset:         32
        .size:           8
        .value_kind:     by_value
      - .actual_access:  read_only
        .address_space:  global
        .offset:         40
        .size:           8
        .value_kind:     global_buffer
      - .actual_access:  read_only
        .address_space:  global
        .offset:         48
        .size:           8
        .value_kind:     global_buffer
      - .actual_access:  read_only
        .address_space:  global
        .offset:         56
        .size:           8
        .value_kind:     global_buffer
      - .actual_access:  read_only
        .address_space:  global
        .offset:         64
        .size:           8
        .value_kind:     global_buffer
      - .actual_access:  read_only
        .address_space:  global
        .offset:         72
        .size:           8
        .value_kind:     global_buffer
      - .actual_access:  read_only
        .address_space:  global
        .offset:         80
        .size:           8
        .value_kind:     global_buffer
      - .offset:         88
        .size:           16
        .value_kind:     by_value
      - .address_space:  global
        .offset:         104
        .size:           8
        .value_kind:     global_buffer
      - .offset:         112
        .size:           4
        .value_kind:     by_value
      - .offset:         116
        .size:           1
        .value_kind:     by_value
    .group_segment_fixed_size: 7056
    .kernarg_segment_align: 8
    .kernarg_segment_size: 120
    .language:       OpenCL C
    .language_version:
      - 2
      - 0
    .max_flat_workgroup_size: 441
    .name:           _ZN9rocsparseL20bsrxmvn_17_32_kernelILj21E21rocsparse_complex_numIdEllS2_S2_S2_EEvT2_20rocsparse_direction_NS_24const_host_device_scalarIT0_EES3_PKS3_PKT1_SC_S9_PKT3_PKT4_S7_PT5_21rocsparse_index_base_b
    .private_segment_fixed_size: 0
    .sgpr_count:     26
    .sgpr_spill_count: 0
    .symbol:         _ZN9rocsparseL20bsrxmvn_17_32_kernelILj21E21rocsparse_complex_numIdEllS2_S2_S2_EEvT2_20rocsparse_direction_NS_24const_host_device_scalarIT0_EES3_PKS3_PKT1_SC_S9_PKT3_PKT4_S7_PT5_21rocsparse_index_base_b.kd
    .uniform_work_group_size: 1
    .uses_dynamic_stack: false
    .vgpr_count:     32
    .vgpr_spill_count: 0
    .wavefront_size: 64
  - .args:
      - .offset:         0
        .size:           8
        .value_kind:     by_value
      - .offset:         8
        .size:           4
        .value_kind:     by_value
      - .offset:         16
        .size:           16
        .value_kind:     by_value
      - .offset:         32
        .size:           8
        .value_kind:     by_value
      - .actual_access:  read_only
        .address_space:  global
        .offset:         40
        .size:           8
        .value_kind:     global_buffer
      - .actual_access:  read_only
        .address_space:  global
        .offset:         48
        .size:           8
        .value_kind:     global_buffer
      - .actual_access:  read_only
        .address_space:  global
        .offset:         56
        .size:           8
        .value_kind:     global_buffer
      - .actual_access:  read_only
        .address_space:  global
        .offset:         64
        .size:           8
        .value_kind:     global_buffer
      - .actual_access:  read_only
        .address_space:  global
        .offset:         72
        .size:           8
        .value_kind:     global_buffer
      - .actual_access:  read_only
        .address_space:  global
        .offset:         80
        .size:           8
        .value_kind:     global_buffer
      - .offset:         88
        .size:           16
        .value_kind:     by_value
      - .address_space:  global
        .offset:         104
        .size:           8
        .value_kind:     global_buffer
      - .offset:         112
        .size:           4
        .value_kind:     by_value
      - .offset:         116
        .size:           1
        .value_kind:     by_value
    .group_segment_fixed_size: 7744
    .kernarg_segment_align: 8
    .kernarg_segment_size: 120
    .language:       OpenCL C
    .language_version:
      - 2
      - 0
    .max_flat_workgroup_size: 484
    .name:           _ZN9rocsparseL20bsrxmvn_17_32_kernelILj22E21rocsparse_complex_numIdEllS2_S2_S2_EEvT2_20rocsparse_direction_NS_24const_host_device_scalarIT0_EES3_PKS3_PKT1_SC_S9_PKT3_PKT4_S7_PT5_21rocsparse_index_base_b
    .private_segment_fixed_size: 0
    .sgpr_count:     26
    .sgpr_spill_count: 0
    .symbol:         _ZN9rocsparseL20bsrxmvn_17_32_kernelILj22E21rocsparse_complex_numIdEllS2_S2_S2_EEvT2_20rocsparse_direction_NS_24const_host_device_scalarIT0_EES3_PKS3_PKT1_SC_S9_PKT3_PKT4_S7_PT5_21rocsparse_index_base_b.kd
    .uniform_work_group_size: 1
    .uses_dynamic_stack: false
    .vgpr_count:     32
    .vgpr_spill_count: 0
    .wavefront_size: 64
  - .args:
      - .offset:         0
        .size:           8
        .value_kind:     by_value
      - .offset:         8
        .size:           4
        .value_kind:     by_value
      - .offset:         16
        .size:           16
        .value_kind:     by_value
      - .offset:         32
        .size:           8
        .value_kind:     by_value
      - .actual_access:  read_only
        .address_space:  global
        .offset:         40
        .size:           8
        .value_kind:     global_buffer
      - .actual_access:  read_only
        .address_space:  global
        .offset:         48
        .size:           8
        .value_kind:     global_buffer
      - .actual_access:  read_only
        .address_space:  global
        .offset:         56
        .size:           8
        .value_kind:     global_buffer
      - .actual_access:  read_only
        .address_space:  global
        .offset:         64
        .size:           8
        .value_kind:     global_buffer
      - .actual_access:  read_only
        .address_space:  global
        .offset:         72
        .size:           8
        .value_kind:     global_buffer
      - .actual_access:  read_only
        .address_space:  global
        .offset:         80
        .size:           8
        .value_kind:     global_buffer
      - .offset:         88
        .size:           16
        .value_kind:     by_value
      - .address_space:  global
        .offset:         104
        .size:           8
        .value_kind:     global_buffer
      - .offset:         112
        .size:           4
        .value_kind:     by_value
      - .offset:         116
        .size:           1
        .value_kind:     by_value
    .group_segment_fixed_size: 8464
    .kernarg_segment_align: 8
    .kernarg_segment_size: 120
    .language:       OpenCL C
    .language_version:
      - 2
      - 0
    .max_flat_workgroup_size: 529
    .name:           _ZN9rocsparseL20bsrxmvn_17_32_kernelILj23E21rocsparse_complex_numIdEllS2_S2_S2_EEvT2_20rocsparse_direction_NS_24const_host_device_scalarIT0_EES3_PKS3_PKT1_SC_S9_PKT3_PKT4_S7_PT5_21rocsparse_index_base_b
    .private_segment_fixed_size: 0
    .sgpr_count:     26
    .sgpr_spill_count: 0
    .symbol:         _ZN9rocsparseL20bsrxmvn_17_32_kernelILj23E21rocsparse_complex_numIdEllS2_S2_S2_EEvT2_20rocsparse_direction_NS_24const_host_device_scalarIT0_EES3_PKS3_PKT1_SC_S9_PKT3_PKT4_S7_PT5_21rocsparse_index_base_b.kd
    .uniform_work_group_size: 1
    .uses_dynamic_stack: false
    .vgpr_count:     32
    .vgpr_spill_count: 0
    .wavefront_size: 64
  - .args:
      - .offset:         0
        .size:           8
        .value_kind:     by_value
      - .offset:         8
        .size:           4
        .value_kind:     by_value
      - .offset:         16
        .size:           16
        .value_kind:     by_value
      - .offset:         32
        .size:           8
        .value_kind:     by_value
      - .actual_access:  read_only
        .address_space:  global
        .offset:         40
        .size:           8
        .value_kind:     global_buffer
      - .actual_access:  read_only
        .address_space:  global
        .offset:         48
        .size:           8
        .value_kind:     global_buffer
      - .actual_access:  read_only
        .address_space:  global
        .offset:         56
        .size:           8
        .value_kind:     global_buffer
      - .actual_access:  read_only
        .address_space:  global
        .offset:         64
        .size:           8
        .value_kind:     global_buffer
      - .actual_access:  read_only
        .address_space:  global
        .offset:         72
        .size:           8
        .value_kind:     global_buffer
      - .actual_access:  read_only
        .address_space:  global
        .offset:         80
        .size:           8
        .value_kind:     global_buffer
      - .offset:         88
        .size:           16
        .value_kind:     by_value
      - .address_space:  global
        .offset:         104
        .size:           8
        .value_kind:     global_buffer
      - .offset:         112
        .size:           4
        .value_kind:     by_value
      - .offset:         116
        .size:           1
        .value_kind:     by_value
    .group_segment_fixed_size: 9216
    .kernarg_segment_align: 8
    .kernarg_segment_size: 120
    .language:       OpenCL C
    .language_version:
      - 2
      - 0
    .max_flat_workgroup_size: 576
    .name:           _ZN9rocsparseL20bsrxmvn_17_32_kernelILj24E21rocsparse_complex_numIdEllS2_S2_S2_EEvT2_20rocsparse_direction_NS_24const_host_device_scalarIT0_EES3_PKS3_PKT1_SC_S9_PKT3_PKT4_S7_PT5_21rocsparse_index_base_b
    .private_segment_fixed_size: 0
    .sgpr_count:     26
    .sgpr_spill_count: 0
    .symbol:         _ZN9rocsparseL20bsrxmvn_17_32_kernelILj24E21rocsparse_complex_numIdEllS2_S2_S2_EEvT2_20rocsparse_direction_NS_24const_host_device_scalarIT0_EES3_PKS3_PKT1_SC_S9_PKT3_PKT4_S7_PT5_21rocsparse_index_base_b.kd
    .uniform_work_group_size: 1
    .uses_dynamic_stack: false
    .vgpr_count:     32
    .vgpr_spill_count: 0
    .wavefront_size: 64
  - .args:
      - .offset:         0
        .size:           8
        .value_kind:     by_value
      - .offset:         8
        .size:           4
        .value_kind:     by_value
      - .offset:         16
        .size:           16
        .value_kind:     by_value
      - .offset:         32
        .size:           8
        .value_kind:     by_value
      - .actual_access:  read_only
        .address_space:  global
        .offset:         40
        .size:           8
        .value_kind:     global_buffer
      - .actual_access:  read_only
        .address_space:  global
        .offset:         48
        .size:           8
        .value_kind:     global_buffer
      - .actual_access:  read_only
        .address_space:  global
        .offset:         56
        .size:           8
        .value_kind:     global_buffer
      - .actual_access:  read_only
        .address_space:  global
        .offset:         64
        .size:           8
        .value_kind:     global_buffer
      - .actual_access:  read_only
        .address_space:  global
        .offset:         72
        .size:           8
        .value_kind:     global_buffer
      - .actual_access:  read_only
        .address_space:  global
        .offset:         80
        .size:           8
        .value_kind:     global_buffer
      - .offset:         88
        .size:           16
        .value_kind:     by_value
      - .address_space:  global
        .offset:         104
        .size:           8
        .value_kind:     global_buffer
      - .offset:         112
        .size:           4
        .value_kind:     by_value
      - .offset:         116
        .size:           1
        .value_kind:     by_value
    .group_segment_fixed_size: 10000
    .kernarg_segment_align: 8
    .kernarg_segment_size: 120
    .language:       OpenCL C
    .language_version:
      - 2
      - 0
    .max_flat_workgroup_size: 625
    .name:           _ZN9rocsparseL20bsrxmvn_17_32_kernelILj25E21rocsparse_complex_numIdEllS2_S2_S2_EEvT2_20rocsparse_direction_NS_24const_host_device_scalarIT0_EES3_PKS3_PKT1_SC_S9_PKT3_PKT4_S7_PT5_21rocsparse_index_base_b
    .private_segment_fixed_size: 0
    .sgpr_count:     26
    .sgpr_spill_count: 0
    .symbol:         _ZN9rocsparseL20bsrxmvn_17_32_kernelILj25E21rocsparse_complex_numIdEllS2_S2_S2_EEvT2_20rocsparse_direction_NS_24const_host_device_scalarIT0_EES3_PKS3_PKT1_SC_S9_PKT3_PKT4_S7_PT5_21rocsparse_index_base_b.kd
    .uniform_work_group_size: 1
    .uses_dynamic_stack: false
    .vgpr_count:     32
    .vgpr_spill_count: 0
    .wavefront_size: 64
  - .args:
      - .offset:         0
        .size:           8
        .value_kind:     by_value
      - .offset:         8
        .size:           4
        .value_kind:     by_value
      - .offset:         16
        .size:           16
        .value_kind:     by_value
      - .offset:         32
        .size:           8
        .value_kind:     by_value
      - .actual_access:  read_only
        .address_space:  global
        .offset:         40
        .size:           8
        .value_kind:     global_buffer
      - .actual_access:  read_only
        .address_space:  global
        .offset:         48
        .size:           8
        .value_kind:     global_buffer
      - .actual_access:  read_only
        .address_space:  global
        .offset:         56
        .size:           8
        .value_kind:     global_buffer
      - .actual_access:  read_only
        .address_space:  global
        .offset:         64
        .size:           8
        .value_kind:     global_buffer
      - .actual_access:  read_only
        .address_space:  global
        .offset:         72
        .size:           8
        .value_kind:     global_buffer
      - .actual_access:  read_only
        .address_space:  global
        .offset:         80
        .size:           8
        .value_kind:     global_buffer
      - .offset:         88
        .size:           16
        .value_kind:     by_value
      - .address_space:  global
        .offset:         104
        .size:           8
        .value_kind:     global_buffer
      - .offset:         112
        .size:           4
        .value_kind:     by_value
      - .offset:         116
        .size:           1
        .value_kind:     by_value
    .group_segment_fixed_size: 10816
    .kernarg_segment_align: 8
    .kernarg_segment_size: 120
    .language:       OpenCL C
    .language_version:
      - 2
      - 0
    .max_flat_workgroup_size: 676
    .name:           _ZN9rocsparseL20bsrxmvn_17_32_kernelILj26E21rocsparse_complex_numIdEllS2_S2_S2_EEvT2_20rocsparse_direction_NS_24const_host_device_scalarIT0_EES3_PKS3_PKT1_SC_S9_PKT3_PKT4_S7_PT5_21rocsparse_index_base_b
    .private_segment_fixed_size: 0
    .sgpr_count:     26
    .sgpr_spill_count: 0
    .symbol:         _ZN9rocsparseL20bsrxmvn_17_32_kernelILj26E21rocsparse_complex_numIdEllS2_S2_S2_EEvT2_20rocsparse_direction_NS_24const_host_device_scalarIT0_EES3_PKS3_PKT1_SC_S9_PKT3_PKT4_S7_PT5_21rocsparse_index_base_b.kd
    .uniform_work_group_size: 1
    .uses_dynamic_stack: false
    .vgpr_count:     32
    .vgpr_spill_count: 0
    .wavefront_size: 64
  - .args:
      - .offset:         0
        .size:           8
        .value_kind:     by_value
      - .offset:         8
        .size:           4
        .value_kind:     by_value
      - .offset:         16
        .size:           16
        .value_kind:     by_value
      - .offset:         32
        .size:           8
        .value_kind:     by_value
      - .actual_access:  read_only
        .address_space:  global
        .offset:         40
        .size:           8
        .value_kind:     global_buffer
      - .actual_access:  read_only
        .address_space:  global
        .offset:         48
        .size:           8
        .value_kind:     global_buffer
      - .actual_access:  read_only
        .address_space:  global
        .offset:         56
        .size:           8
        .value_kind:     global_buffer
      - .actual_access:  read_only
        .address_space:  global
        .offset:         64
        .size:           8
        .value_kind:     global_buffer
      - .actual_access:  read_only
        .address_space:  global
        .offset:         72
        .size:           8
        .value_kind:     global_buffer
      - .actual_access:  read_only
        .address_space:  global
        .offset:         80
        .size:           8
        .value_kind:     global_buffer
      - .offset:         88
        .size:           16
        .value_kind:     by_value
      - .address_space:  global
        .offset:         104
        .size:           8
        .value_kind:     global_buffer
      - .offset:         112
        .size:           4
        .value_kind:     by_value
      - .offset:         116
        .size:           1
        .value_kind:     by_value
    .group_segment_fixed_size: 11664
    .kernarg_segment_align: 8
    .kernarg_segment_size: 120
    .language:       OpenCL C
    .language_version:
      - 2
      - 0
    .max_flat_workgroup_size: 729
    .name:           _ZN9rocsparseL20bsrxmvn_17_32_kernelILj27E21rocsparse_complex_numIdEllS2_S2_S2_EEvT2_20rocsparse_direction_NS_24const_host_device_scalarIT0_EES3_PKS3_PKT1_SC_S9_PKT3_PKT4_S7_PT5_21rocsparse_index_base_b
    .private_segment_fixed_size: 0
    .sgpr_count:     26
    .sgpr_spill_count: 0
    .symbol:         _ZN9rocsparseL20bsrxmvn_17_32_kernelILj27E21rocsparse_complex_numIdEllS2_S2_S2_EEvT2_20rocsparse_direction_NS_24const_host_device_scalarIT0_EES3_PKS3_PKT1_SC_S9_PKT3_PKT4_S7_PT5_21rocsparse_index_base_b.kd
    .uniform_work_group_size: 1
    .uses_dynamic_stack: false
    .vgpr_count:     32
    .vgpr_spill_count: 0
    .wavefront_size: 64
  - .args:
      - .offset:         0
        .size:           8
        .value_kind:     by_value
      - .offset:         8
        .size:           4
        .value_kind:     by_value
      - .offset:         16
        .size:           16
        .value_kind:     by_value
      - .offset:         32
        .size:           8
        .value_kind:     by_value
      - .actual_access:  read_only
        .address_space:  global
        .offset:         40
        .size:           8
        .value_kind:     global_buffer
      - .actual_access:  read_only
        .address_space:  global
        .offset:         48
        .size:           8
        .value_kind:     global_buffer
      - .actual_access:  read_only
        .address_space:  global
        .offset:         56
        .size:           8
        .value_kind:     global_buffer
      - .actual_access:  read_only
        .address_space:  global
        .offset:         64
        .size:           8
        .value_kind:     global_buffer
      - .actual_access:  read_only
        .address_space:  global
        .offset:         72
        .size:           8
        .value_kind:     global_buffer
      - .actual_access:  read_only
        .address_space:  global
        .offset:         80
        .size:           8
        .value_kind:     global_buffer
      - .offset:         88
        .size:           16
        .value_kind:     by_value
      - .address_space:  global
        .offset:         104
        .size:           8
        .value_kind:     global_buffer
      - .offset:         112
        .size:           4
        .value_kind:     by_value
      - .offset:         116
        .size:           1
        .value_kind:     by_value
    .group_segment_fixed_size: 12544
    .kernarg_segment_align: 8
    .kernarg_segment_size: 120
    .language:       OpenCL C
    .language_version:
      - 2
      - 0
    .max_flat_workgroup_size: 784
    .name:           _ZN9rocsparseL20bsrxmvn_17_32_kernelILj28E21rocsparse_complex_numIdEllS2_S2_S2_EEvT2_20rocsparse_direction_NS_24const_host_device_scalarIT0_EES3_PKS3_PKT1_SC_S9_PKT3_PKT4_S7_PT5_21rocsparse_index_base_b
    .private_segment_fixed_size: 0
    .sgpr_count:     26
    .sgpr_spill_count: 0
    .symbol:         _ZN9rocsparseL20bsrxmvn_17_32_kernelILj28E21rocsparse_complex_numIdEllS2_S2_S2_EEvT2_20rocsparse_direction_NS_24const_host_device_scalarIT0_EES3_PKS3_PKT1_SC_S9_PKT3_PKT4_S7_PT5_21rocsparse_index_base_b.kd
    .uniform_work_group_size: 1
    .uses_dynamic_stack: false
    .vgpr_count:     30
    .vgpr_spill_count: 0
    .wavefront_size: 64
  - .args:
      - .offset:         0
        .size:           8
        .value_kind:     by_value
      - .offset:         8
        .size:           4
        .value_kind:     by_value
      - .offset:         16
        .size:           16
        .value_kind:     by_value
      - .offset:         32
        .size:           8
        .value_kind:     by_value
      - .actual_access:  read_only
        .address_space:  global
        .offset:         40
        .size:           8
        .value_kind:     global_buffer
      - .actual_access:  read_only
        .address_space:  global
        .offset:         48
        .size:           8
        .value_kind:     global_buffer
      - .actual_access:  read_only
        .address_space:  global
        .offset:         56
        .size:           8
        .value_kind:     global_buffer
      - .actual_access:  read_only
        .address_space:  global
        .offset:         64
        .size:           8
        .value_kind:     global_buffer
      - .actual_access:  read_only
        .address_space:  global
        .offset:         72
        .size:           8
        .value_kind:     global_buffer
      - .actual_access:  read_only
        .address_space:  global
        .offset:         80
        .size:           8
        .value_kind:     global_buffer
      - .offset:         88
        .size:           16
        .value_kind:     by_value
      - .address_space:  global
        .offset:         104
        .size:           8
        .value_kind:     global_buffer
      - .offset:         112
        .size:           4
        .value_kind:     by_value
      - .offset:         116
        .size:           1
        .value_kind:     by_value
    .group_segment_fixed_size: 13456
    .kernarg_segment_align: 8
    .kernarg_segment_size: 120
    .language:       OpenCL C
    .language_version:
      - 2
      - 0
    .max_flat_workgroup_size: 841
    .name:           _ZN9rocsparseL20bsrxmvn_17_32_kernelILj29E21rocsparse_complex_numIdEllS2_S2_S2_EEvT2_20rocsparse_direction_NS_24const_host_device_scalarIT0_EES3_PKS3_PKT1_SC_S9_PKT3_PKT4_S7_PT5_21rocsparse_index_base_b
    .private_segment_fixed_size: 0
    .sgpr_count:     26
    .sgpr_spill_count: 0
    .symbol:         _ZN9rocsparseL20bsrxmvn_17_32_kernelILj29E21rocsparse_complex_numIdEllS2_S2_S2_EEvT2_20rocsparse_direction_NS_24const_host_device_scalarIT0_EES3_PKS3_PKT1_SC_S9_PKT3_PKT4_S7_PT5_21rocsparse_index_base_b.kd
    .uniform_work_group_size: 1
    .uses_dynamic_stack: false
    .vgpr_count:     30
    .vgpr_spill_count: 0
    .wavefront_size: 64
  - .args:
      - .offset:         0
        .size:           8
        .value_kind:     by_value
      - .offset:         8
        .size:           4
        .value_kind:     by_value
      - .offset:         16
        .size:           16
        .value_kind:     by_value
      - .offset:         32
        .size:           8
        .value_kind:     by_value
      - .actual_access:  read_only
        .address_space:  global
        .offset:         40
        .size:           8
        .value_kind:     global_buffer
      - .actual_access:  read_only
        .address_space:  global
        .offset:         48
        .size:           8
        .value_kind:     global_buffer
      - .actual_access:  read_only
        .address_space:  global
        .offset:         56
        .size:           8
        .value_kind:     global_buffer
      - .actual_access:  read_only
        .address_space:  global
        .offset:         64
        .size:           8
        .value_kind:     global_buffer
      - .actual_access:  read_only
        .address_space:  global
        .offset:         72
        .size:           8
        .value_kind:     global_buffer
      - .actual_access:  read_only
        .address_space:  global
        .offset:         80
        .size:           8
        .value_kind:     global_buffer
      - .offset:         88
        .size:           16
        .value_kind:     by_value
      - .address_space:  global
        .offset:         104
        .size:           8
        .value_kind:     global_buffer
      - .offset:         112
        .size:           4
        .value_kind:     by_value
      - .offset:         116
        .size:           1
        .value_kind:     by_value
    .group_segment_fixed_size: 14400
    .kernarg_segment_align: 8
    .kernarg_segment_size: 120
    .language:       OpenCL C
    .language_version:
      - 2
      - 0
    .max_flat_workgroup_size: 900
    .name:           _ZN9rocsparseL20bsrxmvn_17_32_kernelILj30E21rocsparse_complex_numIdEllS2_S2_S2_EEvT2_20rocsparse_direction_NS_24const_host_device_scalarIT0_EES3_PKS3_PKT1_SC_S9_PKT3_PKT4_S7_PT5_21rocsparse_index_base_b
    .private_segment_fixed_size: 0
    .sgpr_count:     26
    .sgpr_spill_count: 0
    .symbol:         _ZN9rocsparseL20bsrxmvn_17_32_kernelILj30E21rocsparse_complex_numIdEllS2_S2_S2_EEvT2_20rocsparse_direction_NS_24const_host_device_scalarIT0_EES3_PKS3_PKT1_SC_S9_PKT3_PKT4_S7_PT5_21rocsparse_index_base_b.kd
    .uniform_work_group_size: 1
    .uses_dynamic_stack: false
    .vgpr_count:     30
    .vgpr_spill_count: 0
    .wavefront_size: 64
  - .args:
      - .offset:         0
        .size:           8
        .value_kind:     by_value
      - .offset:         8
        .size:           4
        .value_kind:     by_value
      - .offset:         16
        .size:           16
        .value_kind:     by_value
      - .offset:         32
        .size:           8
        .value_kind:     by_value
      - .actual_access:  read_only
        .address_space:  global
        .offset:         40
        .size:           8
        .value_kind:     global_buffer
      - .actual_access:  read_only
        .address_space:  global
        .offset:         48
        .size:           8
        .value_kind:     global_buffer
      - .actual_access:  read_only
        .address_space:  global
        .offset:         56
        .size:           8
        .value_kind:     global_buffer
      - .actual_access:  read_only
        .address_space:  global
        .offset:         64
        .size:           8
        .value_kind:     global_buffer
      - .actual_access:  read_only
        .address_space:  global
        .offset:         72
        .size:           8
        .value_kind:     global_buffer
      - .actual_access:  read_only
        .address_space:  global
        .offset:         80
        .size:           8
        .value_kind:     global_buffer
      - .offset:         88
        .size:           16
        .value_kind:     by_value
      - .address_space:  global
        .offset:         104
        .size:           8
        .value_kind:     global_buffer
      - .offset:         112
        .size:           4
        .value_kind:     by_value
      - .offset:         116
        .size:           1
        .value_kind:     by_value
    .group_segment_fixed_size: 15376
    .kernarg_segment_align: 8
    .kernarg_segment_size: 120
    .language:       OpenCL C
    .language_version:
      - 2
      - 0
    .max_flat_workgroup_size: 961
    .name:           _ZN9rocsparseL20bsrxmvn_17_32_kernelILj31E21rocsparse_complex_numIdEllS2_S2_S2_EEvT2_20rocsparse_direction_NS_24const_host_device_scalarIT0_EES3_PKS3_PKT1_SC_S9_PKT3_PKT4_S7_PT5_21rocsparse_index_base_b
    .private_segment_fixed_size: 0
    .sgpr_count:     26
    .sgpr_spill_count: 0
    .symbol:         _ZN9rocsparseL20bsrxmvn_17_32_kernelILj31E21rocsparse_complex_numIdEllS2_S2_S2_EEvT2_20rocsparse_direction_NS_24const_host_device_scalarIT0_EES3_PKS3_PKT1_SC_S9_PKT3_PKT4_S7_PT5_21rocsparse_index_base_b.kd
    .uniform_work_group_size: 1
    .uses_dynamic_stack: false
    .vgpr_count:     30
    .vgpr_spill_count: 0
    .wavefront_size: 64
  - .args:
      - .offset:         0
        .size:           8
        .value_kind:     by_value
      - .offset:         8
        .size:           4
        .value_kind:     by_value
      - .offset:         16
        .size:           16
        .value_kind:     by_value
      - .offset:         32
        .size:           8
        .value_kind:     by_value
      - .actual_access:  read_only
        .address_space:  global
        .offset:         40
        .size:           8
        .value_kind:     global_buffer
      - .actual_access:  read_only
        .address_space:  global
        .offset:         48
        .size:           8
        .value_kind:     global_buffer
      - .actual_access:  read_only
        .address_space:  global
        .offset:         56
        .size:           8
        .value_kind:     global_buffer
      - .actual_access:  read_only
        .address_space:  global
        .offset:         64
        .size:           8
        .value_kind:     global_buffer
      - .actual_access:  read_only
        .address_space:  global
        .offset:         72
        .size:           8
        .value_kind:     global_buffer
      - .actual_access:  read_only
        .address_space:  global
        .offset:         80
        .size:           8
        .value_kind:     global_buffer
      - .offset:         88
        .size:           16
        .value_kind:     by_value
      - .address_space:  global
        .offset:         104
        .size:           8
        .value_kind:     global_buffer
      - .offset:         112
        .size:           4
        .value_kind:     by_value
      - .offset:         116
        .size:           1
        .value_kind:     by_value
    .group_segment_fixed_size: 16384
    .kernarg_segment_align: 8
    .kernarg_segment_size: 120
    .language:       OpenCL C
    .language_version:
      - 2
      - 0
    .max_flat_workgroup_size: 1024
    .name:           _ZN9rocsparseL20bsrxmvn_17_32_kernelILj32E21rocsparse_complex_numIdEllS2_S2_S2_EEvT2_20rocsparse_direction_NS_24const_host_device_scalarIT0_EES3_PKS3_PKT1_SC_S9_PKT3_PKT4_S7_PT5_21rocsparse_index_base_b
    .private_segment_fixed_size: 0
    .sgpr_count:     26
    .sgpr_spill_count: 0
    .symbol:         _ZN9rocsparseL20bsrxmvn_17_32_kernelILj32E21rocsparse_complex_numIdEllS2_S2_S2_EEvT2_20rocsparse_direction_NS_24const_host_device_scalarIT0_EES3_PKS3_PKT1_SC_S9_PKT3_PKT4_S7_PT5_21rocsparse_index_base_b.kd
    .uniform_work_group_size: 1
    .uses_dynamic_stack: false
    .vgpr_count:     29
    .vgpr_spill_count: 0
    .wavefront_size: 64
  - .args:
      - .offset:         0
        .size:           4
        .value_kind:     by_value
      - .offset:         4
        .size:           4
        .value_kind:     by_value
      - .offset:         8
        .size:           8
        .value_kind:     by_value
      - .offset:         16
        .size:           4
        .value_kind:     by_value
      - .actual_access:  read_only
        .address_space:  global
        .offset:         24
        .size:           8
        .value_kind:     global_buffer
      - .actual_access:  read_only
        .address_space:  global
        .offset:         32
        .size:           8
        .value_kind:     global_buffer
      - .actual_access:  read_only
        .address_space:  global
        .offset:         40
        .size:           8
        .value_kind:     global_buffer
      - .actual_access:  read_only
        .address_space:  global
        .offset:         48
        .size:           8
        .value_kind:     global_buffer
      - .actual_access:  read_only
        .address_space:  global
        .offset:         56
        .size:           8
        .value_kind:     global_buffer
      - .actual_access:  read_only
        .address_space:  global
        .offset:         64
        .size:           8
        .value_kind:     global_buffer
      - .offset:         72
        .size:           8
        .value_kind:     by_value
      - .address_space:  global
        .offset:         80
        .size:           8
        .value_kind:     global_buffer
      - .offset:         88
        .size:           4
        .value_kind:     by_value
      - .offset:         92
        .size:           1
        .value_kind:     by_value
    .group_segment_fixed_size: 1156
    .kernarg_segment_align: 8
    .kernarg_segment_size: 96
    .language:       OpenCL C
    .language_version:
      - 2
      - 0
    .max_flat_workgroup_size: 289
    .name:           _ZN9rocsparseL20bsrxmvn_17_32_kernelILj17EiiiaaiEEvT2_20rocsparse_direction_NS_24const_host_device_scalarIT0_EES1_PKS1_PKT1_SA_S7_PKT3_PKT4_S5_PT5_21rocsparse_index_base_b
    .private_segment_fixed_size: 0
    .sgpr_count:     24
    .sgpr_spill_count: 0
    .symbol:         _ZN9rocsparseL20bsrxmvn_17_32_kernelILj17EiiiaaiEEvT2_20rocsparse_direction_NS_24const_host_device_scalarIT0_EES1_PKS1_PKT1_SA_S7_PKT3_PKT4_S5_PT5_21rocsparse_index_base_b.kd
    .uniform_work_group_size: 1
    .uses_dynamic_stack: false
    .vgpr_count:     11
    .vgpr_spill_count: 0
    .wavefront_size: 64
  - .args:
      - .offset:         0
        .size:           4
        .value_kind:     by_value
      - .offset:         4
        .size:           4
        .value_kind:     by_value
      - .offset:         8
        .size:           8
        .value_kind:     by_value
      - .offset:         16
        .size:           4
        .value_kind:     by_value
      - .actual_access:  read_only
        .address_space:  global
        .offset:         24
        .size:           8
        .value_kind:     global_buffer
      - .actual_access:  read_only
        .address_space:  global
        .offset:         32
        .size:           8
        .value_kind:     global_buffer
      - .actual_access:  read_only
        .address_space:  global
        .offset:         40
        .size:           8
        .value_kind:     global_buffer
      - .actual_access:  read_only
        .address_space:  global
        .offset:         48
        .size:           8
        .value_kind:     global_buffer
      - .actual_access:  read_only
        .address_space:  global
        .offset:         56
        .size:           8
        .value_kind:     global_buffer
      - .actual_access:  read_only
        .address_space:  global
        .offset:         64
        .size:           8
        .value_kind:     global_buffer
      - .offset:         72
        .size:           8
        .value_kind:     by_value
      - .address_space:  global
        .offset:         80
        .size:           8
        .value_kind:     global_buffer
      - .offset:         88
        .size:           4
        .value_kind:     by_value
      - .offset:         92
        .size:           1
        .value_kind:     by_value
    .group_segment_fixed_size: 1296
    .kernarg_segment_align: 8
    .kernarg_segment_size: 96
    .language:       OpenCL C
    .language_version:
      - 2
      - 0
    .max_flat_workgroup_size: 324
    .name:           _ZN9rocsparseL20bsrxmvn_17_32_kernelILj18EiiiaaiEEvT2_20rocsparse_direction_NS_24const_host_device_scalarIT0_EES1_PKS1_PKT1_SA_S7_PKT3_PKT4_S5_PT5_21rocsparse_index_base_b
    .private_segment_fixed_size: 0
    .sgpr_count:     24
    .sgpr_spill_count: 0
    .symbol:         _ZN9rocsparseL20bsrxmvn_17_32_kernelILj18EiiiaaiEEvT2_20rocsparse_direction_NS_24const_host_device_scalarIT0_EES1_PKS1_PKT1_SA_S7_PKT3_PKT4_S5_PT5_21rocsparse_index_base_b.kd
    .uniform_work_group_size: 1
    .uses_dynamic_stack: false
    .vgpr_count:     11
    .vgpr_spill_count: 0
    .wavefront_size: 64
  - .args:
      - .offset:         0
        .size:           4
        .value_kind:     by_value
      - .offset:         4
        .size:           4
        .value_kind:     by_value
      - .offset:         8
        .size:           8
        .value_kind:     by_value
      - .offset:         16
        .size:           4
        .value_kind:     by_value
      - .actual_access:  read_only
        .address_space:  global
        .offset:         24
        .size:           8
        .value_kind:     global_buffer
      - .actual_access:  read_only
        .address_space:  global
        .offset:         32
        .size:           8
        .value_kind:     global_buffer
      - .actual_access:  read_only
        .address_space:  global
        .offset:         40
        .size:           8
        .value_kind:     global_buffer
      - .actual_access:  read_only
        .address_space:  global
        .offset:         48
        .size:           8
        .value_kind:     global_buffer
      - .actual_access:  read_only
        .address_space:  global
        .offset:         56
        .size:           8
        .value_kind:     global_buffer
      - .actual_access:  read_only
        .address_space:  global
        .offset:         64
        .size:           8
        .value_kind:     global_buffer
      - .offset:         72
        .size:           8
        .value_kind:     by_value
      - .address_space:  global
        .offset:         80
        .size:           8
        .value_kind:     global_buffer
      - .offset:         88
        .size:           4
        .value_kind:     by_value
      - .offset:         92
        .size:           1
        .value_kind:     by_value
    .group_segment_fixed_size: 1444
    .kernarg_segment_align: 8
    .kernarg_segment_size: 96
    .language:       OpenCL C
    .language_version:
      - 2
      - 0
    .max_flat_workgroup_size: 361
    .name:           _ZN9rocsparseL20bsrxmvn_17_32_kernelILj19EiiiaaiEEvT2_20rocsparse_direction_NS_24const_host_device_scalarIT0_EES1_PKS1_PKT1_SA_S7_PKT3_PKT4_S5_PT5_21rocsparse_index_base_b
    .private_segment_fixed_size: 0
    .sgpr_count:     24
    .sgpr_spill_count: 0
    .symbol:         _ZN9rocsparseL20bsrxmvn_17_32_kernelILj19EiiiaaiEEvT2_20rocsparse_direction_NS_24const_host_device_scalarIT0_EES1_PKS1_PKT1_SA_S7_PKT3_PKT4_S5_PT5_21rocsparse_index_base_b.kd
    .uniform_work_group_size: 1
    .uses_dynamic_stack: false
    .vgpr_count:     11
    .vgpr_spill_count: 0
    .wavefront_size: 64
  - .args:
      - .offset:         0
        .size:           4
        .value_kind:     by_value
      - .offset:         4
        .size:           4
        .value_kind:     by_value
      - .offset:         8
        .size:           8
        .value_kind:     by_value
      - .offset:         16
        .size:           4
        .value_kind:     by_value
      - .actual_access:  read_only
        .address_space:  global
        .offset:         24
        .size:           8
        .value_kind:     global_buffer
      - .actual_access:  read_only
        .address_space:  global
        .offset:         32
        .size:           8
        .value_kind:     global_buffer
      - .actual_access:  read_only
        .address_space:  global
        .offset:         40
        .size:           8
        .value_kind:     global_buffer
      - .actual_access:  read_only
        .address_space:  global
        .offset:         48
        .size:           8
        .value_kind:     global_buffer
      - .actual_access:  read_only
        .address_space:  global
        .offset:         56
        .size:           8
        .value_kind:     global_buffer
      - .actual_access:  read_only
        .address_space:  global
        .offset:         64
        .size:           8
        .value_kind:     global_buffer
      - .offset:         72
        .size:           8
        .value_kind:     by_value
      - .address_space:  global
        .offset:         80
        .size:           8
        .value_kind:     global_buffer
      - .offset:         88
        .size:           4
        .value_kind:     by_value
      - .offset:         92
        .size:           1
        .value_kind:     by_value
    .group_segment_fixed_size: 1600
    .kernarg_segment_align: 8
    .kernarg_segment_size: 96
    .language:       OpenCL C
    .language_version:
      - 2
      - 0
    .max_flat_workgroup_size: 400
    .name:           _ZN9rocsparseL20bsrxmvn_17_32_kernelILj20EiiiaaiEEvT2_20rocsparse_direction_NS_24const_host_device_scalarIT0_EES1_PKS1_PKT1_SA_S7_PKT3_PKT4_S5_PT5_21rocsparse_index_base_b
    .private_segment_fixed_size: 0
    .sgpr_count:     24
    .sgpr_spill_count: 0
    .symbol:         _ZN9rocsparseL20bsrxmvn_17_32_kernelILj20EiiiaaiEEvT2_20rocsparse_direction_NS_24const_host_device_scalarIT0_EES1_PKS1_PKT1_SA_S7_PKT3_PKT4_S5_PT5_21rocsparse_index_base_b.kd
    .uniform_work_group_size: 1
    .uses_dynamic_stack: false
    .vgpr_count:     11
    .vgpr_spill_count: 0
    .wavefront_size: 64
  - .args:
      - .offset:         0
        .size:           4
        .value_kind:     by_value
      - .offset:         4
        .size:           4
        .value_kind:     by_value
      - .offset:         8
        .size:           8
        .value_kind:     by_value
      - .offset:         16
        .size:           4
        .value_kind:     by_value
      - .actual_access:  read_only
        .address_space:  global
        .offset:         24
        .size:           8
        .value_kind:     global_buffer
      - .actual_access:  read_only
        .address_space:  global
        .offset:         32
        .size:           8
        .value_kind:     global_buffer
      - .actual_access:  read_only
        .address_space:  global
        .offset:         40
        .size:           8
        .value_kind:     global_buffer
      - .actual_access:  read_only
        .address_space:  global
        .offset:         48
        .size:           8
        .value_kind:     global_buffer
      - .actual_access:  read_only
        .address_space:  global
        .offset:         56
        .size:           8
        .value_kind:     global_buffer
      - .actual_access:  read_only
        .address_space:  global
        .offset:         64
        .size:           8
        .value_kind:     global_buffer
      - .offset:         72
        .size:           8
        .value_kind:     by_value
      - .address_space:  global
        .offset:         80
        .size:           8
        .value_kind:     global_buffer
      - .offset:         88
        .size:           4
        .value_kind:     by_value
      - .offset:         92
        .size:           1
        .value_kind:     by_value
    .group_segment_fixed_size: 1764
    .kernarg_segment_align: 8
    .kernarg_segment_size: 96
    .language:       OpenCL C
    .language_version:
      - 2
      - 0
    .max_flat_workgroup_size: 441
    .name:           _ZN9rocsparseL20bsrxmvn_17_32_kernelILj21EiiiaaiEEvT2_20rocsparse_direction_NS_24const_host_device_scalarIT0_EES1_PKS1_PKT1_SA_S7_PKT3_PKT4_S5_PT5_21rocsparse_index_base_b
    .private_segment_fixed_size: 0
    .sgpr_count:     24
    .sgpr_spill_count: 0
    .symbol:         _ZN9rocsparseL20bsrxmvn_17_32_kernelILj21EiiiaaiEEvT2_20rocsparse_direction_NS_24const_host_device_scalarIT0_EES1_PKS1_PKT1_SA_S7_PKT3_PKT4_S5_PT5_21rocsparse_index_base_b.kd
    .uniform_work_group_size: 1
    .uses_dynamic_stack: false
    .vgpr_count:     11
    .vgpr_spill_count: 0
    .wavefront_size: 64
  - .args:
      - .offset:         0
        .size:           4
        .value_kind:     by_value
      - .offset:         4
        .size:           4
        .value_kind:     by_value
      - .offset:         8
        .size:           8
        .value_kind:     by_value
      - .offset:         16
        .size:           4
        .value_kind:     by_value
      - .actual_access:  read_only
        .address_space:  global
        .offset:         24
        .size:           8
        .value_kind:     global_buffer
      - .actual_access:  read_only
        .address_space:  global
        .offset:         32
        .size:           8
        .value_kind:     global_buffer
      - .actual_access:  read_only
        .address_space:  global
        .offset:         40
        .size:           8
        .value_kind:     global_buffer
      - .actual_access:  read_only
        .address_space:  global
        .offset:         48
        .size:           8
        .value_kind:     global_buffer
      - .actual_access:  read_only
        .address_space:  global
        .offset:         56
        .size:           8
        .value_kind:     global_buffer
      - .actual_access:  read_only
        .address_space:  global
        .offset:         64
        .size:           8
        .value_kind:     global_buffer
      - .offset:         72
        .size:           8
        .value_kind:     by_value
      - .address_space:  global
        .offset:         80
        .size:           8
        .value_kind:     global_buffer
      - .offset:         88
        .size:           4
        .value_kind:     by_value
      - .offset:         92
        .size:           1
        .value_kind:     by_value
    .group_segment_fixed_size: 1936
    .kernarg_segment_align: 8
    .kernarg_segment_size: 96
    .language:       OpenCL C
    .language_version:
      - 2
      - 0
    .max_flat_workgroup_size: 484
    .name:           _ZN9rocsparseL20bsrxmvn_17_32_kernelILj22EiiiaaiEEvT2_20rocsparse_direction_NS_24const_host_device_scalarIT0_EES1_PKS1_PKT1_SA_S7_PKT3_PKT4_S5_PT5_21rocsparse_index_base_b
    .private_segment_fixed_size: 0
    .sgpr_count:     24
    .sgpr_spill_count: 0
    .symbol:         _ZN9rocsparseL20bsrxmvn_17_32_kernelILj22EiiiaaiEEvT2_20rocsparse_direction_NS_24const_host_device_scalarIT0_EES1_PKS1_PKT1_SA_S7_PKT3_PKT4_S5_PT5_21rocsparse_index_base_b.kd
    .uniform_work_group_size: 1
    .uses_dynamic_stack: false
    .vgpr_count:     11
    .vgpr_spill_count: 0
    .wavefront_size: 64
  - .args:
      - .offset:         0
        .size:           4
        .value_kind:     by_value
      - .offset:         4
        .size:           4
        .value_kind:     by_value
      - .offset:         8
        .size:           8
        .value_kind:     by_value
      - .offset:         16
        .size:           4
        .value_kind:     by_value
      - .actual_access:  read_only
        .address_space:  global
        .offset:         24
        .size:           8
        .value_kind:     global_buffer
      - .actual_access:  read_only
        .address_space:  global
        .offset:         32
        .size:           8
        .value_kind:     global_buffer
      - .actual_access:  read_only
        .address_space:  global
        .offset:         40
        .size:           8
        .value_kind:     global_buffer
      - .actual_access:  read_only
        .address_space:  global
        .offset:         48
        .size:           8
        .value_kind:     global_buffer
      - .actual_access:  read_only
        .address_space:  global
        .offset:         56
        .size:           8
        .value_kind:     global_buffer
      - .actual_access:  read_only
        .address_space:  global
        .offset:         64
        .size:           8
        .value_kind:     global_buffer
      - .offset:         72
        .size:           8
        .value_kind:     by_value
      - .address_space:  global
        .offset:         80
        .size:           8
        .value_kind:     global_buffer
      - .offset:         88
        .size:           4
        .value_kind:     by_value
      - .offset:         92
        .size:           1
        .value_kind:     by_value
    .group_segment_fixed_size: 2116
    .kernarg_segment_align: 8
    .kernarg_segment_size: 96
    .language:       OpenCL C
    .language_version:
      - 2
      - 0
    .max_flat_workgroup_size: 529
    .name:           _ZN9rocsparseL20bsrxmvn_17_32_kernelILj23EiiiaaiEEvT2_20rocsparse_direction_NS_24const_host_device_scalarIT0_EES1_PKS1_PKT1_SA_S7_PKT3_PKT4_S5_PT5_21rocsparse_index_base_b
    .private_segment_fixed_size: 0
    .sgpr_count:     23
    .sgpr_spill_count: 0
    .symbol:         _ZN9rocsparseL20bsrxmvn_17_32_kernelILj23EiiiaaiEEvT2_20rocsparse_direction_NS_24const_host_device_scalarIT0_EES1_PKS1_PKT1_SA_S7_PKT3_PKT4_S5_PT5_21rocsparse_index_base_b.kd
    .uniform_work_group_size: 1
    .uses_dynamic_stack: false
    .vgpr_count:     11
    .vgpr_spill_count: 0
    .wavefront_size: 64
  - .args:
      - .offset:         0
        .size:           4
        .value_kind:     by_value
      - .offset:         4
        .size:           4
        .value_kind:     by_value
      - .offset:         8
        .size:           8
        .value_kind:     by_value
      - .offset:         16
        .size:           4
        .value_kind:     by_value
      - .actual_access:  read_only
        .address_space:  global
        .offset:         24
        .size:           8
        .value_kind:     global_buffer
      - .actual_access:  read_only
        .address_space:  global
        .offset:         32
        .size:           8
        .value_kind:     global_buffer
      - .actual_access:  read_only
        .address_space:  global
        .offset:         40
        .size:           8
        .value_kind:     global_buffer
      - .actual_access:  read_only
        .address_space:  global
        .offset:         48
        .size:           8
        .value_kind:     global_buffer
      - .actual_access:  read_only
        .address_space:  global
        .offset:         56
        .size:           8
        .value_kind:     global_buffer
      - .actual_access:  read_only
        .address_space:  global
        .offset:         64
        .size:           8
        .value_kind:     global_buffer
      - .offset:         72
        .size:           8
        .value_kind:     by_value
      - .address_space:  global
        .offset:         80
        .size:           8
        .value_kind:     global_buffer
      - .offset:         88
        .size:           4
        .value_kind:     by_value
      - .offset:         92
        .size:           1
        .value_kind:     by_value
    .group_segment_fixed_size: 2304
    .kernarg_segment_align: 8
    .kernarg_segment_size: 96
    .language:       OpenCL C
    .language_version:
      - 2
      - 0
    .max_flat_workgroup_size: 576
    .name:           _ZN9rocsparseL20bsrxmvn_17_32_kernelILj24EiiiaaiEEvT2_20rocsparse_direction_NS_24const_host_device_scalarIT0_EES1_PKS1_PKT1_SA_S7_PKT3_PKT4_S5_PT5_21rocsparse_index_base_b
    .private_segment_fixed_size: 0
    .sgpr_count:     23
    .sgpr_spill_count: 0
    .symbol:         _ZN9rocsparseL20bsrxmvn_17_32_kernelILj24EiiiaaiEEvT2_20rocsparse_direction_NS_24const_host_device_scalarIT0_EES1_PKS1_PKT1_SA_S7_PKT3_PKT4_S5_PT5_21rocsparse_index_base_b.kd
    .uniform_work_group_size: 1
    .uses_dynamic_stack: false
    .vgpr_count:     11
    .vgpr_spill_count: 0
    .wavefront_size: 64
  - .args:
      - .offset:         0
        .size:           4
        .value_kind:     by_value
      - .offset:         4
        .size:           4
        .value_kind:     by_value
      - .offset:         8
        .size:           8
        .value_kind:     by_value
      - .offset:         16
        .size:           4
        .value_kind:     by_value
      - .actual_access:  read_only
        .address_space:  global
        .offset:         24
        .size:           8
        .value_kind:     global_buffer
      - .actual_access:  read_only
        .address_space:  global
        .offset:         32
        .size:           8
        .value_kind:     global_buffer
      - .actual_access:  read_only
        .address_space:  global
        .offset:         40
        .size:           8
        .value_kind:     global_buffer
      - .actual_access:  read_only
        .address_space:  global
        .offset:         48
        .size:           8
        .value_kind:     global_buffer
      - .actual_access:  read_only
        .address_space:  global
        .offset:         56
        .size:           8
        .value_kind:     global_buffer
      - .actual_access:  read_only
        .address_space:  global
        .offset:         64
        .size:           8
        .value_kind:     global_buffer
      - .offset:         72
        .size:           8
        .value_kind:     by_value
      - .address_space:  global
        .offset:         80
        .size:           8
        .value_kind:     global_buffer
      - .offset:         88
        .size:           4
        .value_kind:     by_value
      - .offset:         92
        .size:           1
        .value_kind:     by_value
    .group_segment_fixed_size: 2500
    .kernarg_segment_align: 8
    .kernarg_segment_size: 96
    .language:       OpenCL C
    .language_version:
      - 2
      - 0
    .max_flat_workgroup_size: 625
    .name:           _ZN9rocsparseL20bsrxmvn_17_32_kernelILj25EiiiaaiEEvT2_20rocsparse_direction_NS_24const_host_device_scalarIT0_EES1_PKS1_PKT1_SA_S7_PKT3_PKT4_S5_PT5_21rocsparse_index_base_b
    .private_segment_fixed_size: 0
    .sgpr_count:     23
    .sgpr_spill_count: 0
    .symbol:         _ZN9rocsparseL20bsrxmvn_17_32_kernelILj25EiiiaaiEEvT2_20rocsparse_direction_NS_24const_host_device_scalarIT0_EES1_PKS1_PKT1_SA_S7_PKT3_PKT4_S5_PT5_21rocsparse_index_base_b.kd
    .uniform_work_group_size: 1
    .uses_dynamic_stack: false
    .vgpr_count:     11
    .vgpr_spill_count: 0
    .wavefront_size: 64
  - .args:
      - .offset:         0
        .size:           4
        .value_kind:     by_value
      - .offset:         4
        .size:           4
        .value_kind:     by_value
      - .offset:         8
        .size:           8
        .value_kind:     by_value
      - .offset:         16
        .size:           4
        .value_kind:     by_value
      - .actual_access:  read_only
        .address_space:  global
        .offset:         24
        .size:           8
        .value_kind:     global_buffer
      - .actual_access:  read_only
        .address_space:  global
        .offset:         32
        .size:           8
        .value_kind:     global_buffer
      - .actual_access:  read_only
        .address_space:  global
        .offset:         40
        .size:           8
        .value_kind:     global_buffer
      - .actual_access:  read_only
        .address_space:  global
        .offset:         48
        .size:           8
        .value_kind:     global_buffer
      - .actual_access:  read_only
        .address_space:  global
        .offset:         56
        .size:           8
        .value_kind:     global_buffer
      - .actual_access:  read_only
        .address_space:  global
        .offset:         64
        .size:           8
        .value_kind:     global_buffer
      - .offset:         72
        .size:           8
        .value_kind:     by_value
      - .address_space:  global
        .offset:         80
        .size:           8
        .value_kind:     global_buffer
      - .offset:         88
        .size:           4
        .value_kind:     by_value
      - .offset:         92
        .size:           1
        .value_kind:     by_value
    .group_segment_fixed_size: 2704
    .kernarg_segment_align: 8
    .kernarg_segment_size: 96
    .language:       OpenCL C
    .language_version:
      - 2
      - 0
    .max_flat_workgroup_size: 676
    .name:           _ZN9rocsparseL20bsrxmvn_17_32_kernelILj26EiiiaaiEEvT2_20rocsparse_direction_NS_24const_host_device_scalarIT0_EES1_PKS1_PKT1_SA_S7_PKT3_PKT4_S5_PT5_21rocsparse_index_base_b
    .private_segment_fixed_size: 0
    .sgpr_count:     23
    .sgpr_spill_count: 0
    .symbol:         _ZN9rocsparseL20bsrxmvn_17_32_kernelILj26EiiiaaiEEvT2_20rocsparse_direction_NS_24const_host_device_scalarIT0_EES1_PKS1_PKT1_SA_S7_PKT3_PKT4_S5_PT5_21rocsparse_index_base_b.kd
    .uniform_work_group_size: 1
    .uses_dynamic_stack: false
    .vgpr_count:     11
    .vgpr_spill_count: 0
    .wavefront_size: 64
  - .args:
      - .offset:         0
        .size:           4
        .value_kind:     by_value
      - .offset:         4
        .size:           4
        .value_kind:     by_value
      - .offset:         8
        .size:           8
        .value_kind:     by_value
      - .offset:         16
        .size:           4
        .value_kind:     by_value
      - .actual_access:  read_only
        .address_space:  global
        .offset:         24
        .size:           8
        .value_kind:     global_buffer
      - .actual_access:  read_only
        .address_space:  global
        .offset:         32
        .size:           8
        .value_kind:     global_buffer
      - .actual_access:  read_only
        .address_space:  global
        .offset:         40
        .size:           8
        .value_kind:     global_buffer
      - .actual_access:  read_only
        .address_space:  global
        .offset:         48
        .size:           8
        .value_kind:     global_buffer
      - .actual_access:  read_only
        .address_space:  global
        .offset:         56
        .size:           8
        .value_kind:     global_buffer
      - .actual_access:  read_only
        .address_space:  global
        .offset:         64
        .size:           8
        .value_kind:     global_buffer
      - .offset:         72
        .size:           8
        .value_kind:     by_value
      - .address_space:  global
        .offset:         80
        .size:           8
        .value_kind:     global_buffer
      - .offset:         88
        .size:           4
        .value_kind:     by_value
      - .offset:         92
        .size:           1
        .value_kind:     by_value
    .group_segment_fixed_size: 2916
    .kernarg_segment_align: 8
    .kernarg_segment_size: 96
    .language:       OpenCL C
    .language_version:
      - 2
      - 0
    .max_flat_workgroup_size: 729
    .name:           _ZN9rocsparseL20bsrxmvn_17_32_kernelILj27EiiiaaiEEvT2_20rocsparse_direction_NS_24const_host_device_scalarIT0_EES1_PKS1_PKT1_SA_S7_PKT3_PKT4_S5_PT5_21rocsparse_index_base_b
    .private_segment_fixed_size: 0
    .sgpr_count:     23
    .sgpr_spill_count: 0
    .symbol:         _ZN9rocsparseL20bsrxmvn_17_32_kernelILj27EiiiaaiEEvT2_20rocsparse_direction_NS_24const_host_device_scalarIT0_EES1_PKS1_PKT1_SA_S7_PKT3_PKT4_S5_PT5_21rocsparse_index_base_b.kd
    .uniform_work_group_size: 1
    .uses_dynamic_stack: false
    .vgpr_count:     11
    .vgpr_spill_count: 0
    .wavefront_size: 64
  - .args:
      - .offset:         0
        .size:           4
        .value_kind:     by_value
      - .offset:         4
        .size:           4
        .value_kind:     by_value
      - .offset:         8
        .size:           8
        .value_kind:     by_value
      - .offset:         16
        .size:           4
        .value_kind:     by_value
      - .actual_access:  read_only
        .address_space:  global
        .offset:         24
        .size:           8
        .value_kind:     global_buffer
      - .actual_access:  read_only
        .address_space:  global
        .offset:         32
        .size:           8
        .value_kind:     global_buffer
      - .actual_access:  read_only
        .address_space:  global
        .offset:         40
        .size:           8
        .value_kind:     global_buffer
      - .actual_access:  read_only
        .address_space:  global
        .offset:         48
        .size:           8
        .value_kind:     global_buffer
      - .actual_access:  read_only
        .address_space:  global
        .offset:         56
        .size:           8
        .value_kind:     global_buffer
      - .actual_access:  read_only
        .address_space:  global
        .offset:         64
        .size:           8
        .value_kind:     global_buffer
      - .offset:         72
        .size:           8
        .value_kind:     by_value
      - .address_space:  global
        .offset:         80
        .size:           8
        .value_kind:     global_buffer
      - .offset:         88
        .size:           4
        .value_kind:     by_value
      - .offset:         92
        .size:           1
        .value_kind:     by_value
    .group_segment_fixed_size: 3136
    .kernarg_segment_align: 8
    .kernarg_segment_size: 96
    .language:       OpenCL C
    .language_version:
      - 2
      - 0
    .max_flat_workgroup_size: 784
    .name:           _ZN9rocsparseL20bsrxmvn_17_32_kernelILj28EiiiaaiEEvT2_20rocsparse_direction_NS_24const_host_device_scalarIT0_EES1_PKS1_PKT1_SA_S7_PKT3_PKT4_S5_PT5_21rocsparse_index_base_b
    .private_segment_fixed_size: 0
    .sgpr_count:     23
    .sgpr_spill_count: 0
    .symbol:         _ZN9rocsparseL20bsrxmvn_17_32_kernelILj28EiiiaaiEEvT2_20rocsparse_direction_NS_24const_host_device_scalarIT0_EES1_PKS1_PKT1_SA_S7_PKT3_PKT4_S5_PT5_21rocsparse_index_base_b.kd
    .uniform_work_group_size: 1
    .uses_dynamic_stack: false
    .vgpr_count:     11
    .vgpr_spill_count: 0
    .wavefront_size: 64
  - .args:
      - .offset:         0
        .size:           4
        .value_kind:     by_value
      - .offset:         4
        .size:           4
        .value_kind:     by_value
      - .offset:         8
        .size:           8
        .value_kind:     by_value
      - .offset:         16
        .size:           4
        .value_kind:     by_value
      - .actual_access:  read_only
        .address_space:  global
        .offset:         24
        .size:           8
        .value_kind:     global_buffer
      - .actual_access:  read_only
        .address_space:  global
        .offset:         32
        .size:           8
        .value_kind:     global_buffer
      - .actual_access:  read_only
        .address_space:  global
        .offset:         40
        .size:           8
        .value_kind:     global_buffer
      - .actual_access:  read_only
        .address_space:  global
        .offset:         48
        .size:           8
        .value_kind:     global_buffer
      - .actual_access:  read_only
        .address_space:  global
        .offset:         56
        .size:           8
        .value_kind:     global_buffer
      - .actual_access:  read_only
        .address_space:  global
        .offset:         64
        .size:           8
        .value_kind:     global_buffer
      - .offset:         72
        .size:           8
        .value_kind:     by_value
      - .address_space:  global
        .offset:         80
        .size:           8
        .value_kind:     global_buffer
      - .offset:         88
        .size:           4
        .value_kind:     by_value
      - .offset:         92
        .size:           1
        .value_kind:     by_value
    .group_segment_fixed_size: 3364
    .kernarg_segment_align: 8
    .kernarg_segment_size: 96
    .language:       OpenCL C
    .language_version:
      - 2
      - 0
    .max_flat_workgroup_size: 841
    .name:           _ZN9rocsparseL20bsrxmvn_17_32_kernelILj29EiiiaaiEEvT2_20rocsparse_direction_NS_24const_host_device_scalarIT0_EES1_PKS1_PKT1_SA_S7_PKT3_PKT4_S5_PT5_21rocsparse_index_base_b
    .private_segment_fixed_size: 0
    .sgpr_count:     23
    .sgpr_spill_count: 0
    .symbol:         _ZN9rocsparseL20bsrxmvn_17_32_kernelILj29EiiiaaiEEvT2_20rocsparse_direction_NS_24const_host_device_scalarIT0_EES1_PKS1_PKT1_SA_S7_PKT3_PKT4_S5_PT5_21rocsparse_index_base_b.kd
    .uniform_work_group_size: 1
    .uses_dynamic_stack: false
    .vgpr_count:     11
    .vgpr_spill_count: 0
    .wavefront_size: 64
  - .args:
      - .offset:         0
        .size:           4
        .value_kind:     by_value
      - .offset:         4
        .size:           4
        .value_kind:     by_value
      - .offset:         8
        .size:           8
        .value_kind:     by_value
      - .offset:         16
        .size:           4
        .value_kind:     by_value
      - .actual_access:  read_only
        .address_space:  global
        .offset:         24
        .size:           8
        .value_kind:     global_buffer
      - .actual_access:  read_only
        .address_space:  global
        .offset:         32
        .size:           8
        .value_kind:     global_buffer
      - .actual_access:  read_only
        .address_space:  global
        .offset:         40
        .size:           8
        .value_kind:     global_buffer
      - .actual_access:  read_only
        .address_space:  global
        .offset:         48
        .size:           8
        .value_kind:     global_buffer
      - .actual_access:  read_only
        .address_space:  global
        .offset:         56
        .size:           8
        .value_kind:     global_buffer
      - .actual_access:  read_only
        .address_space:  global
        .offset:         64
        .size:           8
        .value_kind:     global_buffer
      - .offset:         72
        .size:           8
        .value_kind:     by_value
      - .address_space:  global
        .offset:         80
        .size:           8
        .value_kind:     global_buffer
      - .offset:         88
        .size:           4
        .value_kind:     by_value
      - .offset:         92
        .size:           1
        .value_kind:     by_value
    .group_segment_fixed_size: 3600
    .kernarg_segment_align: 8
    .kernarg_segment_size: 96
    .language:       OpenCL C
    .language_version:
      - 2
      - 0
    .max_flat_workgroup_size: 900
    .name:           _ZN9rocsparseL20bsrxmvn_17_32_kernelILj30EiiiaaiEEvT2_20rocsparse_direction_NS_24const_host_device_scalarIT0_EES1_PKS1_PKT1_SA_S7_PKT3_PKT4_S5_PT5_21rocsparse_index_base_b
    .private_segment_fixed_size: 0
    .sgpr_count:     23
    .sgpr_spill_count: 0
    .symbol:         _ZN9rocsparseL20bsrxmvn_17_32_kernelILj30EiiiaaiEEvT2_20rocsparse_direction_NS_24const_host_device_scalarIT0_EES1_PKS1_PKT1_SA_S7_PKT3_PKT4_S5_PT5_21rocsparse_index_base_b.kd
    .uniform_work_group_size: 1
    .uses_dynamic_stack: false
    .vgpr_count:     11
    .vgpr_spill_count: 0
    .wavefront_size: 64
  - .args:
      - .offset:         0
        .size:           4
        .value_kind:     by_value
      - .offset:         4
        .size:           4
        .value_kind:     by_value
      - .offset:         8
        .size:           8
        .value_kind:     by_value
      - .offset:         16
        .size:           4
        .value_kind:     by_value
      - .actual_access:  read_only
        .address_space:  global
        .offset:         24
        .size:           8
        .value_kind:     global_buffer
      - .actual_access:  read_only
        .address_space:  global
        .offset:         32
        .size:           8
        .value_kind:     global_buffer
      - .actual_access:  read_only
        .address_space:  global
        .offset:         40
        .size:           8
        .value_kind:     global_buffer
      - .actual_access:  read_only
        .address_space:  global
        .offset:         48
        .size:           8
        .value_kind:     global_buffer
      - .actual_access:  read_only
        .address_space:  global
        .offset:         56
        .size:           8
        .value_kind:     global_buffer
      - .actual_access:  read_only
        .address_space:  global
        .offset:         64
        .size:           8
        .value_kind:     global_buffer
      - .offset:         72
        .size:           8
        .value_kind:     by_value
      - .address_space:  global
        .offset:         80
        .size:           8
        .value_kind:     global_buffer
      - .offset:         88
        .size:           4
        .value_kind:     by_value
      - .offset:         92
        .size:           1
        .value_kind:     by_value
    .group_segment_fixed_size: 3844
    .kernarg_segment_align: 8
    .kernarg_segment_size: 96
    .language:       OpenCL C
    .language_version:
      - 2
      - 0
    .max_flat_workgroup_size: 961
    .name:           _ZN9rocsparseL20bsrxmvn_17_32_kernelILj31EiiiaaiEEvT2_20rocsparse_direction_NS_24const_host_device_scalarIT0_EES1_PKS1_PKT1_SA_S7_PKT3_PKT4_S5_PT5_21rocsparse_index_base_b
    .private_segment_fixed_size: 0
    .sgpr_count:     23
    .sgpr_spill_count: 0
    .symbol:         _ZN9rocsparseL20bsrxmvn_17_32_kernelILj31EiiiaaiEEvT2_20rocsparse_direction_NS_24const_host_device_scalarIT0_EES1_PKS1_PKT1_SA_S7_PKT3_PKT4_S5_PT5_21rocsparse_index_base_b.kd
    .uniform_work_group_size: 1
    .uses_dynamic_stack: false
    .vgpr_count:     11
    .vgpr_spill_count: 0
    .wavefront_size: 64
  - .args:
      - .offset:         0
        .size:           4
        .value_kind:     by_value
      - .offset:         4
        .size:           4
        .value_kind:     by_value
      - .offset:         8
        .size:           8
        .value_kind:     by_value
      - .offset:         16
        .size:           4
        .value_kind:     by_value
      - .actual_access:  read_only
        .address_space:  global
        .offset:         24
        .size:           8
        .value_kind:     global_buffer
      - .actual_access:  read_only
        .address_space:  global
        .offset:         32
        .size:           8
        .value_kind:     global_buffer
      - .actual_access:  read_only
        .address_space:  global
        .offset:         40
        .size:           8
        .value_kind:     global_buffer
      - .actual_access:  read_only
        .address_space:  global
        .offset:         48
        .size:           8
        .value_kind:     global_buffer
      - .actual_access:  read_only
        .address_space:  global
        .offset:         56
        .size:           8
        .value_kind:     global_buffer
      - .actual_access:  read_only
        .address_space:  global
        .offset:         64
        .size:           8
        .value_kind:     global_buffer
      - .offset:         72
        .size:           8
        .value_kind:     by_value
      - .address_space:  global
        .offset:         80
        .size:           8
        .value_kind:     global_buffer
      - .offset:         88
        .size:           4
        .value_kind:     by_value
      - .offset:         92
        .size:           1
        .value_kind:     by_value
    .group_segment_fixed_size: 4096
    .kernarg_segment_align: 8
    .kernarg_segment_size: 96
    .language:       OpenCL C
    .language_version:
      - 2
      - 0
    .max_flat_workgroup_size: 1024
    .name:           _ZN9rocsparseL20bsrxmvn_17_32_kernelILj32EiiiaaiEEvT2_20rocsparse_direction_NS_24const_host_device_scalarIT0_EES1_PKS1_PKT1_SA_S7_PKT3_PKT4_S5_PT5_21rocsparse_index_base_b
    .private_segment_fixed_size: 0
    .sgpr_count:     24
    .sgpr_spill_count: 0
    .symbol:         _ZN9rocsparseL20bsrxmvn_17_32_kernelILj32EiiiaaiEEvT2_20rocsparse_direction_NS_24const_host_device_scalarIT0_EES1_PKS1_PKT1_SA_S7_PKT3_PKT4_S5_PT5_21rocsparse_index_base_b.kd
    .uniform_work_group_size: 1
    .uses_dynamic_stack: false
    .vgpr_count:     10
    .vgpr_spill_count: 0
    .wavefront_size: 64
  - .args:
      - .offset:         0
        .size:           4
        .value_kind:     by_value
      - .offset:         4
        .size:           4
        .value_kind:     by_value
      - .offset:         8
        .size:           8
        .value_kind:     by_value
      - .offset:         16
        .size:           4
        .value_kind:     by_value
      - .actual_access:  read_only
        .address_space:  global
        .offset:         24
        .size:           8
        .value_kind:     global_buffer
      - .actual_access:  read_only
        .address_space:  global
        .offset:         32
        .size:           8
        .value_kind:     global_buffer
      - .actual_access:  read_only
        .address_space:  global
        .offset:         40
        .size:           8
        .value_kind:     global_buffer
      - .actual_access:  read_only
        .address_space:  global
        .offset:         48
        .size:           8
        .value_kind:     global_buffer
      - .actual_access:  read_only
        .address_space:  global
        .offset:         56
        .size:           8
        .value_kind:     global_buffer
      - .actual_access:  read_only
        .address_space:  global
        .offset:         64
        .size:           8
        .value_kind:     global_buffer
      - .offset:         72
        .size:           8
        .value_kind:     by_value
      - .address_space:  global
        .offset:         80
        .size:           8
        .value_kind:     global_buffer
      - .offset:         88
        .size:           4
        .value_kind:     by_value
      - .offset:         92
        .size:           1
        .value_kind:     by_value
    .group_segment_fixed_size: 1156
    .kernarg_segment_align: 8
    .kernarg_segment_size: 96
    .language:       OpenCL C
    .language_version:
      - 2
      - 0
    .max_flat_workgroup_size: 289
    .name:           _ZN9rocsparseL20bsrxmvn_17_32_kernelILj17EiliaaiEEvT2_20rocsparse_direction_NS_24const_host_device_scalarIT0_EES1_PKS1_PKT1_SA_S7_PKT3_PKT4_S5_PT5_21rocsparse_index_base_b
    .private_segment_fixed_size: 0
    .sgpr_count:     27
    .sgpr_spill_count: 0
    .symbol:         _ZN9rocsparseL20bsrxmvn_17_32_kernelILj17EiliaaiEEvT2_20rocsparse_direction_NS_24const_host_device_scalarIT0_EES1_PKS1_PKT1_SA_S7_PKT3_PKT4_S5_PT5_21rocsparse_index_base_b.kd
    .uniform_work_group_size: 1
    .uses_dynamic_stack: false
    .vgpr_count:     13
    .vgpr_spill_count: 0
    .wavefront_size: 64
  - .args:
      - .offset:         0
        .size:           4
        .value_kind:     by_value
      - .offset:         4
        .size:           4
        .value_kind:     by_value
      - .offset:         8
        .size:           8
        .value_kind:     by_value
      - .offset:         16
        .size:           4
        .value_kind:     by_value
      - .actual_access:  read_only
        .address_space:  global
        .offset:         24
        .size:           8
        .value_kind:     global_buffer
      - .actual_access:  read_only
        .address_space:  global
        .offset:         32
        .size:           8
        .value_kind:     global_buffer
      - .actual_access:  read_only
        .address_space:  global
        .offset:         40
        .size:           8
        .value_kind:     global_buffer
      - .actual_access:  read_only
        .address_space:  global
        .offset:         48
        .size:           8
        .value_kind:     global_buffer
      - .actual_access:  read_only
        .address_space:  global
        .offset:         56
        .size:           8
        .value_kind:     global_buffer
      - .actual_access:  read_only
        .address_space:  global
        .offset:         64
        .size:           8
        .value_kind:     global_buffer
      - .offset:         72
        .size:           8
        .value_kind:     by_value
      - .address_space:  global
        .offset:         80
        .size:           8
        .value_kind:     global_buffer
      - .offset:         88
        .size:           4
        .value_kind:     by_value
      - .offset:         92
        .size:           1
        .value_kind:     by_value
    .group_segment_fixed_size: 1296
    .kernarg_segment_align: 8
    .kernarg_segment_size: 96
    .language:       OpenCL C
    .language_version:
      - 2
      - 0
    .max_flat_workgroup_size: 324
    .name:           _ZN9rocsparseL20bsrxmvn_17_32_kernelILj18EiliaaiEEvT2_20rocsparse_direction_NS_24const_host_device_scalarIT0_EES1_PKS1_PKT1_SA_S7_PKT3_PKT4_S5_PT5_21rocsparse_index_base_b
    .private_segment_fixed_size: 0
    .sgpr_count:     27
    .sgpr_spill_count: 0
    .symbol:         _ZN9rocsparseL20bsrxmvn_17_32_kernelILj18EiliaaiEEvT2_20rocsparse_direction_NS_24const_host_device_scalarIT0_EES1_PKS1_PKT1_SA_S7_PKT3_PKT4_S5_PT5_21rocsparse_index_base_b.kd
    .uniform_work_group_size: 1
    .uses_dynamic_stack: false
    .vgpr_count:     13
    .vgpr_spill_count: 0
    .wavefront_size: 64
  - .args:
      - .offset:         0
        .size:           4
        .value_kind:     by_value
      - .offset:         4
        .size:           4
        .value_kind:     by_value
      - .offset:         8
        .size:           8
        .value_kind:     by_value
      - .offset:         16
        .size:           4
        .value_kind:     by_value
      - .actual_access:  read_only
        .address_space:  global
        .offset:         24
        .size:           8
        .value_kind:     global_buffer
      - .actual_access:  read_only
        .address_space:  global
        .offset:         32
        .size:           8
        .value_kind:     global_buffer
      - .actual_access:  read_only
        .address_space:  global
        .offset:         40
        .size:           8
        .value_kind:     global_buffer
      - .actual_access:  read_only
        .address_space:  global
        .offset:         48
        .size:           8
        .value_kind:     global_buffer
      - .actual_access:  read_only
        .address_space:  global
        .offset:         56
        .size:           8
        .value_kind:     global_buffer
      - .actual_access:  read_only
        .address_space:  global
        .offset:         64
        .size:           8
        .value_kind:     global_buffer
      - .offset:         72
        .size:           8
        .value_kind:     by_value
      - .address_space:  global
        .offset:         80
        .size:           8
        .value_kind:     global_buffer
      - .offset:         88
        .size:           4
        .value_kind:     by_value
      - .offset:         92
        .size:           1
        .value_kind:     by_value
    .group_segment_fixed_size: 1444
    .kernarg_segment_align: 8
    .kernarg_segment_size: 96
    .language:       OpenCL C
    .language_version:
      - 2
      - 0
    .max_flat_workgroup_size: 361
    .name:           _ZN9rocsparseL20bsrxmvn_17_32_kernelILj19EiliaaiEEvT2_20rocsparse_direction_NS_24const_host_device_scalarIT0_EES1_PKS1_PKT1_SA_S7_PKT3_PKT4_S5_PT5_21rocsparse_index_base_b
    .private_segment_fixed_size: 0
    .sgpr_count:     27
    .sgpr_spill_count: 0
    .symbol:         _ZN9rocsparseL20bsrxmvn_17_32_kernelILj19EiliaaiEEvT2_20rocsparse_direction_NS_24const_host_device_scalarIT0_EES1_PKS1_PKT1_SA_S7_PKT3_PKT4_S5_PT5_21rocsparse_index_base_b.kd
    .uniform_work_group_size: 1
    .uses_dynamic_stack: false
    .vgpr_count:     13
    .vgpr_spill_count: 0
    .wavefront_size: 64
  - .args:
      - .offset:         0
        .size:           4
        .value_kind:     by_value
      - .offset:         4
        .size:           4
        .value_kind:     by_value
      - .offset:         8
        .size:           8
        .value_kind:     by_value
      - .offset:         16
        .size:           4
        .value_kind:     by_value
      - .actual_access:  read_only
        .address_space:  global
        .offset:         24
        .size:           8
        .value_kind:     global_buffer
      - .actual_access:  read_only
        .address_space:  global
        .offset:         32
        .size:           8
        .value_kind:     global_buffer
      - .actual_access:  read_only
        .address_space:  global
        .offset:         40
        .size:           8
        .value_kind:     global_buffer
      - .actual_access:  read_only
        .address_space:  global
        .offset:         48
        .size:           8
        .value_kind:     global_buffer
      - .actual_access:  read_only
        .address_space:  global
        .offset:         56
        .size:           8
        .value_kind:     global_buffer
      - .actual_access:  read_only
        .address_space:  global
        .offset:         64
        .size:           8
        .value_kind:     global_buffer
      - .offset:         72
        .size:           8
        .value_kind:     by_value
      - .address_space:  global
        .offset:         80
        .size:           8
        .value_kind:     global_buffer
      - .offset:         88
        .size:           4
        .value_kind:     by_value
      - .offset:         92
        .size:           1
        .value_kind:     by_value
    .group_segment_fixed_size: 1600
    .kernarg_segment_align: 8
    .kernarg_segment_size: 96
    .language:       OpenCL C
    .language_version:
      - 2
      - 0
    .max_flat_workgroup_size: 400
    .name:           _ZN9rocsparseL20bsrxmvn_17_32_kernelILj20EiliaaiEEvT2_20rocsparse_direction_NS_24const_host_device_scalarIT0_EES1_PKS1_PKT1_SA_S7_PKT3_PKT4_S5_PT5_21rocsparse_index_base_b
    .private_segment_fixed_size: 0
    .sgpr_count:     27
    .sgpr_spill_count: 0
    .symbol:         _ZN9rocsparseL20bsrxmvn_17_32_kernelILj20EiliaaiEEvT2_20rocsparse_direction_NS_24const_host_device_scalarIT0_EES1_PKS1_PKT1_SA_S7_PKT3_PKT4_S5_PT5_21rocsparse_index_base_b.kd
    .uniform_work_group_size: 1
    .uses_dynamic_stack: false
    .vgpr_count:     13
    .vgpr_spill_count: 0
    .wavefront_size: 64
  - .args:
      - .offset:         0
        .size:           4
        .value_kind:     by_value
      - .offset:         4
        .size:           4
        .value_kind:     by_value
      - .offset:         8
        .size:           8
        .value_kind:     by_value
      - .offset:         16
        .size:           4
        .value_kind:     by_value
      - .actual_access:  read_only
        .address_space:  global
        .offset:         24
        .size:           8
        .value_kind:     global_buffer
      - .actual_access:  read_only
        .address_space:  global
        .offset:         32
        .size:           8
        .value_kind:     global_buffer
      - .actual_access:  read_only
        .address_space:  global
        .offset:         40
        .size:           8
        .value_kind:     global_buffer
      - .actual_access:  read_only
        .address_space:  global
        .offset:         48
        .size:           8
        .value_kind:     global_buffer
      - .actual_access:  read_only
        .address_space:  global
        .offset:         56
        .size:           8
        .value_kind:     global_buffer
      - .actual_access:  read_only
        .address_space:  global
        .offset:         64
        .size:           8
        .value_kind:     global_buffer
      - .offset:         72
        .size:           8
        .value_kind:     by_value
      - .address_space:  global
        .offset:         80
        .size:           8
        .value_kind:     global_buffer
      - .offset:         88
        .size:           4
        .value_kind:     by_value
      - .offset:         92
        .size:           1
        .value_kind:     by_value
    .group_segment_fixed_size: 1764
    .kernarg_segment_align: 8
    .kernarg_segment_size: 96
    .language:       OpenCL C
    .language_version:
      - 2
      - 0
    .max_flat_workgroup_size: 441
    .name:           _ZN9rocsparseL20bsrxmvn_17_32_kernelILj21EiliaaiEEvT2_20rocsparse_direction_NS_24const_host_device_scalarIT0_EES1_PKS1_PKT1_SA_S7_PKT3_PKT4_S5_PT5_21rocsparse_index_base_b
    .private_segment_fixed_size: 0
    .sgpr_count:     27
    .sgpr_spill_count: 0
    .symbol:         _ZN9rocsparseL20bsrxmvn_17_32_kernelILj21EiliaaiEEvT2_20rocsparse_direction_NS_24const_host_device_scalarIT0_EES1_PKS1_PKT1_SA_S7_PKT3_PKT4_S5_PT5_21rocsparse_index_base_b.kd
    .uniform_work_group_size: 1
    .uses_dynamic_stack: false
    .vgpr_count:     13
    .vgpr_spill_count: 0
    .wavefront_size: 64
  - .args:
      - .offset:         0
        .size:           4
        .value_kind:     by_value
      - .offset:         4
        .size:           4
        .value_kind:     by_value
      - .offset:         8
        .size:           8
        .value_kind:     by_value
      - .offset:         16
        .size:           4
        .value_kind:     by_value
      - .actual_access:  read_only
        .address_space:  global
        .offset:         24
        .size:           8
        .value_kind:     global_buffer
      - .actual_access:  read_only
        .address_space:  global
        .offset:         32
        .size:           8
        .value_kind:     global_buffer
      - .actual_access:  read_only
        .address_space:  global
        .offset:         40
        .size:           8
        .value_kind:     global_buffer
      - .actual_access:  read_only
        .address_space:  global
        .offset:         48
        .size:           8
        .value_kind:     global_buffer
      - .actual_access:  read_only
        .address_space:  global
        .offset:         56
        .size:           8
        .value_kind:     global_buffer
      - .actual_access:  read_only
        .address_space:  global
        .offset:         64
        .size:           8
        .value_kind:     global_buffer
      - .offset:         72
        .size:           8
        .value_kind:     by_value
      - .address_space:  global
        .offset:         80
        .size:           8
        .value_kind:     global_buffer
      - .offset:         88
        .size:           4
        .value_kind:     by_value
      - .offset:         92
        .size:           1
        .value_kind:     by_value
    .group_segment_fixed_size: 1936
    .kernarg_segment_align: 8
    .kernarg_segment_size: 96
    .language:       OpenCL C
    .language_version:
      - 2
      - 0
    .max_flat_workgroup_size: 484
    .name:           _ZN9rocsparseL20bsrxmvn_17_32_kernelILj22EiliaaiEEvT2_20rocsparse_direction_NS_24const_host_device_scalarIT0_EES1_PKS1_PKT1_SA_S7_PKT3_PKT4_S5_PT5_21rocsparse_index_base_b
    .private_segment_fixed_size: 0
    .sgpr_count:     27
    .sgpr_spill_count: 0
    .symbol:         _ZN9rocsparseL20bsrxmvn_17_32_kernelILj22EiliaaiEEvT2_20rocsparse_direction_NS_24const_host_device_scalarIT0_EES1_PKS1_PKT1_SA_S7_PKT3_PKT4_S5_PT5_21rocsparse_index_base_b.kd
    .uniform_work_group_size: 1
    .uses_dynamic_stack: false
    .vgpr_count:     13
    .vgpr_spill_count: 0
    .wavefront_size: 64
  - .args:
      - .offset:         0
        .size:           4
        .value_kind:     by_value
      - .offset:         4
        .size:           4
        .value_kind:     by_value
      - .offset:         8
        .size:           8
        .value_kind:     by_value
      - .offset:         16
        .size:           4
        .value_kind:     by_value
      - .actual_access:  read_only
        .address_space:  global
        .offset:         24
        .size:           8
        .value_kind:     global_buffer
      - .actual_access:  read_only
        .address_space:  global
        .offset:         32
        .size:           8
        .value_kind:     global_buffer
      - .actual_access:  read_only
        .address_space:  global
        .offset:         40
        .size:           8
        .value_kind:     global_buffer
      - .actual_access:  read_only
        .address_space:  global
        .offset:         48
        .size:           8
        .value_kind:     global_buffer
      - .actual_access:  read_only
        .address_space:  global
        .offset:         56
        .size:           8
        .value_kind:     global_buffer
      - .actual_access:  read_only
        .address_space:  global
        .offset:         64
        .size:           8
        .value_kind:     global_buffer
      - .offset:         72
        .size:           8
        .value_kind:     by_value
      - .address_space:  global
        .offset:         80
        .size:           8
        .value_kind:     global_buffer
      - .offset:         88
        .size:           4
        .value_kind:     by_value
      - .offset:         92
        .size:           1
        .value_kind:     by_value
    .group_segment_fixed_size: 2116
    .kernarg_segment_align: 8
    .kernarg_segment_size: 96
    .language:       OpenCL C
    .language_version:
      - 2
      - 0
    .max_flat_workgroup_size: 529
    .name:           _ZN9rocsparseL20bsrxmvn_17_32_kernelILj23EiliaaiEEvT2_20rocsparse_direction_NS_24const_host_device_scalarIT0_EES1_PKS1_PKT1_SA_S7_PKT3_PKT4_S5_PT5_21rocsparse_index_base_b
    .private_segment_fixed_size: 0
    .sgpr_count:     27
    .sgpr_spill_count: 0
    .symbol:         _ZN9rocsparseL20bsrxmvn_17_32_kernelILj23EiliaaiEEvT2_20rocsparse_direction_NS_24const_host_device_scalarIT0_EES1_PKS1_PKT1_SA_S7_PKT3_PKT4_S5_PT5_21rocsparse_index_base_b.kd
    .uniform_work_group_size: 1
    .uses_dynamic_stack: false
    .vgpr_count:     15
    .vgpr_spill_count: 0
    .wavefront_size: 64
  - .args:
      - .offset:         0
        .size:           4
        .value_kind:     by_value
      - .offset:         4
        .size:           4
        .value_kind:     by_value
      - .offset:         8
        .size:           8
        .value_kind:     by_value
      - .offset:         16
        .size:           4
        .value_kind:     by_value
      - .actual_access:  read_only
        .address_space:  global
        .offset:         24
        .size:           8
        .value_kind:     global_buffer
      - .actual_access:  read_only
        .address_space:  global
        .offset:         32
        .size:           8
        .value_kind:     global_buffer
      - .actual_access:  read_only
        .address_space:  global
        .offset:         40
        .size:           8
        .value_kind:     global_buffer
      - .actual_access:  read_only
        .address_space:  global
        .offset:         48
        .size:           8
        .value_kind:     global_buffer
      - .actual_access:  read_only
        .address_space:  global
        .offset:         56
        .size:           8
        .value_kind:     global_buffer
      - .actual_access:  read_only
        .address_space:  global
        .offset:         64
        .size:           8
        .value_kind:     global_buffer
      - .offset:         72
        .size:           8
        .value_kind:     by_value
      - .address_space:  global
        .offset:         80
        .size:           8
        .value_kind:     global_buffer
      - .offset:         88
        .size:           4
        .value_kind:     by_value
      - .offset:         92
        .size:           1
        .value_kind:     by_value
    .group_segment_fixed_size: 2304
    .kernarg_segment_align: 8
    .kernarg_segment_size: 96
    .language:       OpenCL C
    .language_version:
      - 2
      - 0
    .max_flat_workgroup_size: 576
    .name:           _ZN9rocsparseL20bsrxmvn_17_32_kernelILj24EiliaaiEEvT2_20rocsparse_direction_NS_24const_host_device_scalarIT0_EES1_PKS1_PKT1_SA_S7_PKT3_PKT4_S5_PT5_21rocsparse_index_base_b
    .private_segment_fixed_size: 0
    .sgpr_count:     27
    .sgpr_spill_count: 0
    .symbol:         _ZN9rocsparseL20bsrxmvn_17_32_kernelILj24EiliaaiEEvT2_20rocsparse_direction_NS_24const_host_device_scalarIT0_EES1_PKS1_PKT1_SA_S7_PKT3_PKT4_S5_PT5_21rocsparse_index_base_b.kd
    .uniform_work_group_size: 1
    .uses_dynamic_stack: false
    .vgpr_count:     15
    .vgpr_spill_count: 0
    .wavefront_size: 64
  - .args:
      - .offset:         0
        .size:           4
        .value_kind:     by_value
      - .offset:         4
        .size:           4
        .value_kind:     by_value
      - .offset:         8
        .size:           8
        .value_kind:     by_value
      - .offset:         16
        .size:           4
        .value_kind:     by_value
      - .actual_access:  read_only
        .address_space:  global
        .offset:         24
        .size:           8
        .value_kind:     global_buffer
      - .actual_access:  read_only
        .address_space:  global
        .offset:         32
        .size:           8
        .value_kind:     global_buffer
      - .actual_access:  read_only
        .address_space:  global
        .offset:         40
        .size:           8
        .value_kind:     global_buffer
      - .actual_access:  read_only
        .address_space:  global
        .offset:         48
        .size:           8
        .value_kind:     global_buffer
      - .actual_access:  read_only
        .address_space:  global
        .offset:         56
        .size:           8
        .value_kind:     global_buffer
      - .actual_access:  read_only
        .address_space:  global
        .offset:         64
        .size:           8
        .value_kind:     global_buffer
      - .offset:         72
        .size:           8
        .value_kind:     by_value
      - .address_space:  global
        .offset:         80
        .size:           8
        .value_kind:     global_buffer
      - .offset:         88
        .size:           4
        .value_kind:     by_value
      - .offset:         92
        .size:           1
        .value_kind:     by_value
    .group_segment_fixed_size: 2500
    .kernarg_segment_align: 8
    .kernarg_segment_size: 96
    .language:       OpenCL C
    .language_version:
      - 2
      - 0
    .max_flat_workgroup_size: 625
    .name:           _ZN9rocsparseL20bsrxmvn_17_32_kernelILj25EiliaaiEEvT2_20rocsparse_direction_NS_24const_host_device_scalarIT0_EES1_PKS1_PKT1_SA_S7_PKT3_PKT4_S5_PT5_21rocsparse_index_base_b
    .private_segment_fixed_size: 0
    .sgpr_count:     27
    .sgpr_spill_count: 0
    .symbol:         _ZN9rocsparseL20bsrxmvn_17_32_kernelILj25EiliaaiEEvT2_20rocsparse_direction_NS_24const_host_device_scalarIT0_EES1_PKS1_PKT1_SA_S7_PKT3_PKT4_S5_PT5_21rocsparse_index_base_b.kd
    .uniform_work_group_size: 1
    .uses_dynamic_stack: false
    .vgpr_count:     15
    .vgpr_spill_count: 0
    .wavefront_size: 64
  - .args:
      - .offset:         0
        .size:           4
        .value_kind:     by_value
      - .offset:         4
        .size:           4
        .value_kind:     by_value
      - .offset:         8
        .size:           8
        .value_kind:     by_value
      - .offset:         16
        .size:           4
        .value_kind:     by_value
      - .actual_access:  read_only
        .address_space:  global
        .offset:         24
        .size:           8
        .value_kind:     global_buffer
      - .actual_access:  read_only
        .address_space:  global
        .offset:         32
        .size:           8
        .value_kind:     global_buffer
      - .actual_access:  read_only
        .address_space:  global
        .offset:         40
        .size:           8
        .value_kind:     global_buffer
      - .actual_access:  read_only
        .address_space:  global
        .offset:         48
        .size:           8
        .value_kind:     global_buffer
      - .actual_access:  read_only
        .address_space:  global
        .offset:         56
        .size:           8
        .value_kind:     global_buffer
      - .actual_access:  read_only
        .address_space:  global
        .offset:         64
        .size:           8
        .value_kind:     global_buffer
      - .offset:         72
        .size:           8
        .value_kind:     by_value
      - .address_space:  global
        .offset:         80
        .size:           8
        .value_kind:     global_buffer
      - .offset:         88
        .size:           4
        .value_kind:     by_value
      - .offset:         92
        .size:           1
        .value_kind:     by_value
    .group_segment_fixed_size: 2704
    .kernarg_segment_align: 8
    .kernarg_segment_size: 96
    .language:       OpenCL C
    .language_version:
      - 2
      - 0
    .max_flat_workgroup_size: 676
    .name:           _ZN9rocsparseL20bsrxmvn_17_32_kernelILj26EiliaaiEEvT2_20rocsparse_direction_NS_24const_host_device_scalarIT0_EES1_PKS1_PKT1_SA_S7_PKT3_PKT4_S5_PT5_21rocsparse_index_base_b
    .private_segment_fixed_size: 0
    .sgpr_count:     27
    .sgpr_spill_count: 0
    .symbol:         _ZN9rocsparseL20bsrxmvn_17_32_kernelILj26EiliaaiEEvT2_20rocsparse_direction_NS_24const_host_device_scalarIT0_EES1_PKS1_PKT1_SA_S7_PKT3_PKT4_S5_PT5_21rocsparse_index_base_b.kd
    .uniform_work_group_size: 1
    .uses_dynamic_stack: false
    .vgpr_count:     15
    .vgpr_spill_count: 0
    .wavefront_size: 64
  - .args:
      - .offset:         0
        .size:           4
        .value_kind:     by_value
      - .offset:         4
        .size:           4
        .value_kind:     by_value
      - .offset:         8
        .size:           8
        .value_kind:     by_value
      - .offset:         16
        .size:           4
        .value_kind:     by_value
      - .actual_access:  read_only
        .address_space:  global
        .offset:         24
        .size:           8
        .value_kind:     global_buffer
      - .actual_access:  read_only
        .address_space:  global
        .offset:         32
        .size:           8
        .value_kind:     global_buffer
      - .actual_access:  read_only
        .address_space:  global
        .offset:         40
        .size:           8
        .value_kind:     global_buffer
      - .actual_access:  read_only
        .address_space:  global
        .offset:         48
        .size:           8
        .value_kind:     global_buffer
      - .actual_access:  read_only
        .address_space:  global
        .offset:         56
        .size:           8
        .value_kind:     global_buffer
      - .actual_access:  read_only
        .address_space:  global
        .offset:         64
        .size:           8
        .value_kind:     global_buffer
      - .offset:         72
        .size:           8
        .value_kind:     by_value
      - .address_space:  global
        .offset:         80
        .size:           8
        .value_kind:     global_buffer
      - .offset:         88
        .size:           4
        .value_kind:     by_value
      - .offset:         92
        .size:           1
        .value_kind:     by_value
    .group_segment_fixed_size: 2916
    .kernarg_segment_align: 8
    .kernarg_segment_size: 96
    .language:       OpenCL C
    .language_version:
      - 2
      - 0
    .max_flat_workgroup_size: 729
    .name:           _ZN9rocsparseL20bsrxmvn_17_32_kernelILj27EiliaaiEEvT2_20rocsparse_direction_NS_24const_host_device_scalarIT0_EES1_PKS1_PKT1_SA_S7_PKT3_PKT4_S5_PT5_21rocsparse_index_base_b
    .private_segment_fixed_size: 0
    .sgpr_count:     27
    .sgpr_spill_count: 0
    .symbol:         _ZN9rocsparseL20bsrxmvn_17_32_kernelILj27EiliaaiEEvT2_20rocsparse_direction_NS_24const_host_device_scalarIT0_EES1_PKS1_PKT1_SA_S7_PKT3_PKT4_S5_PT5_21rocsparse_index_base_b.kd
    .uniform_work_group_size: 1
    .uses_dynamic_stack: false
    .vgpr_count:     15
    .vgpr_spill_count: 0
    .wavefront_size: 64
  - .args:
      - .offset:         0
        .size:           4
        .value_kind:     by_value
      - .offset:         4
        .size:           4
        .value_kind:     by_value
      - .offset:         8
        .size:           8
        .value_kind:     by_value
      - .offset:         16
        .size:           4
        .value_kind:     by_value
      - .actual_access:  read_only
        .address_space:  global
        .offset:         24
        .size:           8
        .value_kind:     global_buffer
      - .actual_access:  read_only
        .address_space:  global
        .offset:         32
        .size:           8
        .value_kind:     global_buffer
      - .actual_access:  read_only
        .address_space:  global
        .offset:         40
        .size:           8
        .value_kind:     global_buffer
      - .actual_access:  read_only
        .address_space:  global
        .offset:         48
        .size:           8
        .value_kind:     global_buffer
      - .actual_access:  read_only
        .address_space:  global
        .offset:         56
        .size:           8
        .value_kind:     global_buffer
      - .actual_access:  read_only
        .address_space:  global
        .offset:         64
        .size:           8
        .value_kind:     global_buffer
      - .offset:         72
        .size:           8
        .value_kind:     by_value
      - .address_space:  global
        .offset:         80
        .size:           8
        .value_kind:     global_buffer
      - .offset:         88
        .size:           4
        .value_kind:     by_value
      - .offset:         92
        .size:           1
        .value_kind:     by_value
    .group_segment_fixed_size: 3136
    .kernarg_segment_align: 8
    .kernarg_segment_size: 96
    .language:       OpenCL C
    .language_version:
      - 2
      - 0
    .max_flat_workgroup_size: 784
    .name:           _ZN9rocsparseL20bsrxmvn_17_32_kernelILj28EiliaaiEEvT2_20rocsparse_direction_NS_24const_host_device_scalarIT0_EES1_PKS1_PKT1_SA_S7_PKT3_PKT4_S5_PT5_21rocsparse_index_base_b
    .private_segment_fixed_size: 0
    .sgpr_count:     27
    .sgpr_spill_count: 0
    .symbol:         _ZN9rocsparseL20bsrxmvn_17_32_kernelILj28EiliaaiEEvT2_20rocsparse_direction_NS_24const_host_device_scalarIT0_EES1_PKS1_PKT1_SA_S7_PKT3_PKT4_S5_PT5_21rocsparse_index_base_b.kd
    .uniform_work_group_size: 1
    .uses_dynamic_stack: false
    .vgpr_count:     15
    .vgpr_spill_count: 0
    .wavefront_size: 64
  - .args:
      - .offset:         0
        .size:           4
        .value_kind:     by_value
      - .offset:         4
        .size:           4
        .value_kind:     by_value
      - .offset:         8
        .size:           8
        .value_kind:     by_value
      - .offset:         16
        .size:           4
        .value_kind:     by_value
      - .actual_access:  read_only
        .address_space:  global
        .offset:         24
        .size:           8
        .value_kind:     global_buffer
      - .actual_access:  read_only
        .address_space:  global
        .offset:         32
        .size:           8
        .value_kind:     global_buffer
      - .actual_access:  read_only
        .address_space:  global
        .offset:         40
        .size:           8
        .value_kind:     global_buffer
      - .actual_access:  read_only
        .address_space:  global
        .offset:         48
        .size:           8
        .value_kind:     global_buffer
      - .actual_access:  read_only
        .address_space:  global
        .offset:         56
        .size:           8
        .value_kind:     global_buffer
      - .actual_access:  read_only
        .address_space:  global
        .offset:         64
        .size:           8
        .value_kind:     global_buffer
      - .offset:         72
        .size:           8
        .value_kind:     by_value
      - .address_space:  global
        .offset:         80
        .size:           8
        .value_kind:     global_buffer
      - .offset:         88
        .size:           4
        .value_kind:     by_value
      - .offset:         92
        .size:           1
        .value_kind:     by_value
    .group_segment_fixed_size: 3364
    .kernarg_segment_align: 8
    .kernarg_segment_size: 96
    .language:       OpenCL C
    .language_version:
      - 2
      - 0
    .max_flat_workgroup_size: 841
    .name:           _ZN9rocsparseL20bsrxmvn_17_32_kernelILj29EiliaaiEEvT2_20rocsparse_direction_NS_24const_host_device_scalarIT0_EES1_PKS1_PKT1_SA_S7_PKT3_PKT4_S5_PT5_21rocsparse_index_base_b
    .private_segment_fixed_size: 0
    .sgpr_count:     27
    .sgpr_spill_count: 0
    .symbol:         _ZN9rocsparseL20bsrxmvn_17_32_kernelILj29EiliaaiEEvT2_20rocsparse_direction_NS_24const_host_device_scalarIT0_EES1_PKS1_PKT1_SA_S7_PKT3_PKT4_S5_PT5_21rocsparse_index_base_b.kd
    .uniform_work_group_size: 1
    .uses_dynamic_stack: false
    .vgpr_count:     15
    .vgpr_spill_count: 0
    .wavefront_size: 64
  - .args:
      - .offset:         0
        .size:           4
        .value_kind:     by_value
      - .offset:         4
        .size:           4
        .value_kind:     by_value
      - .offset:         8
        .size:           8
        .value_kind:     by_value
      - .offset:         16
        .size:           4
        .value_kind:     by_value
      - .actual_access:  read_only
        .address_space:  global
        .offset:         24
        .size:           8
        .value_kind:     global_buffer
      - .actual_access:  read_only
        .address_space:  global
        .offset:         32
        .size:           8
        .value_kind:     global_buffer
      - .actual_access:  read_only
        .address_space:  global
        .offset:         40
        .size:           8
        .value_kind:     global_buffer
      - .actual_access:  read_only
        .address_space:  global
        .offset:         48
        .size:           8
        .value_kind:     global_buffer
      - .actual_access:  read_only
        .address_space:  global
        .offset:         56
        .size:           8
        .value_kind:     global_buffer
      - .actual_access:  read_only
        .address_space:  global
        .offset:         64
        .size:           8
        .value_kind:     global_buffer
      - .offset:         72
        .size:           8
        .value_kind:     by_value
      - .address_space:  global
        .offset:         80
        .size:           8
        .value_kind:     global_buffer
      - .offset:         88
        .size:           4
        .value_kind:     by_value
      - .offset:         92
        .size:           1
        .value_kind:     by_value
    .group_segment_fixed_size: 3600
    .kernarg_segment_align: 8
    .kernarg_segment_size: 96
    .language:       OpenCL C
    .language_version:
      - 2
      - 0
    .max_flat_workgroup_size: 900
    .name:           _ZN9rocsparseL20bsrxmvn_17_32_kernelILj30EiliaaiEEvT2_20rocsparse_direction_NS_24const_host_device_scalarIT0_EES1_PKS1_PKT1_SA_S7_PKT3_PKT4_S5_PT5_21rocsparse_index_base_b
    .private_segment_fixed_size: 0
    .sgpr_count:     27
    .sgpr_spill_count: 0
    .symbol:         _ZN9rocsparseL20bsrxmvn_17_32_kernelILj30EiliaaiEEvT2_20rocsparse_direction_NS_24const_host_device_scalarIT0_EES1_PKS1_PKT1_SA_S7_PKT3_PKT4_S5_PT5_21rocsparse_index_base_b.kd
    .uniform_work_group_size: 1
    .uses_dynamic_stack: false
    .vgpr_count:     15
    .vgpr_spill_count: 0
    .wavefront_size: 64
  - .args:
      - .offset:         0
        .size:           4
        .value_kind:     by_value
      - .offset:         4
        .size:           4
        .value_kind:     by_value
      - .offset:         8
        .size:           8
        .value_kind:     by_value
      - .offset:         16
        .size:           4
        .value_kind:     by_value
      - .actual_access:  read_only
        .address_space:  global
        .offset:         24
        .size:           8
        .value_kind:     global_buffer
      - .actual_access:  read_only
        .address_space:  global
        .offset:         32
        .size:           8
        .value_kind:     global_buffer
      - .actual_access:  read_only
        .address_space:  global
        .offset:         40
        .size:           8
        .value_kind:     global_buffer
      - .actual_access:  read_only
        .address_space:  global
        .offset:         48
        .size:           8
        .value_kind:     global_buffer
      - .actual_access:  read_only
        .address_space:  global
        .offset:         56
        .size:           8
        .value_kind:     global_buffer
      - .actual_access:  read_only
        .address_space:  global
        .offset:         64
        .size:           8
        .value_kind:     global_buffer
      - .offset:         72
        .size:           8
        .value_kind:     by_value
      - .address_space:  global
        .offset:         80
        .size:           8
        .value_kind:     global_buffer
      - .offset:         88
        .size:           4
        .value_kind:     by_value
      - .offset:         92
        .size:           1
        .value_kind:     by_value
    .group_segment_fixed_size: 3844
    .kernarg_segment_align: 8
    .kernarg_segment_size: 96
    .language:       OpenCL C
    .language_version:
      - 2
      - 0
    .max_flat_workgroup_size: 961
    .name:           _ZN9rocsparseL20bsrxmvn_17_32_kernelILj31EiliaaiEEvT2_20rocsparse_direction_NS_24const_host_device_scalarIT0_EES1_PKS1_PKT1_SA_S7_PKT3_PKT4_S5_PT5_21rocsparse_index_base_b
    .private_segment_fixed_size: 0
    .sgpr_count:     27
    .sgpr_spill_count: 0
    .symbol:         _ZN9rocsparseL20bsrxmvn_17_32_kernelILj31EiliaaiEEvT2_20rocsparse_direction_NS_24const_host_device_scalarIT0_EES1_PKS1_PKT1_SA_S7_PKT3_PKT4_S5_PT5_21rocsparse_index_base_b.kd
    .uniform_work_group_size: 1
    .uses_dynamic_stack: false
    .vgpr_count:     15
    .vgpr_spill_count: 0
    .wavefront_size: 64
  - .args:
      - .offset:         0
        .size:           4
        .value_kind:     by_value
      - .offset:         4
        .size:           4
        .value_kind:     by_value
      - .offset:         8
        .size:           8
        .value_kind:     by_value
      - .offset:         16
        .size:           4
        .value_kind:     by_value
      - .actual_access:  read_only
        .address_space:  global
        .offset:         24
        .size:           8
        .value_kind:     global_buffer
      - .actual_access:  read_only
        .address_space:  global
        .offset:         32
        .size:           8
        .value_kind:     global_buffer
      - .actual_access:  read_only
        .address_space:  global
        .offset:         40
        .size:           8
        .value_kind:     global_buffer
      - .actual_access:  read_only
        .address_space:  global
        .offset:         48
        .size:           8
        .value_kind:     global_buffer
      - .actual_access:  read_only
        .address_space:  global
        .offset:         56
        .size:           8
        .value_kind:     global_buffer
      - .actual_access:  read_only
        .address_space:  global
        .offset:         64
        .size:           8
        .value_kind:     global_buffer
      - .offset:         72
        .size:           8
        .value_kind:     by_value
      - .address_space:  global
        .offset:         80
        .size:           8
        .value_kind:     global_buffer
      - .offset:         88
        .size:           4
        .value_kind:     by_value
      - .offset:         92
        .size:           1
        .value_kind:     by_value
    .group_segment_fixed_size: 4096
    .kernarg_segment_align: 8
    .kernarg_segment_size: 96
    .language:       OpenCL C
    .language_version:
      - 2
      - 0
    .max_flat_workgroup_size: 1024
    .name:           _ZN9rocsparseL20bsrxmvn_17_32_kernelILj32EiliaaiEEvT2_20rocsparse_direction_NS_24const_host_device_scalarIT0_EES1_PKS1_PKT1_SA_S7_PKT3_PKT4_S5_PT5_21rocsparse_index_base_b
    .private_segment_fixed_size: 0
    .sgpr_count:     28
    .sgpr_spill_count: 0
    .symbol:         _ZN9rocsparseL20bsrxmvn_17_32_kernelILj32EiliaaiEEvT2_20rocsparse_direction_NS_24const_host_device_scalarIT0_EES1_PKS1_PKT1_SA_S7_PKT3_PKT4_S5_PT5_21rocsparse_index_base_b.kd
    .uniform_work_group_size: 1
    .uses_dynamic_stack: false
    .vgpr_count:     12
    .vgpr_spill_count: 0
    .wavefront_size: 64
  - .args:
      - .offset:         0
        .size:           8
        .value_kind:     by_value
      - .offset:         8
        .size:           4
        .value_kind:     by_value
      - .offset:         16
        .size:           8
        .value_kind:     by_value
      - .offset:         24
        .size:           8
        .value_kind:     by_value
      - .actual_access:  read_only
        .address_space:  global
        .offset:         32
        .size:           8
        .value_kind:     global_buffer
      - .actual_access:  read_only
        .address_space:  global
        .offset:         40
        .size:           8
        .value_kind:     global_buffer
      - .actual_access:  read_only
        .address_space:  global
        .offset:         48
        .size:           8
        .value_kind:     global_buffer
      - .actual_access:  read_only
        .address_space:  global
        .offset:         56
        .size:           8
        .value_kind:     global_buffer
      - .actual_access:  read_only
        .address_space:  global
        .offset:         64
        .size:           8
        .value_kind:     global_buffer
      - .actual_access:  read_only
        .address_space:  global
        .offset:         72
        .size:           8
        .value_kind:     global_buffer
      - .offset:         80
        .size:           8
        .value_kind:     by_value
      - .address_space:  global
        .offset:         88
        .size:           8
        .value_kind:     global_buffer
      - .offset:         96
        .size:           4
        .value_kind:     by_value
      - .offset:         100
        .size:           1
        .value_kind:     by_value
    .group_segment_fixed_size: 1156
    .kernarg_segment_align: 8
    .kernarg_segment_size: 104
    .language:       OpenCL C
    .language_version:
      - 2
      - 0
    .max_flat_workgroup_size: 289
    .name:           _ZN9rocsparseL20bsrxmvn_17_32_kernelILj17EillaaiEEvT2_20rocsparse_direction_NS_24const_host_device_scalarIT0_EES1_PKS1_PKT1_SA_S7_PKT3_PKT4_S5_PT5_21rocsparse_index_base_b
    .private_segment_fixed_size: 0
    .sgpr_count:     28
    .sgpr_spill_count: 0
    .symbol:         _ZN9rocsparseL20bsrxmvn_17_32_kernelILj17EillaaiEEvT2_20rocsparse_direction_NS_24const_host_device_scalarIT0_EES1_PKS1_PKT1_SA_S7_PKT3_PKT4_S5_PT5_21rocsparse_index_base_b.kd
    .uniform_work_group_size: 1
    .uses_dynamic_stack: false
    .vgpr_count:     13
    .vgpr_spill_count: 0
    .wavefront_size: 64
  - .args:
      - .offset:         0
        .size:           8
        .value_kind:     by_value
      - .offset:         8
        .size:           4
        .value_kind:     by_value
      - .offset:         16
        .size:           8
        .value_kind:     by_value
      - .offset:         24
        .size:           8
        .value_kind:     by_value
      - .actual_access:  read_only
        .address_space:  global
        .offset:         32
        .size:           8
        .value_kind:     global_buffer
      - .actual_access:  read_only
        .address_space:  global
        .offset:         40
        .size:           8
        .value_kind:     global_buffer
      - .actual_access:  read_only
        .address_space:  global
        .offset:         48
        .size:           8
        .value_kind:     global_buffer
      - .actual_access:  read_only
        .address_space:  global
        .offset:         56
        .size:           8
        .value_kind:     global_buffer
      - .actual_access:  read_only
        .address_space:  global
        .offset:         64
        .size:           8
        .value_kind:     global_buffer
      - .actual_access:  read_only
        .address_space:  global
        .offset:         72
        .size:           8
        .value_kind:     global_buffer
      - .offset:         80
        .size:           8
        .value_kind:     by_value
      - .address_space:  global
        .offset:         88
        .size:           8
        .value_kind:     global_buffer
      - .offset:         96
        .size:           4
        .value_kind:     by_value
      - .offset:         100
        .size:           1
        .value_kind:     by_value
    .group_segment_fixed_size: 1296
    .kernarg_segment_align: 8
    .kernarg_segment_size: 104
    .language:       OpenCL C
    .language_version:
      - 2
      - 0
    .max_flat_workgroup_size: 324
    .name:           _ZN9rocsparseL20bsrxmvn_17_32_kernelILj18EillaaiEEvT2_20rocsparse_direction_NS_24const_host_device_scalarIT0_EES1_PKS1_PKT1_SA_S7_PKT3_PKT4_S5_PT5_21rocsparse_index_base_b
    .private_segment_fixed_size: 0
    .sgpr_count:     28
    .sgpr_spill_count: 0
    .symbol:         _ZN9rocsparseL20bsrxmvn_17_32_kernelILj18EillaaiEEvT2_20rocsparse_direction_NS_24const_host_device_scalarIT0_EES1_PKS1_PKT1_SA_S7_PKT3_PKT4_S5_PT5_21rocsparse_index_base_b.kd
    .uniform_work_group_size: 1
    .uses_dynamic_stack: false
    .vgpr_count:     13
    .vgpr_spill_count: 0
    .wavefront_size: 64
  - .args:
      - .offset:         0
        .size:           8
        .value_kind:     by_value
      - .offset:         8
        .size:           4
        .value_kind:     by_value
      - .offset:         16
        .size:           8
        .value_kind:     by_value
      - .offset:         24
        .size:           8
        .value_kind:     by_value
      - .actual_access:  read_only
        .address_space:  global
        .offset:         32
        .size:           8
        .value_kind:     global_buffer
      - .actual_access:  read_only
        .address_space:  global
        .offset:         40
        .size:           8
        .value_kind:     global_buffer
      - .actual_access:  read_only
        .address_space:  global
        .offset:         48
        .size:           8
        .value_kind:     global_buffer
      - .actual_access:  read_only
        .address_space:  global
        .offset:         56
        .size:           8
        .value_kind:     global_buffer
      - .actual_access:  read_only
        .address_space:  global
        .offset:         64
        .size:           8
        .value_kind:     global_buffer
      - .actual_access:  read_only
        .address_space:  global
        .offset:         72
        .size:           8
        .value_kind:     global_buffer
      - .offset:         80
        .size:           8
        .value_kind:     by_value
      - .address_space:  global
        .offset:         88
        .size:           8
        .value_kind:     global_buffer
      - .offset:         96
        .size:           4
        .value_kind:     by_value
      - .offset:         100
        .size:           1
        .value_kind:     by_value
    .group_segment_fixed_size: 1444
    .kernarg_segment_align: 8
    .kernarg_segment_size: 104
    .language:       OpenCL C
    .language_version:
      - 2
      - 0
    .max_flat_workgroup_size: 361
    .name:           _ZN9rocsparseL20bsrxmvn_17_32_kernelILj19EillaaiEEvT2_20rocsparse_direction_NS_24const_host_device_scalarIT0_EES1_PKS1_PKT1_SA_S7_PKT3_PKT4_S5_PT5_21rocsparse_index_base_b
    .private_segment_fixed_size: 0
    .sgpr_count:     28
    .sgpr_spill_count: 0
    .symbol:         _ZN9rocsparseL20bsrxmvn_17_32_kernelILj19EillaaiEEvT2_20rocsparse_direction_NS_24const_host_device_scalarIT0_EES1_PKS1_PKT1_SA_S7_PKT3_PKT4_S5_PT5_21rocsparse_index_base_b.kd
    .uniform_work_group_size: 1
    .uses_dynamic_stack: false
    .vgpr_count:     13
    .vgpr_spill_count: 0
    .wavefront_size: 64
  - .args:
      - .offset:         0
        .size:           8
        .value_kind:     by_value
      - .offset:         8
        .size:           4
        .value_kind:     by_value
      - .offset:         16
        .size:           8
        .value_kind:     by_value
      - .offset:         24
        .size:           8
        .value_kind:     by_value
      - .actual_access:  read_only
        .address_space:  global
        .offset:         32
        .size:           8
        .value_kind:     global_buffer
      - .actual_access:  read_only
        .address_space:  global
        .offset:         40
        .size:           8
        .value_kind:     global_buffer
      - .actual_access:  read_only
        .address_space:  global
        .offset:         48
        .size:           8
        .value_kind:     global_buffer
      - .actual_access:  read_only
        .address_space:  global
        .offset:         56
        .size:           8
        .value_kind:     global_buffer
      - .actual_access:  read_only
        .address_space:  global
        .offset:         64
        .size:           8
        .value_kind:     global_buffer
      - .actual_access:  read_only
        .address_space:  global
        .offset:         72
        .size:           8
        .value_kind:     global_buffer
      - .offset:         80
        .size:           8
        .value_kind:     by_value
      - .address_space:  global
        .offset:         88
        .size:           8
        .value_kind:     global_buffer
      - .offset:         96
        .size:           4
        .value_kind:     by_value
      - .offset:         100
        .size:           1
        .value_kind:     by_value
    .group_segment_fixed_size: 1600
    .kernarg_segment_align: 8
    .kernarg_segment_size: 104
    .language:       OpenCL C
    .language_version:
      - 2
      - 0
    .max_flat_workgroup_size: 400
    .name:           _ZN9rocsparseL20bsrxmvn_17_32_kernelILj20EillaaiEEvT2_20rocsparse_direction_NS_24const_host_device_scalarIT0_EES1_PKS1_PKT1_SA_S7_PKT3_PKT4_S5_PT5_21rocsparse_index_base_b
    .private_segment_fixed_size: 0
    .sgpr_count:     28
    .sgpr_spill_count: 0
    .symbol:         _ZN9rocsparseL20bsrxmvn_17_32_kernelILj20EillaaiEEvT2_20rocsparse_direction_NS_24const_host_device_scalarIT0_EES1_PKS1_PKT1_SA_S7_PKT3_PKT4_S5_PT5_21rocsparse_index_base_b.kd
    .uniform_work_group_size: 1
    .uses_dynamic_stack: false
    .vgpr_count:     13
    .vgpr_spill_count: 0
    .wavefront_size: 64
  - .args:
      - .offset:         0
        .size:           8
        .value_kind:     by_value
      - .offset:         8
        .size:           4
        .value_kind:     by_value
      - .offset:         16
        .size:           8
        .value_kind:     by_value
      - .offset:         24
        .size:           8
        .value_kind:     by_value
      - .actual_access:  read_only
        .address_space:  global
        .offset:         32
        .size:           8
        .value_kind:     global_buffer
      - .actual_access:  read_only
        .address_space:  global
        .offset:         40
        .size:           8
        .value_kind:     global_buffer
      - .actual_access:  read_only
        .address_space:  global
        .offset:         48
        .size:           8
        .value_kind:     global_buffer
      - .actual_access:  read_only
        .address_space:  global
        .offset:         56
        .size:           8
        .value_kind:     global_buffer
      - .actual_access:  read_only
        .address_space:  global
        .offset:         64
        .size:           8
        .value_kind:     global_buffer
      - .actual_access:  read_only
        .address_space:  global
        .offset:         72
        .size:           8
        .value_kind:     global_buffer
      - .offset:         80
        .size:           8
        .value_kind:     by_value
      - .address_space:  global
        .offset:         88
        .size:           8
        .value_kind:     global_buffer
      - .offset:         96
        .size:           4
        .value_kind:     by_value
      - .offset:         100
        .size:           1
        .value_kind:     by_value
    .group_segment_fixed_size: 1764
    .kernarg_segment_align: 8
    .kernarg_segment_size: 104
    .language:       OpenCL C
    .language_version:
      - 2
      - 0
    .max_flat_workgroup_size: 441
    .name:           _ZN9rocsparseL20bsrxmvn_17_32_kernelILj21EillaaiEEvT2_20rocsparse_direction_NS_24const_host_device_scalarIT0_EES1_PKS1_PKT1_SA_S7_PKT3_PKT4_S5_PT5_21rocsparse_index_base_b
    .private_segment_fixed_size: 0
    .sgpr_count:     28
    .sgpr_spill_count: 0
    .symbol:         _ZN9rocsparseL20bsrxmvn_17_32_kernelILj21EillaaiEEvT2_20rocsparse_direction_NS_24const_host_device_scalarIT0_EES1_PKS1_PKT1_SA_S7_PKT3_PKT4_S5_PT5_21rocsparse_index_base_b.kd
    .uniform_work_group_size: 1
    .uses_dynamic_stack: false
    .vgpr_count:     13
    .vgpr_spill_count: 0
    .wavefront_size: 64
  - .args:
      - .offset:         0
        .size:           8
        .value_kind:     by_value
      - .offset:         8
        .size:           4
        .value_kind:     by_value
      - .offset:         16
        .size:           8
        .value_kind:     by_value
      - .offset:         24
        .size:           8
        .value_kind:     by_value
      - .actual_access:  read_only
        .address_space:  global
        .offset:         32
        .size:           8
        .value_kind:     global_buffer
      - .actual_access:  read_only
        .address_space:  global
        .offset:         40
        .size:           8
        .value_kind:     global_buffer
      - .actual_access:  read_only
        .address_space:  global
        .offset:         48
        .size:           8
        .value_kind:     global_buffer
      - .actual_access:  read_only
        .address_space:  global
        .offset:         56
        .size:           8
        .value_kind:     global_buffer
      - .actual_access:  read_only
        .address_space:  global
        .offset:         64
        .size:           8
        .value_kind:     global_buffer
      - .actual_access:  read_only
        .address_space:  global
        .offset:         72
        .size:           8
        .value_kind:     global_buffer
      - .offset:         80
        .size:           8
        .value_kind:     by_value
      - .address_space:  global
        .offset:         88
        .size:           8
        .value_kind:     global_buffer
      - .offset:         96
        .size:           4
        .value_kind:     by_value
      - .offset:         100
        .size:           1
        .value_kind:     by_value
    .group_segment_fixed_size: 1936
    .kernarg_segment_align: 8
    .kernarg_segment_size: 104
    .language:       OpenCL C
    .language_version:
      - 2
      - 0
    .max_flat_workgroup_size: 484
    .name:           _ZN9rocsparseL20bsrxmvn_17_32_kernelILj22EillaaiEEvT2_20rocsparse_direction_NS_24const_host_device_scalarIT0_EES1_PKS1_PKT1_SA_S7_PKT3_PKT4_S5_PT5_21rocsparse_index_base_b
    .private_segment_fixed_size: 0
    .sgpr_count:     28
    .sgpr_spill_count: 0
    .symbol:         _ZN9rocsparseL20bsrxmvn_17_32_kernelILj22EillaaiEEvT2_20rocsparse_direction_NS_24const_host_device_scalarIT0_EES1_PKS1_PKT1_SA_S7_PKT3_PKT4_S5_PT5_21rocsparse_index_base_b.kd
    .uniform_work_group_size: 1
    .uses_dynamic_stack: false
    .vgpr_count:     13
    .vgpr_spill_count: 0
    .wavefront_size: 64
  - .args:
      - .offset:         0
        .size:           8
        .value_kind:     by_value
      - .offset:         8
        .size:           4
        .value_kind:     by_value
      - .offset:         16
        .size:           8
        .value_kind:     by_value
      - .offset:         24
        .size:           8
        .value_kind:     by_value
      - .actual_access:  read_only
        .address_space:  global
        .offset:         32
        .size:           8
        .value_kind:     global_buffer
      - .actual_access:  read_only
        .address_space:  global
        .offset:         40
        .size:           8
        .value_kind:     global_buffer
      - .actual_access:  read_only
        .address_space:  global
        .offset:         48
        .size:           8
        .value_kind:     global_buffer
      - .actual_access:  read_only
        .address_space:  global
        .offset:         56
        .size:           8
        .value_kind:     global_buffer
      - .actual_access:  read_only
        .address_space:  global
        .offset:         64
        .size:           8
        .value_kind:     global_buffer
      - .actual_access:  read_only
        .address_space:  global
        .offset:         72
        .size:           8
        .value_kind:     global_buffer
      - .offset:         80
        .size:           8
        .value_kind:     by_value
      - .address_space:  global
        .offset:         88
        .size:           8
        .value_kind:     global_buffer
      - .offset:         96
        .size:           4
        .value_kind:     by_value
      - .offset:         100
        .size:           1
        .value_kind:     by_value
    .group_segment_fixed_size: 2116
    .kernarg_segment_align: 8
    .kernarg_segment_size: 104
    .language:       OpenCL C
    .language_version:
      - 2
      - 0
    .max_flat_workgroup_size: 529
    .name:           _ZN9rocsparseL20bsrxmvn_17_32_kernelILj23EillaaiEEvT2_20rocsparse_direction_NS_24const_host_device_scalarIT0_EES1_PKS1_PKT1_SA_S7_PKT3_PKT4_S5_PT5_21rocsparse_index_base_b
    .private_segment_fixed_size: 0
    .sgpr_count:     28
    .sgpr_spill_count: 0
    .symbol:         _ZN9rocsparseL20bsrxmvn_17_32_kernelILj23EillaaiEEvT2_20rocsparse_direction_NS_24const_host_device_scalarIT0_EES1_PKS1_PKT1_SA_S7_PKT3_PKT4_S5_PT5_21rocsparse_index_base_b.kd
    .uniform_work_group_size: 1
    .uses_dynamic_stack: false
    .vgpr_count:     13
    .vgpr_spill_count: 0
    .wavefront_size: 64
  - .args:
      - .offset:         0
        .size:           8
        .value_kind:     by_value
      - .offset:         8
        .size:           4
        .value_kind:     by_value
      - .offset:         16
        .size:           8
        .value_kind:     by_value
      - .offset:         24
        .size:           8
        .value_kind:     by_value
      - .actual_access:  read_only
        .address_space:  global
        .offset:         32
        .size:           8
        .value_kind:     global_buffer
      - .actual_access:  read_only
        .address_space:  global
        .offset:         40
        .size:           8
        .value_kind:     global_buffer
      - .actual_access:  read_only
        .address_space:  global
        .offset:         48
        .size:           8
        .value_kind:     global_buffer
      - .actual_access:  read_only
        .address_space:  global
        .offset:         56
        .size:           8
        .value_kind:     global_buffer
      - .actual_access:  read_only
        .address_space:  global
        .offset:         64
        .size:           8
        .value_kind:     global_buffer
      - .actual_access:  read_only
        .address_space:  global
        .offset:         72
        .size:           8
        .value_kind:     global_buffer
      - .offset:         80
        .size:           8
        .value_kind:     by_value
      - .address_space:  global
        .offset:         88
        .size:           8
        .value_kind:     global_buffer
      - .offset:         96
        .size:           4
        .value_kind:     by_value
      - .offset:         100
        .size:           1
        .value_kind:     by_value
    .group_segment_fixed_size: 2304
    .kernarg_segment_align: 8
    .kernarg_segment_size: 104
    .language:       OpenCL C
    .language_version:
      - 2
      - 0
    .max_flat_workgroup_size: 576
    .name:           _ZN9rocsparseL20bsrxmvn_17_32_kernelILj24EillaaiEEvT2_20rocsparse_direction_NS_24const_host_device_scalarIT0_EES1_PKS1_PKT1_SA_S7_PKT3_PKT4_S5_PT5_21rocsparse_index_base_b
    .private_segment_fixed_size: 0
    .sgpr_count:     28
    .sgpr_spill_count: 0
    .symbol:         _ZN9rocsparseL20bsrxmvn_17_32_kernelILj24EillaaiEEvT2_20rocsparse_direction_NS_24const_host_device_scalarIT0_EES1_PKS1_PKT1_SA_S7_PKT3_PKT4_S5_PT5_21rocsparse_index_base_b.kd
    .uniform_work_group_size: 1
    .uses_dynamic_stack: false
    .vgpr_count:     13
    .vgpr_spill_count: 0
    .wavefront_size: 64
  - .args:
      - .offset:         0
        .size:           8
        .value_kind:     by_value
      - .offset:         8
        .size:           4
        .value_kind:     by_value
      - .offset:         16
        .size:           8
        .value_kind:     by_value
      - .offset:         24
        .size:           8
        .value_kind:     by_value
      - .actual_access:  read_only
        .address_space:  global
        .offset:         32
        .size:           8
        .value_kind:     global_buffer
      - .actual_access:  read_only
        .address_space:  global
        .offset:         40
        .size:           8
        .value_kind:     global_buffer
      - .actual_access:  read_only
        .address_space:  global
        .offset:         48
        .size:           8
        .value_kind:     global_buffer
      - .actual_access:  read_only
        .address_space:  global
        .offset:         56
        .size:           8
        .value_kind:     global_buffer
      - .actual_access:  read_only
        .address_space:  global
        .offset:         64
        .size:           8
        .value_kind:     global_buffer
      - .actual_access:  read_only
        .address_space:  global
        .offset:         72
        .size:           8
        .value_kind:     global_buffer
      - .offset:         80
        .size:           8
        .value_kind:     by_value
      - .address_space:  global
        .offset:         88
        .size:           8
        .value_kind:     global_buffer
      - .offset:         96
        .size:           4
        .value_kind:     by_value
      - .offset:         100
        .size:           1
        .value_kind:     by_value
    .group_segment_fixed_size: 2500
    .kernarg_segment_align: 8
    .kernarg_segment_size: 104
    .language:       OpenCL C
    .language_version:
      - 2
      - 0
    .max_flat_workgroup_size: 625
    .name:           _ZN9rocsparseL20bsrxmvn_17_32_kernelILj25EillaaiEEvT2_20rocsparse_direction_NS_24const_host_device_scalarIT0_EES1_PKS1_PKT1_SA_S7_PKT3_PKT4_S5_PT5_21rocsparse_index_base_b
    .private_segment_fixed_size: 0
    .sgpr_count:     28
    .sgpr_spill_count: 0
    .symbol:         _ZN9rocsparseL20bsrxmvn_17_32_kernelILj25EillaaiEEvT2_20rocsparse_direction_NS_24const_host_device_scalarIT0_EES1_PKS1_PKT1_SA_S7_PKT3_PKT4_S5_PT5_21rocsparse_index_base_b.kd
    .uniform_work_group_size: 1
    .uses_dynamic_stack: false
    .vgpr_count:     15
    .vgpr_spill_count: 0
    .wavefront_size: 64
  - .args:
      - .offset:         0
        .size:           8
        .value_kind:     by_value
      - .offset:         8
        .size:           4
        .value_kind:     by_value
      - .offset:         16
        .size:           8
        .value_kind:     by_value
      - .offset:         24
        .size:           8
        .value_kind:     by_value
      - .actual_access:  read_only
        .address_space:  global
        .offset:         32
        .size:           8
        .value_kind:     global_buffer
      - .actual_access:  read_only
        .address_space:  global
        .offset:         40
        .size:           8
        .value_kind:     global_buffer
      - .actual_access:  read_only
        .address_space:  global
        .offset:         48
        .size:           8
        .value_kind:     global_buffer
      - .actual_access:  read_only
        .address_space:  global
        .offset:         56
        .size:           8
        .value_kind:     global_buffer
      - .actual_access:  read_only
        .address_space:  global
        .offset:         64
        .size:           8
        .value_kind:     global_buffer
      - .actual_access:  read_only
        .address_space:  global
        .offset:         72
        .size:           8
        .value_kind:     global_buffer
      - .offset:         80
        .size:           8
        .value_kind:     by_value
      - .address_space:  global
        .offset:         88
        .size:           8
        .value_kind:     global_buffer
      - .offset:         96
        .size:           4
        .value_kind:     by_value
      - .offset:         100
        .size:           1
        .value_kind:     by_value
    .group_segment_fixed_size: 2704
    .kernarg_segment_align: 8
    .kernarg_segment_size: 104
    .language:       OpenCL C
    .language_version:
      - 2
      - 0
    .max_flat_workgroup_size: 676
    .name:           _ZN9rocsparseL20bsrxmvn_17_32_kernelILj26EillaaiEEvT2_20rocsparse_direction_NS_24const_host_device_scalarIT0_EES1_PKS1_PKT1_SA_S7_PKT3_PKT4_S5_PT5_21rocsparse_index_base_b
    .private_segment_fixed_size: 0
    .sgpr_count:     28
    .sgpr_spill_count: 0
    .symbol:         _ZN9rocsparseL20bsrxmvn_17_32_kernelILj26EillaaiEEvT2_20rocsparse_direction_NS_24const_host_device_scalarIT0_EES1_PKS1_PKT1_SA_S7_PKT3_PKT4_S5_PT5_21rocsparse_index_base_b.kd
    .uniform_work_group_size: 1
    .uses_dynamic_stack: false
    .vgpr_count:     15
    .vgpr_spill_count: 0
    .wavefront_size: 64
  - .args:
      - .offset:         0
        .size:           8
        .value_kind:     by_value
      - .offset:         8
        .size:           4
        .value_kind:     by_value
      - .offset:         16
        .size:           8
        .value_kind:     by_value
      - .offset:         24
        .size:           8
        .value_kind:     by_value
      - .actual_access:  read_only
        .address_space:  global
        .offset:         32
        .size:           8
        .value_kind:     global_buffer
      - .actual_access:  read_only
        .address_space:  global
        .offset:         40
        .size:           8
        .value_kind:     global_buffer
      - .actual_access:  read_only
        .address_space:  global
        .offset:         48
        .size:           8
        .value_kind:     global_buffer
      - .actual_access:  read_only
        .address_space:  global
        .offset:         56
        .size:           8
        .value_kind:     global_buffer
      - .actual_access:  read_only
        .address_space:  global
        .offset:         64
        .size:           8
        .value_kind:     global_buffer
      - .actual_access:  read_only
        .address_space:  global
        .offset:         72
        .size:           8
        .value_kind:     global_buffer
      - .offset:         80
        .size:           8
        .value_kind:     by_value
      - .address_space:  global
        .offset:         88
        .size:           8
        .value_kind:     global_buffer
      - .offset:         96
        .size:           4
        .value_kind:     by_value
      - .offset:         100
        .size:           1
        .value_kind:     by_value
    .group_segment_fixed_size: 2916
    .kernarg_segment_align: 8
    .kernarg_segment_size: 104
    .language:       OpenCL C
    .language_version:
      - 2
      - 0
    .max_flat_workgroup_size: 729
    .name:           _ZN9rocsparseL20bsrxmvn_17_32_kernelILj27EillaaiEEvT2_20rocsparse_direction_NS_24const_host_device_scalarIT0_EES1_PKS1_PKT1_SA_S7_PKT3_PKT4_S5_PT5_21rocsparse_index_base_b
    .private_segment_fixed_size: 0
    .sgpr_count:     28
    .sgpr_spill_count: 0
    .symbol:         _ZN9rocsparseL20bsrxmvn_17_32_kernelILj27EillaaiEEvT2_20rocsparse_direction_NS_24const_host_device_scalarIT0_EES1_PKS1_PKT1_SA_S7_PKT3_PKT4_S5_PT5_21rocsparse_index_base_b.kd
    .uniform_work_group_size: 1
    .uses_dynamic_stack: false
    .vgpr_count:     15
    .vgpr_spill_count: 0
    .wavefront_size: 64
  - .args:
      - .offset:         0
        .size:           8
        .value_kind:     by_value
      - .offset:         8
        .size:           4
        .value_kind:     by_value
      - .offset:         16
        .size:           8
        .value_kind:     by_value
      - .offset:         24
        .size:           8
        .value_kind:     by_value
      - .actual_access:  read_only
        .address_space:  global
        .offset:         32
        .size:           8
        .value_kind:     global_buffer
      - .actual_access:  read_only
        .address_space:  global
        .offset:         40
        .size:           8
        .value_kind:     global_buffer
      - .actual_access:  read_only
        .address_space:  global
        .offset:         48
        .size:           8
        .value_kind:     global_buffer
      - .actual_access:  read_only
        .address_space:  global
        .offset:         56
        .size:           8
        .value_kind:     global_buffer
      - .actual_access:  read_only
        .address_space:  global
        .offset:         64
        .size:           8
        .value_kind:     global_buffer
      - .actual_access:  read_only
        .address_space:  global
        .offset:         72
        .size:           8
        .value_kind:     global_buffer
      - .offset:         80
        .size:           8
        .value_kind:     by_value
      - .address_space:  global
        .offset:         88
        .size:           8
        .value_kind:     global_buffer
      - .offset:         96
        .size:           4
        .value_kind:     by_value
      - .offset:         100
        .size:           1
        .value_kind:     by_value
    .group_segment_fixed_size: 3136
    .kernarg_segment_align: 8
    .kernarg_segment_size: 104
    .language:       OpenCL C
    .language_version:
      - 2
      - 0
    .max_flat_workgroup_size: 784
    .name:           _ZN9rocsparseL20bsrxmvn_17_32_kernelILj28EillaaiEEvT2_20rocsparse_direction_NS_24const_host_device_scalarIT0_EES1_PKS1_PKT1_SA_S7_PKT3_PKT4_S5_PT5_21rocsparse_index_base_b
    .private_segment_fixed_size: 0
    .sgpr_count:     28
    .sgpr_spill_count: 0
    .symbol:         _ZN9rocsparseL20bsrxmvn_17_32_kernelILj28EillaaiEEvT2_20rocsparse_direction_NS_24const_host_device_scalarIT0_EES1_PKS1_PKT1_SA_S7_PKT3_PKT4_S5_PT5_21rocsparse_index_base_b.kd
    .uniform_work_group_size: 1
    .uses_dynamic_stack: false
    .vgpr_count:     15
    .vgpr_spill_count: 0
    .wavefront_size: 64
  - .args:
      - .offset:         0
        .size:           8
        .value_kind:     by_value
      - .offset:         8
        .size:           4
        .value_kind:     by_value
      - .offset:         16
        .size:           8
        .value_kind:     by_value
      - .offset:         24
        .size:           8
        .value_kind:     by_value
      - .actual_access:  read_only
        .address_space:  global
        .offset:         32
        .size:           8
        .value_kind:     global_buffer
      - .actual_access:  read_only
        .address_space:  global
        .offset:         40
        .size:           8
        .value_kind:     global_buffer
      - .actual_access:  read_only
        .address_space:  global
        .offset:         48
        .size:           8
        .value_kind:     global_buffer
      - .actual_access:  read_only
        .address_space:  global
        .offset:         56
        .size:           8
        .value_kind:     global_buffer
      - .actual_access:  read_only
        .address_space:  global
        .offset:         64
        .size:           8
        .value_kind:     global_buffer
      - .actual_access:  read_only
        .address_space:  global
        .offset:         72
        .size:           8
        .value_kind:     global_buffer
      - .offset:         80
        .size:           8
        .value_kind:     by_value
      - .address_space:  global
        .offset:         88
        .size:           8
        .value_kind:     global_buffer
      - .offset:         96
        .size:           4
        .value_kind:     by_value
      - .offset:         100
        .size:           1
        .value_kind:     by_value
    .group_segment_fixed_size: 3364
    .kernarg_segment_align: 8
    .kernarg_segment_size: 104
    .language:       OpenCL C
    .language_version:
      - 2
      - 0
    .max_flat_workgroup_size: 841
    .name:           _ZN9rocsparseL20bsrxmvn_17_32_kernelILj29EillaaiEEvT2_20rocsparse_direction_NS_24const_host_device_scalarIT0_EES1_PKS1_PKT1_SA_S7_PKT3_PKT4_S5_PT5_21rocsparse_index_base_b
    .private_segment_fixed_size: 0
    .sgpr_count:     28
    .sgpr_spill_count: 0
    .symbol:         _ZN9rocsparseL20bsrxmvn_17_32_kernelILj29EillaaiEEvT2_20rocsparse_direction_NS_24const_host_device_scalarIT0_EES1_PKS1_PKT1_SA_S7_PKT3_PKT4_S5_PT5_21rocsparse_index_base_b.kd
    .uniform_work_group_size: 1
    .uses_dynamic_stack: false
    .vgpr_count:     15
    .vgpr_spill_count: 0
    .wavefront_size: 64
  - .args:
      - .offset:         0
        .size:           8
        .value_kind:     by_value
      - .offset:         8
        .size:           4
        .value_kind:     by_value
      - .offset:         16
        .size:           8
        .value_kind:     by_value
      - .offset:         24
        .size:           8
        .value_kind:     by_value
      - .actual_access:  read_only
        .address_space:  global
        .offset:         32
        .size:           8
        .value_kind:     global_buffer
      - .actual_access:  read_only
        .address_space:  global
        .offset:         40
        .size:           8
        .value_kind:     global_buffer
      - .actual_access:  read_only
        .address_space:  global
        .offset:         48
        .size:           8
        .value_kind:     global_buffer
      - .actual_access:  read_only
        .address_space:  global
        .offset:         56
        .size:           8
        .value_kind:     global_buffer
      - .actual_access:  read_only
        .address_space:  global
        .offset:         64
        .size:           8
        .value_kind:     global_buffer
      - .actual_access:  read_only
        .address_space:  global
        .offset:         72
        .size:           8
        .value_kind:     global_buffer
      - .offset:         80
        .size:           8
        .value_kind:     by_value
      - .address_space:  global
        .offset:         88
        .size:           8
        .value_kind:     global_buffer
      - .offset:         96
        .size:           4
        .value_kind:     by_value
      - .offset:         100
        .size:           1
        .value_kind:     by_value
    .group_segment_fixed_size: 3600
    .kernarg_segment_align: 8
    .kernarg_segment_size: 104
    .language:       OpenCL C
    .language_version:
      - 2
      - 0
    .max_flat_workgroup_size: 900
    .name:           _ZN9rocsparseL20bsrxmvn_17_32_kernelILj30EillaaiEEvT2_20rocsparse_direction_NS_24const_host_device_scalarIT0_EES1_PKS1_PKT1_SA_S7_PKT3_PKT4_S5_PT5_21rocsparse_index_base_b
    .private_segment_fixed_size: 0
    .sgpr_count:     28
    .sgpr_spill_count: 0
    .symbol:         _ZN9rocsparseL20bsrxmvn_17_32_kernelILj30EillaaiEEvT2_20rocsparse_direction_NS_24const_host_device_scalarIT0_EES1_PKS1_PKT1_SA_S7_PKT3_PKT4_S5_PT5_21rocsparse_index_base_b.kd
    .uniform_work_group_size: 1
    .uses_dynamic_stack: false
    .vgpr_count:     15
    .vgpr_spill_count: 0
    .wavefront_size: 64
  - .args:
      - .offset:         0
        .size:           8
        .value_kind:     by_value
      - .offset:         8
        .size:           4
        .value_kind:     by_value
      - .offset:         16
        .size:           8
        .value_kind:     by_value
      - .offset:         24
        .size:           8
        .value_kind:     by_value
      - .actual_access:  read_only
        .address_space:  global
        .offset:         32
        .size:           8
        .value_kind:     global_buffer
      - .actual_access:  read_only
        .address_space:  global
        .offset:         40
        .size:           8
        .value_kind:     global_buffer
      - .actual_access:  read_only
        .address_space:  global
        .offset:         48
        .size:           8
        .value_kind:     global_buffer
      - .actual_access:  read_only
        .address_space:  global
        .offset:         56
        .size:           8
        .value_kind:     global_buffer
      - .actual_access:  read_only
        .address_space:  global
        .offset:         64
        .size:           8
        .value_kind:     global_buffer
      - .actual_access:  read_only
        .address_space:  global
        .offset:         72
        .size:           8
        .value_kind:     global_buffer
      - .offset:         80
        .size:           8
        .value_kind:     by_value
      - .address_space:  global
        .offset:         88
        .size:           8
        .value_kind:     global_buffer
      - .offset:         96
        .size:           4
        .value_kind:     by_value
      - .offset:         100
        .size:           1
        .value_kind:     by_value
    .group_segment_fixed_size: 3844
    .kernarg_segment_align: 8
    .kernarg_segment_size: 104
    .language:       OpenCL C
    .language_version:
      - 2
      - 0
    .max_flat_workgroup_size: 961
    .name:           _ZN9rocsparseL20bsrxmvn_17_32_kernelILj31EillaaiEEvT2_20rocsparse_direction_NS_24const_host_device_scalarIT0_EES1_PKS1_PKT1_SA_S7_PKT3_PKT4_S5_PT5_21rocsparse_index_base_b
    .private_segment_fixed_size: 0
    .sgpr_count:     28
    .sgpr_spill_count: 0
    .symbol:         _ZN9rocsparseL20bsrxmvn_17_32_kernelILj31EillaaiEEvT2_20rocsparse_direction_NS_24const_host_device_scalarIT0_EES1_PKS1_PKT1_SA_S7_PKT3_PKT4_S5_PT5_21rocsparse_index_base_b.kd
    .uniform_work_group_size: 1
    .uses_dynamic_stack: false
    .vgpr_count:     15
    .vgpr_spill_count: 0
    .wavefront_size: 64
  - .args:
      - .offset:         0
        .size:           8
        .value_kind:     by_value
      - .offset:         8
        .size:           4
        .value_kind:     by_value
      - .offset:         16
        .size:           8
        .value_kind:     by_value
      - .offset:         24
        .size:           8
        .value_kind:     by_value
      - .actual_access:  read_only
        .address_space:  global
        .offset:         32
        .size:           8
        .value_kind:     global_buffer
      - .actual_access:  read_only
        .address_space:  global
        .offset:         40
        .size:           8
        .value_kind:     global_buffer
      - .actual_access:  read_only
        .address_space:  global
        .offset:         48
        .size:           8
        .value_kind:     global_buffer
      - .actual_access:  read_only
        .address_space:  global
        .offset:         56
        .size:           8
        .value_kind:     global_buffer
      - .actual_access:  read_only
        .address_space:  global
        .offset:         64
        .size:           8
        .value_kind:     global_buffer
      - .actual_access:  read_only
        .address_space:  global
        .offset:         72
        .size:           8
        .value_kind:     global_buffer
      - .offset:         80
        .size:           8
        .value_kind:     by_value
      - .address_space:  global
        .offset:         88
        .size:           8
        .value_kind:     global_buffer
      - .offset:         96
        .size:           4
        .value_kind:     by_value
      - .offset:         100
        .size:           1
        .value_kind:     by_value
    .group_segment_fixed_size: 4096
    .kernarg_segment_align: 8
    .kernarg_segment_size: 104
    .language:       OpenCL C
    .language_version:
      - 2
      - 0
    .max_flat_workgroup_size: 1024
    .name:           _ZN9rocsparseL20bsrxmvn_17_32_kernelILj32EillaaiEEvT2_20rocsparse_direction_NS_24const_host_device_scalarIT0_EES1_PKS1_PKT1_SA_S7_PKT3_PKT4_S5_PT5_21rocsparse_index_base_b
    .private_segment_fixed_size: 0
    .sgpr_count:     28
    .sgpr_spill_count: 0
    .symbol:         _ZN9rocsparseL20bsrxmvn_17_32_kernelILj32EillaaiEEvT2_20rocsparse_direction_NS_24const_host_device_scalarIT0_EES1_PKS1_PKT1_SA_S7_PKT3_PKT4_S5_PT5_21rocsparse_index_base_b.kd
    .uniform_work_group_size: 1
    .uses_dynamic_stack: false
    .vgpr_count:     12
    .vgpr_spill_count: 0
    .wavefront_size: 64
  - .args:
      - .offset:         0
        .size:           4
        .value_kind:     by_value
      - .offset:         4
        .size:           4
        .value_kind:     by_value
      - .offset:         8
        .size:           8
        .value_kind:     by_value
      - .offset:         16
        .size:           4
        .value_kind:     by_value
      - .actual_access:  read_only
        .address_space:  global
        .offset:         24
        .size:           8
        .value_kind:     global_buffer
      - .actual_access:  read_only
        .address_space:  global
        .offset:         32
        .size:           8
        .value_kind:     global_buffer
      - .actual_access:  read_only
        .address_space:  global
        .offset:         40
        .size:           8
        .value_kind:     global_buffer
      - .actual_access:  read_only
        .address_space:  global
        .offset:         48
        .size:           8
        .value_kind:     global_buffer
      - .actual_access:  read_only
        .address_space:  global
        .offset:         56
        .size:           8
        .value_kind:     global_buffer
      - .actual_access:  read_only
        .address_space:  global
        .offset:         64
        .size:           8
        .value_kind:     global_buffer
      - .offset:         72
        .size:           8
        .value_kind:     by_value
      - .address_space:  global
        .offset:         80
        .size:           8
        .value_kind:     global_buffer
      - .offset:         88
        .size:           4
        .value_kind:     by_value
      - .offset:         92
        .size:           1
        .value_kind:     by_value
    .group_segment_fixed_size: 1156
    .kernarg_segment_align: 8
    .kernarg_segment_size: 96
    .language:       OpenCL C
    .language_version:
      - 2
      - 0
    .max_flat_workgroup_size: 289
    .name:           _ZN9rocsparseL20bsrxmvn_17_32_kernelILj17EfiiaafEEvT2_20rocsparse_direction_NS_24const_host_device_scalarIT0_EES1_PKS1_PKT1_SA_S7_PKT3_PKT4_S5_PT5_21rocsparse_index_base_b
    .private_segment_fixed_size: 0
    .sgpr_count:     26
    .sgpr_spill_count: 0
    .symbol:         _ZN9rocsparseL20bsrxmvn_17_32_kernelILj17EfiiaafEEvT2_20rocsparse_direction_NS_24const_host_device_scalarIT0_EES1_PKS1_PKT1_SA_S7_PKT3_PKT4_S5_PT5_21rocsparse_index_base_b.kd
    .uniform_work_group_size: 1
    .uses_dynamic_stack: false
    .vgpr_count:     11
    .vgpr_spill_count: 0
    .wavefront_size: 64
  - .args:
      - .offset:         0
        .size:           4
        .value_kind:     by_value
      - .offset:         4
        .size:           4
        .value_kind:     by_value
      - .offset:         8
        .size:           8
        .value_kind:     by_value
      - .offset:         16
        .size:           4
        .value_kind:     by_value
      - .actual_access:  read_only
        .address_space:  global
        .offset:         24
        .size:           8
        .value_kind:     global_buffer
      - .actual_access:  read_only
        .address_space:  global
        .offset:         32
        .size:           8
        .value_kind:     global_buffer
      - .actual_access:  read_only
        .address_space:  global
        .offset:         40
        .size:           8
        .value_kind:     global_buffer
      - .actual_access:  read_only
        .address_space:  global
        .offset:         48
        .size:           8
        .value_kind:     global_buffer
      - .actual_access:  read_only
        .address_space:  global
        .offset:         56
        .size:           8
        .value_kind:     global_buffer
      - .actual_access:  read_only
        .address_space:  global
        .offset:         64
        .size:           8
        .value_kind:     global_buffer
      - .offset:         72
        .size:           8
        .value_kind:     by_value
      - .address_space:  global
        .offset:         80
        .size:           8
        .value_kind:     global_buffer
      - .offset:         88
        .size:           4
        .value_kind:     by_value
      - .offset:         92
        .size:           1
        .value_kind:     by_value
    .group_segment_fixed_size: 1296
    .kernarg_segment_align: 8
    .kernarg_segment_size: 96
    .language:       OpenCL C
    .language_version:
      - 2
      - 0
    .max_flat_workgroup_size: 324
    .name:           _ZN9rocsparseL20bsrxmvn_17_32_kernelILj18EfiiaafEEvT2_20rocsparse_direction_NS_24const_host_device_scalarIT0_EES1_PKS1_PKT1_SA_S7_PKT3_PKT4_S5_PT5_21rocsparse_index_base_b
    .private_segment_fixed_size: 0
    .sgpr_count:     26
    .sgpr_spill_count: 0
    .symbol:         _ZN9rocsparseL20bsrxmvn_17_32_kernelILj18EfiiaafEEvT2_20rocsparse_direction_NS_24const_host_device_scalarIT0_EES1_PKS1_PKT1_SA_S7_PKT3_PKT4_S5_PT5_21rocsparse_index_base_b.kd
    .uniform_work_group_size: 1
    .uses_dynamic_stack: false
    .vgpr_count:     11
    .vgpr_spill_count: 0
    .wavefront_size: 64
  - .args:
      - .offset:         0
        .size:           4
        .value_kind:     by_value
      - .offset:         4
        .size:           4
        .value_kind:     by_value
      - .offset:         8
        .size:           8
        .value_kind:     by_value
      - .offset:         16
        .size:           4
        .value_kind:     by_value
      - .actual_access:  read_only
        .address_space:  global
        .offset:         24
        .size:           8
        .value_kind:     global_buffer
      - .actual_access:  read_only
        .address_space:  global
        .offset:         32
        .size:           8
        .value_kind:     global_buffer
      - .actual_access:  read_only
        .address_space:  global
        .offset:         40
        .size:           8
        .value_kind:     global_buffer
      - .actual_access:  read_only
        .address_space:  global
        .offset:         48
        .size:           8
        .value_kind:     global_buffer
      - .actual_access:  read_only
        .address_space:  global
        .offset:         56
        .size:           8
        .value_kind:     global_buffer
      - .actual_access:  read_only
        .address_space:  global
        .offset:         64
        .size:           8
        .value_kind:     global_buffer
      - .offset:         72
        .size:           8
        .value_kind:     by_value
      - .address_space:  global
        .offset:         80
        .size:           8
        .value_kind:     global_buffer
      - .offset:         88
        .size:           4
        .value_kind:     by_value
      - .offset:         92
        .size:           1
        .value_kind:     by_value
    .group_segment_fixed_size: 1444
    .kernarg_segment_align: 8
    .kernarg_segment_size: 96
    .language:       OpenCL C
    .language_version:
      - 2
      - 0
    .max_flat_workgroup_size: 361
    .name:           _ZN9rocsparseL20bsrxmvn_17_32_kernelILj19EfiiaafEEvT2_20rocsparse_direction_NS_24const_host_device_scalarIT0_EES1_PKS1_PKT1_SA_S7_PKT3_PKT4_S5_PT5_21rocsparse_index_base_b
    .private_segment_fixed_size: 0
    .sgpr_count:     26
    .sgpr_spill_count: 0
    .symbol:         _ZN9rocsparseL20bsrxmvn_17_32_kernelILj19EfiiaafEEvT2_20rocsparse_direction_NS_24const_host_device_scalarIT0_EES1_PKS1_PKT1_SA_S7_PKT3_PKT4_S5_PT5_21rocsparse_index_base_b.kd
    .uniform_work_group_size: 1
    .uses_dynamic_stack: false
    .vgpr_count:     11
    .vgpr_spill_count: 0
    .wavefront_size: 64
  - .args:
      - .offset:         0
        .size:           4
        .value_kind:     by_value
      - .offset:         4
        .size:           4
        .value_kind:     by_value
      - .offset:         8
        .size:           8
        .value_kind:     by_value
      - .offset:         16
        .size:           4
        .value_kind:     by_value
      - .actual_access:  read_only
        .address_space:  global
        .offset:         24
        .size:           8
        .value_kind:     global_buffer
      - .actual_access:  read_only
        .address_space:  global
        .offset:         32
        .size:           8
        .value_kind:     global_buffer
      - .actual_access:  read_only
        .address_space:  global
        .offset:         40
        .size:           8
        .value_kind:     global_buffer
      - .actual_access:  read_only
        .address_space:  global
        .offset:         48
        .size:           8
        .value_kind:     global_buffer
      - .actual_access:  read_only
        .address_space:  global
        .offset:         56
        .size:           8
        .value_kind:     global_buffer
      - .actual_access:  read_only
        .address_space:  global
        .offset:         64
        .size:           8
        .value_kind:     global_buffer
      - .offset:         72
        .size:           8
        .value_kind:     by_value
      - .address_space:  global
        .offset:         80
        .size:           8
        .value_kind:     global_buffer
      - .offset:         88
        .size:           4
        .value_kind:     by_value
      - .offset:         92
        .size:           1
        .value_kind:     by_value
    .group_segment_fixed_size: 1600
    .kernarg_segment_align: 8
    .kernarg_segment_size: 96
    .language:       OpenCL C
    .language_version:
      - 2
      - 0
    .max_flat_workgroup_size: 400
    .name:           _ZN9rocsparseL20bsrxmvn_17_32_kernelILj20EfiiaafEEvT2_20rocsparse_direction_NS_24const_host_device_scalarIT0_EES1_PKS1_PKT1_SA_S7_PKT3_PKT4_S5_PT5_21rocsparse_index_base_b
    .private_segment_fixed_size: 0
    .sgpr_count:     26
    .sgpr_spill_count: 0
    .symbol:         _ZN9rocsparseL20bsrxmvn_17_32_kernelILj20EfiiaafEEvT2_20rocsparse_direction_NS_24const_host_device_scalarIT0_EES1_PKS1_PKT1_SA_S7_PKT3_PKT4_S5_PT5_21rocsparse_index_base_b.kd
    .uniform_work_group_size: 1
    .uses_dynamic_stack: false
    .vgpr_count:     11
    .vgpr_spill_count: 0
    .wavefront_size: 64
  - .args:
      - .offset:         0
        .size:           4
        .value_kind:     by_value
      - .offset:         4
        .size:           4
        .value_kind:     by_value
      - .offset:         8
        .size:           8
        .value_kind:     by_value
      - .offset:         16
        .size:           4
        .value_kind:     by_value
      - .actual_access:  read_only
        .address_space:  global
        .offset:         24
        .size:           8
        .value_kind:     global_buffer
      - .actual_access:  read_only
        .address_space:  global
        .offset:         32
        .size:           8
        .value_kind:     global_buffer
      - .actual_access:  read_only
        .address_space:  global
        .offset:         40
        .size:           8
        .value_kind:     global_buffer
      - .actual_access:  read_only
        .address_space:  global
        .offset:         48
        .size:           8
        .value_kind:     global_buffer
      - .actual_access:  read_only
        .address_space:  global
        .offset:         56
        .size:           8
        .value_kind:     global_buffer
      - .actual_access:  read_only
        .address_space:  global
        .offset:         64
        .size:           8
        .value_kind:     global_buffer
      - .offset:         72
        .size:           8
        .value_kind:     by_value
      - .address_space:  global
        .offset:         80
        .size:           8
        .value_kind:     global_buffer
      - .offset:         88
        .size:           4
        .value_kind:     by_value
      - .offset:         92
        .size:           1
        .value_kind:     by_value
    .group_segment_fixed_size: 1764
    .kernarg_segment_align: 8
    .kernarg_segment_size: 96
    .language:       OpenCL C
    .language_version:
      - 2
      - 0
    .max_flat_workgroup_size: 441
    .name:           _ZN9rocsparseL20bsrxmvn_17_32_kernelILj21EfiiaafEEvT2_20rocsparse_direction_NS_24const_host_device_scalarIT0_EES1_PKS1_PKT1_SA_S7_PKT3_PKT4_S5_PT5_21rocsparse_index_base_b
    .private_segment_fixed_size: 0
    .sgpr_count:     26
    .sgpr_spill_count: 0
    .symbol:         _ZN9rocsparseL20bsrxmvn_17_32_kernelILj21EfiiaafEEvT2_20rocsparse_direction_NS_24const_host_device_scalarIT0_EES1_PKS1_PKT1_SA_S7_PKT3_PKT4_S5_PT5_21rocsparse_index_base_b.kd
    .uniform_work_group_size: 1
    .uses_dynamic_stack: false
    .vgpr_count:     11
    .vgpr_spill_count: 0
    .wavefront_size: 64
  - .args:
      - .offset:         0
        .size:           4
        .value_kind:     by_value
      - .offset:         4
        .size:           4
        .value_kind:     by_value
      - .offset:         8
        .size:           8
        .value_kind:     by_value
      - .offset:         16
        .size:           4
        .value_kind:     by_value
      - .actual_access:  read_only
        .address_space:  global
        .offset:         24
        .size:           8
        .value_kind:     global_buffer
      - .actual_access:  read_only
        .address_space:  global
        .offset:         32
        .size:           8
        .value_kind:     global_buffer
      - .actual_access:  read_only
        .address_space:  global
        .offset:         40
        .size:           8
        .value_kind:     global_buffer
      - .actual_access:  read_only
        .address_space:  global
        .offset:         48
        .size:           8
        .value_kind:     global_buffer
      - .actual_access:  read_only
        .address_space:  global
        .offset:         56
        .size:           8
        .value_kind:     global_buffer
      - .actual_access:  read_only
        .address_space:  global
        .offset:         64
        .size:           8
        .value_kind:     global_buffer
      - .offset:         72
        .size:           8
        .value_kind:     by_value
      - .address_space:  global
        .offset:         80
        .size:           8
        .value_kind:     global_buffer
      - .offset:         88
        .size:           4
        .value_kind:     by_value
      - .offset:         92
        .size:           1
        .value_kind:     by_value
    .group_segment_fixed_size: 1936
    .kernarg_segment_align: 8
    .kernarg_segment_size: 96
    .language:       OpenCL C
    .language_version:
      - 2
      - 0
    .max_flat_workgroup_size: 484
    .name:           _ZN9rocsparseL20bsrxmvn_17_32_kernelILj22EfiiaafEEvT2_20rocsparse_direction_NS_24const_host_device_scalarIT0_EES1_PKS1_PKT1_SA_S7_PKT3_PKT4_S5_PT5_21rocsparse_index_base_b
    .private_segment_fixed_size: 0
    .sgpr_count:     26
    .sgpr_spill_count: 0
    .symbol:         _ZN9rocsparseL20bsrxmvn_17_32_kernelILj22EfiiaafEEvT2_20rocsparse_direction_NS_24const_host_device_scalarIT0_EES1_PKS1_PKT1_SA_S7_PKT3_PKT4_S5_PT5_21rocsparse_index_base_b.kd
    .uniform_work_group_size: 1
    .uses_dynamic_stack: false
    .vgpr_count:     11
    .vgpr_spill_count: 0
    .wavefront_size: 64
  - .args:
      - .offset:         0
        .size:           4
        .value_kind:     by_value
      - .offset:         4
        .size:           4
        .value_kind:     by_value
      - .offset:         8
        .size:           8
        .value_kind:     by_value
      - .offset:         16
        .size:           4
        .value_kind:     by_value
      - .actual_access:  read_only
        .address_space:  global
        .offset:         24
        .size:           8
        .value_kind:     global_buffer
      - .actual_access:  read_only
        .address_space:  global
        .offset:         32
        .size:           8
        .value_kind:     global_buffer
      - .actual_access:  read_only
        .address_space:  global
        .offset:         40
        .size:           8
        .value_kind:     global_buffer
      - .actual_access:  read_only
        .address_space:  global
        .offset:         48
        .size:           8
        .value_kind:     global_buffer
      - .actual_access:  read_only
        .address_space:  global
        .offset:         56
        .size:           8
        .value_kind:     global_buffer
      - .actual_access:  read_only
        .address_space:  global
        .offset:         64
        .size:           8
        .value_kind:     global_buffer
      - .offset:         72
        .size:           8
        .value_kind:     by_value
      - .address_space:  global
        .offset:         80
        .size:           8
        .value_kind:     global_buffer
      - .offset:         88
        .size:           4
        .value_kind:     by_value
      - .offset:         92
        .size:           1
        .value_kind:     by_value
    .group_segment_fixed_size: 2116
    .kernarg_segment_align: 8
    .kernarg_segment_size: 96
    .language:       OpenCL C
    .language_version:
      - 2
      - 0
    .max_flat_workgroup_size: 529
    .name:           _ZN9rocsparseL20bsrxmvn_17_32_kernelILj23EfiiaafEEvT2_20rocsparse_direction_NS_24const_host_device_scalarIT0_EES1_PKS1_PKT1_SA_S7_PKT3_PKT4_S5_PT5_21rocsparse_index_base_b
    .private_segment_fixed_size: 0
    .sgpr_count:     26
    .sgpr_spill_count: 0
    .symbol:         _ZN9rocsparseL20bsrxmvn_17_32_kernelILj23EfiiaafEEvT2_20rocsparse_direction_NS_24const_host_device_scalarIT0_EES1_PKS1_PKT1_SA_S7_PKT3_PKT4_S5_PT5_21rocsparse_index_base_b.kd
    .uniform_work_group_size: 1
    .uses_dynamic_stack: false
    .vgpr_count:     11
    .vgpr_spill_count: 0
    .wavefront_size: 64
  - .args:
      - .offset:         0
        .size:           4
        .value_kind:     by_value
      - .offset:         4
        .size:           4
        .value_kind:     by_value
      - .offset:         8
        .size:           8
        .value_kind:     by_value
      - .offset:         16
        .size:           4
        .value_kind:     by_value
      - .actual_access:  read_only
        .address_space:  global
        .offset:         24
        .size:           8
        .value_kind:     global_buffer
      - .actual_access:  read_only
        .address_space:  global
        .offset:         32
        .size:           8
        .value_kind:     global_buffer
      - .actual_access:  read_only
        .address_space:  global
        .offset:         40
        .size:           8
        .value_kind:     global_buffer
      - .actual_access:  read_only
        .address_space:  global
        .offset:         48
        .size:           8
        .value_kind:     global_buffer
      - .actual_access:  read_only
        .address_space:  global
        .offset:         56
        .size:           8
        .value_kind:     global_buffer
      - .actual_access:  read_only
        .address_space:  global
        .offset:         64
        .size:           8
        .value_kind:     global_buffer
      - .offset:         72
        .size:           8
        .value_kind:     by_value
      - .address_space:  global
        .offset:         80
        .size:           8
        .value_kind:     global_buffer
      - .offset:         88
        .size:           4
        .value_kind:     by_value
      - .offset:         92
        .size:           1
        .value_kind:     by_value
    .group_segment_fixed_size: 2304
    .kernarg_segment_align: 8
    .kernarg_segment_size: 96
    .language:       OpenCL C
    .language_version:
      - 2
      - 0
    .max_flat_workgroup_size: 576
    .name:           _ZN9rocsparseL20bsrxmvn_17_32_kernelILj24EfiiaafEEvT2_20rocsparse_direction_NS_24const_host_device_scalarIT0_EES1_PKS1_PKT1_SA_S7_PKT3_PKT4_S5_PT5_21rocsparse_index_base_b
    .private_segment_fixed_size: 0
    .sgpr_count:     26
    .sgpr_spill_count: 0
    .symbol:         _ZN9rocsparseL20bsrxmvn_17_32_kernelILj24EfiiaafEEvT2_20rocsparse_direction_NS_24const_host_device_scalarIT0_EES1_PKS1_PKT1_SA_S7_PKT3_PKT4_S5_PT5_21rocsparse_index_base_b.kd
    .uniform_work_group_size: 1
    .uses_dynamic_stack: false
    .vgpr_count:     11
    .vgpr_spill_count: 0
    .wavefront_size: 64
  - .args:
      - .offset:         0
        .size:           4
        .value_kind:     by_value
      - .offset:         4
        .size:           4
        .value_kind:     by_value
      - .offset:         8
        .size:           8
        .value_kind:     by_value
      - .offset:         16
        .size:           4
        .value_kind:     by_value
      - .actual_access:  read_only
        .address_space:  global
        .offset:         24
        .size:           8
        .value_kind:     global_buffer
      - .actual_access:  read_only
        .address_space:  global
        .offset:         32
        .size:           8
        .value_kind:     global_buffer
      - .actual_access:  read_only
        .address_space:  global
        .offset:         40
        .size:           8
        .value_kind:     global_buffer
      - .actual_access:  read_only
        .address_space:  global
        .offset:         48
        .size:           8
        .value_kind:     global_buffer
      - .actual_access:  read_only
        .address_space:  global
        .offset:         56
        .size:           8
        .value_kind:     global_buffer
      - .actual_access:  read_only
        .address_space:  global
        .offset:         64
        .size:           8
        .value_kind:     global_buffer
      - .offset:         72
        .size:           8
        .value_kind:     by_value
      - .address_space:  global
        .offset:         80
        .size:           8
        .value_kind:     global_buffer
      - .offset:         88
        .size:           4
        .value_kind:     by_value
      - .offset:         92
        .size:           1
        .value_kind:     by_value
    .group_segment_fixed_size: 2500
    .kernarg_segment_align: 8
    .kernarg_segment_size: 96
    .language:       OpenCL C
    .language_version:
      - 2
      - 0
    .max_flat_workgroup_size: 625
    .name:           _ZN9rocsparseL20bsrxmvn_17_32_kernelILj25EfiiaafEEvT2_20rocsparse_direction_NS_24const_host_device_scalarIT0_EES1_PKS1_PKT1_SA_S7_PKT3_PKT4_S5_PT5_21rocsparse_index_base_b
    .private_segment_fixed_size: 0
    .sgpr_count:     26
    .sgpr_spill_count: 0
    .symbol:         _ZN9rocsparseL20bsrxmvn_17_32_kernelILj25EfiiaafEEvT2_20rocsparse_direction_NS_24const_host_device_scalarIT0_EES1_PKS1_PKT1_SA_S7_PKT3_PKT4_S5_PT5_21rocsparse_index_base_b.kd
    .uniform_work_group_size: 1
    .uses_dynamic_stack: false
    .vgpr_count:     11
    .vgpr_spill_count: 0
    .wavefront_size: 64
  - .args:
      - .offset:         0
        .size:           4
        .value_kind:     by_value
      - .offset:         4
        .size:           4
        .value_kind:     by_value
      - .offset:         8
        .size:           8
        .value_kind:     by_value
      - .offset:         16
        .size:           4
        .value_kind:     by_value
      - .actual_access:  read_only
        .address_space:  global
        .offset:         24
        .size:           8
        .value_kind:     global_buffer
      - .actual_access:  read_only
        .address_space:  global
        .offset:         32
        .size:           8
        .value_kind:     global_buffer
      - .actual_access:  read_only
        .address_space:  global
        .offset:         40
        .size:           8
        .value_kind:     global_buffer
      - .actual_access:  read_only
        .address_space:  global
        .offset:         48
        .size:           8
        .value_kind:     global_buffer
      - .actual_access:  read_only
        .address_space:  global
        .offset:         56
        .size:           8
        .value_kind:     global_buffer
      - .actual_access:  read_only
        .address_space:  global
        .offset:         64
        .size:           8
        .value_kind:     global_buffer
      - .offset:         72
        .size:           8
        .value_kind:     by_value
      - .address_space:  global
        .offset:         80
        .size:           8
        .value_kind:     global_buffer
      - .offset:         88
        .size:           4
        .value_kind:     by_value
      - .offset:         92
        .size:           1
        .value_kind:     by_value
    .group_segment_fixed_size: 2704
    .kernarg_segment_align: 8
    .kernarg_segment_size: 96
    .language:       OpenCL C
    .language_version:
      - 2
      - 0
    .max_flat_workgroup_size: 676
    .name:           _ZN9rocsparseL20bsrxmvn_17_32_kernelILj26EfiiaafEEvT2_20rocsparse_direction_NS_24const_host_device_scalarIT0_EES1_PKS1_PKT1_SA_S7_PKT3_PKT4_S5_PT5_21rocsparse_index_base_b
    .private_segment_fixed_size: 0
    .sgpr_count:     26
    .sgpr_spill_count: 0
    .symbol:         _ZN9rocsparseL20bsrxmvn_17_32_kernelILj26EfiiaafEEvT2_20rocsparse_direction_NS_24const_host_device_scalarIT0_EES1_PKS1_PKT1_SA_S7_PKT3_PKT4_S5_PT5_21rocsparse_index_base_b.kd
    .uniform_work_group_size: 1
    .uses_dynamic_stack: false
    .vgpr_count:     11
    .vgpr_spill_count: 0
    .wavefront_size: 64
  - .args:
      - .offset:         0
        .size:           4
        .value_kind:     by_value
      - .offset:         4
        .size:           4
        .value_kind:     by_value
      - .offset:         8
        .size:           8
        .value_kind:     by_value
      - .offset:         16
        .size:           4
        .value_kind:     by_value
      - .actual_access:  read_only
        .address_space:  global
        .offset:         24
        .size:           8
        .value_kind:     global_buffer
      - .actual_access:  read_only
        .address_space:  global
        .offset:         32
        .size:           8
        .value_kind:     global_buffer
      - .actual_access:  read_only
        .address_space:  global
        .offset:         40
        .size:           8
        .value_kind:     global_buffer
      - .actual_access:  read_only
        .address_space:  global
        .offset:         48
        .size:           8
        .value_kind:     global_buffer
      - .actual_access:  read_only
        .address_space:  global
        .offset:         56
        .size:           8
        .value_kind:     global_buffer
      - .actual_access:  read_only
        .address_space:  global
        .offset:         64
        .size:           8
        .value_kind:     global_buffer
      - .offset:         72
        .size:           8
        .value_kind:     by_value
      - .address_space:  global
        .offset:         80
        .size:           8
        .value_kind:     global_buffer
      - .offset:         88
        .size:           4
        .value_kind:     by_value
      - .offset:         92
        .size:           1
        .value_kind:     by_value
    .group_segment_fixed_size: 2916
    .kernarg_segment_align: 8
    .kernarg_segment_size: 96
    .language:       OpenCL C
    .language_version:
      - 2
      - 0
    .max_flat_workgroup_size: 729
    .name:           _ZN9rocsparseL20bsrxmvn_17_32_kernelILj27EfiiaafEEvT2_20rocsparse_direction_NS_24const_host_device_scalarIT0_EES1_PKS1_PKT1_SA_S7_PKT3_PKT4_S5_PT5_21rocsparse_index_base_b
    .private_segment_fixed_size: 0
    .sgpr_count:     26
    .sgpr_spill_count: 0
    .symbol:         _ZN9rocsparseL20bsrxmvn_17_32_kernelILj27EfiiaafEEvT2_20rocsparse_direction_NS_24const_host_device_scalarIT0_EES1_PKS1_PKT1_SA_S7_PKT3_PKT4_S5_PT5_21rocsparse_index_base_b.kd
    .uniform_work_group_size: 1
    .uses_dynamic_stack: false
    .vgpr_count:     11
    .vgpr_spill_count: 0
    .wavefront_size: 64
  - .args:
      - .offset:         0
        .size:           4
        .value_kind:     by_value
      - .offset:         4
        .size:           4
        .value_kind:     by_value
      - .offset:         8
        .size:           8
        .value_kind:     by_value
      - .offset:         16
        .size:           4
        .value_kind:     by_value
      - .actual_access:  read_only
        .address_space:  global
        .offset:         24
        .size:           8
        .value_kind:     global_buffer
      - .actual_access:  read_only
        .address_space:  global
        .offset:         32
        .size:           8
        .value_kind:     global_buffer
      - .actual_access:  read_only
        .address_space:  global
        .offset:         40
        .size:           8
        .value_kind:     global_buffer
      - .actual_access:  read_only
        .address_space:  global
        .offset:         48
        .size:           8
        .value_kind:     global_buffer
      - .actual_access:  read_only
        .address_space:  global
        .offset:         56
        .size:           8
        .value_kind:     global_buffer
      - .actual_access:  read_only
        .address_space:  global
        .offset:         64
        .size:           8
        .value_kind:     global_buffer
      - .offset:         72
        .size:           8
        .value_kind:     by_value
      - .address_space:  global
        .offset:         80
        .size:           8
        .value_kind:     global_buffer
      - .offset:         88
        .size:           4
        .value_kind:     by_value
      - .offset:         92
        .size:           1
        .value_kind:     by_value
    .group_segment_fixed_size: 3136
    .kernarg_segment_align: 8
    .kernarg_segment_size: 96
    .language:       OpenCL C
    .language_version:
      - 2
      - 0
    .max_flat_workgroup_size: 784
    .name:           _ZN9rocsparseL20bsrxmvn_17_32_kernelILj28EfiiaafEEvT2_20rocsparse_direction_NS_24const_host_device_scalarIT0_EES1_PKS1_PKT1_SA_S7_PKT3_PKT4_S5_PT5_21rocsparse_index_base_b
    .private_segment_fixed_size: 0
    .sgpr_count:     26
    .sgpr_spill_count: 0
    .symbol:         _ZN9rocsparseL20bsrxmvn_17_32_kernelILj28EfiiaafEEvT2_20rocsparse_direction_NS_24const_host_device_scalarIT0_EES1_PKS1_PKT1_SA_S7_PKT3_PKT4_S5_PT5_21rocsparse_index_base_b.kd
    .uniform_work_group_size: 1
    .uses_dynamic_stack: false
    .vgpr_count:     11
    .vgpr_spill_count: 0
    .wavefront_size: 64
  - .args:
      - .offset:         0
        .size:           4
        .value_kind:     by_value
      - .offset:         4
        .size:           4
        .value_kind:     by_value
      - .offset:         8
        .size:           8
        .value_kind:     by_value
      - .offset:         16
        .size:           4
        .value_kind:     by_value
      - .actual_access:  read_only
        .address_space:  global
        .offset:         24
        .size:           8
        .value_kind:     global_buffer
      - .actual_access:  read_only
        .address_space:  global
        .offset:         32
        .size:           8
        .value_kind:     global_buffer
      - .actual_access:  read_only
        .address_space:  global
        .offset:         40
        .size:           8
        .value_kind:     global_buffer
      - .actual_access:  read_only
        .address_space:  global
        .offset:         48
        .size:           8
        .value_kind:     global_buffer
      - .actual_access:  read_only
        .address_space:  global
        .offset:         56
        .size:           8
        .value_kind:     global_buffer
      - .actual_access:  read_only
        .address_space:  global
        .offset:         64
        .size:           8
        .value_kind:     global_buffer
      - .offset:         72
        .size:           8
        .value_kind:     by_value
      - .address_space:  global
        .offset:         80
        .size:           8
        .value_kind:     global_buffer
      - .offset:         88
        .size:           4
        .value_kind:     by_value
      - .offset:         92
        .size:           1
        .value_kind:     by_value
    .group_segment_fixed_size: 3364
    .kernarg_segment_align: 8
    .kernarg_segment_size: 96
    .language:       OpenCL C
    .language_version:
      - 2
      - 0
    .max_flat_workgroup_size: 841
    .name:           _ZN9rocsparseL20bsrxmvn_17_32_kernelILj29EfiiaafEEvT2_20rocsparse_direction_NS_24const_host_device_scalarIT0_EES1_PKS1_PKT1_SA_S7_PKT3_PKT4_S5_PT5_21rocsparse_index_base_b
    .private_segment_fixed_size: 0
    .sgpr_count:     26
    .sgpr_spill_count: 0
    .symbol:         _ZN9rocsparseL20bsrxmvn_17_32_kernelILj29EfiiaafEEvT2_20rocsparse_direction_NS_24const_host_device_scalarIT0_EES1_PKS1_PKT1_SA_S7_PKT3_PKT4_S5_PT5_21rocsparse_index_base_b.kd
    .uniform_work_group_size: 1
    .uses_dynamic_stack: false
    .vgpr_count:     11
    .vgpr_spill_count: 0
    .wavefront_size: 64
  - .args:
      - .offset:         0
        .size:           4
        .value_kind:     by_value
      - .offset:         4
        .size:           4
        .value_kind:     by_value
      - .offset:         8
        .size:           8
        .value_kind:     by_value
      - .offset:         16
        .size:           4
        .value_kind:     by_value
      - .actual_access:  read_only
        .address_space:  global
        .offset:         24
        .size:           8
        .value_kind:     global_buffer
      - .actual_access:  read_only
        .address_space:  global
        .offset:         32
        .size:           8
        .value_kind:     global_buffer
      - .actual_access:  read_only
        .address_space:  global
        .offset:         40
        .size:           8
        .value_kind:     global_buffer
      - .actual_access:  read_only
        .address_space:  global
        .offset:         48
        .size:           8
        .value_kind:     global_buffer
      - .actual_access:  read_only
        .address_space:  global
        .offset:         56
        .size:           8
        .value_kind:     global_buffer
      - .actual_access:  read_only
        .address_space:  global
        .offset:         64
        .size:           8
        .value_kind:     global_buffer
      - .offset:         72
        .size:           8
        .value_kind:     by_value
      - .address_space:  global
        .offset:         80
        .size:           8
        .value_kind:     global_buffer
      - .offset:         88
        .size:           4
        .value_kind:     by_value
      - .offset:         92
        .size:           1
        .value_kind:     by_value
    .group_segment_fixed_size: 3600
    .kernarg_segment_align: 8
    .kernarg_segment_size: 96
    .language:       OpenCL C
    .language_version:
      - 2
      - 0
    .max_flat_workgroup_size: 900
    .name:           _ZN9rocsparseL20bsrxmvn_17_32_kernelILj30EfiiaafEEvT2_20rocsparse_direction_NS_24const_host_device_scalarIT0_EES1_PKS1_PKT1_SA_S7_PKT3_PKT4_S5_PT5_21rocsparse_index_base_b
    .private_segment_fixed_size: 0
    .sgpr_count:     26
    .sgpr_spill_count: 0
    .symbol:         _ZN9rocsparseL20bsrxmvn_17_32_kernelILj30EfiiaafEEvT2_20rocsparse_direction_NS_24const_host_device_scalarIT0_EES1_PKS1_PKT1_SA_S7_PKT3_PKT4_S5_PT5_21rocsparse_index_base_b.kd
    .uniform_work_group_size: 1
    .uses_dynamic_stack: false
    .vgpr_count:     11
    .vgpr_spill_count: 0
    .wavefront_size: 64
  - .args:
      - .offset:         0
        .size:           4
        .value_kind:     by_value
      - .offset:         4
        .size:           4
        .value_kind:     by_value
      - .offset:         8
        .size:           8
        .value_kind:     by_value
      - .offset:         16
        .size:           4
        .value_kind:     by_value
      - .actual_access:  read_only
        .address_space:  global
        .offset:         24
        .size:           8
        .value_kind:     global_buffer
      - .actual_access:  read_only
        .address_space:  global
        .offset:         32
        .size:           8
        .value_kind:     global_buffer
      - .actual_access:  read_only
        .address_space:  global
        .offset:         40
        .size:           8
        .value_kind:     global_buffer
      - .actual_access:  read_only
        .address_space:  global
        .offset:         48
        .size:           8
        .value_kind:     global_buffer
      - .actual_access:  read_only
        .address_space:  global
        .offset:         56
        .size:           8
        .value_kind:     global_buffer
      - .actual_access:  read_only
        .address_space:  global
        .offset:         64
        .size:           8
        .value_kind:     global_buffer
      - .offset:         72
        .size:           8
        .value_kind:     by_value
      - .address_space:  global
        .offset:         80
        .size:           8
        .value_kind:     global_buffer
      - .offset:         88
        .size:           4
        .value_kind:     by_value
      - .offset:         92
        .size:           1
        .value_kind:     by_value
    .group_segment_fixed_size: 3844
    .kernarg_segment_align: 8
    .kernarg_segment_size: 96
    .language:       OpenCL C
    .language_version:
      - 2
      - 0
    .max_flat_workgroup_size: 961
    .name:           _ZN9rocsparseL20bsrxmvn_17_32_kernelILj31EfiiaafEEvT2_20rocsparse_direction_NS_24const_host_device_scalarIT0_EES1_PKS1_PKT1_SA_S7_PKT3_PKT4_S5_PT5_21rocsparse_index_base_b
    .private_segment_fixed_size: 0
    .sgpr_count:     26
    .sgpr_spill_count: 0
    .symbol:         _ZN9rocsparseL20bsrxmvn_17_32_kernelILj31EfiiaafEEvT2_20rocsparse_direction_NS_24const_host_device_scalarIT0_EES1_PKS1_PKT1_SA_S7_PKT3_PKT4_S5_PT5_21rocsparse_index_base_b.kd
    .uniform_work_group_size: 1
    .uses_dynamic_stack: false
    .vgpr_count:     11
    .vgpr_spill_count: 0
    .wavefront_size: 64
  - .args:
      - .offset:         0
        .size:           4
        .value_kind:     by_value
      - .offset:         4
        .size:           4
        .value_kind:     by_value
      - .offset:         8
        .size:           8
        .value_kind:     by_value
      - .offset:         16
        .size:           4
        .value_kind:     by_value
      - .actual_access:  read_only
        .address_space:  global
        .offset:         24
        .size:           8
        .value_kind:     global_buffer
      - .actual_access:  read_only
        .address_space:  global
        .offset:         32
        .size:           8
        .value_kind:     global_buffer
      - .actual_access:  read_only
        .address_space:  global
        .offset:         40
        .size:           8
        .value_kind:     global_buffer
      - .actual_access:  read_only
        .address_space:  global
        .offset:         48
        .size:           8
        .value_kind:     global_buffer
      - .actual_access:  read_only
        .address_space:  global
        .offset:         56
        .size:           8
        .value_kind:     global_buffer
      - .actual_access:  read_only
        .address_space:  global
        .offset:         64
        .size:           8
        .value_kind:     global_buffer
      - .offset:         72
        .size:           8
        .value_kind:     by_value
      - .address_space:  global
        .offset:         80
        .size:           8
        .value_kind:     global_buffer
      - .offset:         88
        .size:           4
        .value_kind:     by_value
      - .offset:         92
        .size:           1
        .value_kind:     by_value
    .group_segment_fixed_size: 4096
    .kernarg_segment_align: 8
    .kernarg_segment_size: 96
    .language:       OpenCL C
    .language_version:
      - 2
      - 0
    .max_flat_workgroup_size: 1024
    .name:           _ZN9rocsparseL20bsrxmvn_17_32_kernelILj32EfiiaafEEvT2_20rocsparse_direction_NS_24const_host_device_scalarIT0_EES1_PKS1_PKT1_SA_S7_PKT3_PKT4_S5_PT5_21rocsparse_index_base_b
    .private_segment_fixed_size: 0
    .sgpr_count:     26
    .sgpr_spill_count: 0
    .symbol:         _ZN9rocsparseL20bsrxmvn_17_32_kernelILj32EfiiaafEEvT2_20rocsparse_direction_NS_24const_host_device_scalarIT0_EES1_PKS1_PKT1_SA_S7_PKT3_PKT4_S5_PT5_21rocsparse_index_base_b.kd
    .uniform_work_group_size: 1
    .uses_dynamic_stack: false
    .vgpr_count:     10
    .vgpr_spill_count: 0
    .wavefront_size: 64
  - .args:
      - .offset:         0
        .size:           4
        .value_kind:     by_value
      - .offset:         4
        .size:           4
        .value_kind:     by_value
      - .offset:         8
        .size:           8
        .value_kind:     by_value
      - .offset:         16
        .size:           4
        .value_kind:     by_value
      - .actual_access:  read_only
        .address_space:  global
        .offset:         24
        .size:           8
        .value_kind:     global_buffer
      - .actual_access:  read_only
        .address_space:  global
        .offset:         32
        .size:           8
        .value_kind:     global_buffer
      - .actual_access:  read_only
        .address_space:  global
        .offset:         40
        .size:           8
        .value_kind:     global_buffer
      - .actual_access:  read_only
        .address_space:  global
        .offset:         48
        .size:           8
        .value_kind:     global_buffer
      - .actual_access:  read_only
        .address_space:  global
        .offset:         56
        .size:           8
        .value_kind:     global_buffer
      - .actual_access:  read_only
        .address_space:  global
        .offset:         64
        .size:           8
        .value_kind:     global_buffer
      - .offset:         72
        .size:           8
        .value_kind:     by_value
      - .address_space:  global
        .offset:         80
        .size:           8
        .value_kind:     global_buffer
      - .offset:         88
        .size:           4
        .value_kind:     by_value
      - .offset:         92
        .size:           1
        .value_kind:     by_value
    .group_segment_fixed_size: 1156
    .kernarg_segment_align: 8
    .kernarg_segment_size: 96
    .language:       OpenCL C
    .language_version:
      - 2
      - 0
    .max_flat_workgroup_size: 289
    .name:           _ZN9rocsparseL20bsrxmvn_17_32_kernelILj17EfliaafEEvT2_20rocsparse_direction_NS_24const_host_device_scalarIT0_EES1_PKS1_PKT1_SA_S7_PKT3_PKT4_S5_PT5_21rocsparse_index_base_b
    .private_segment_fixed_size: 0
    .sgpr_count:     30
    .sgpr_spill_count: 0
    .symbol:         _ZN9rocsparseL20bsrxmvn_17_32_kernelILj17EfliaafEEvT2_20rocsparse_direction_NS_24const_host_device_scalarIT0_EES1_PKS1_PKT1_SA_S7_PKT3_PKT4_S5_PT5_21rocsparse_index_base_b.kd
    .uniform_work_group_size: 1
    .uses_dynamic_stack: false
    .vgpr_count:     13
    .vgpr_spill_count: 0
    .wavefront_size: 64
  - .args:
      - .offset:         0
        .size:           4
        .value_kind:     by_value
      - .offset:         4
        .size:           4
        .value_kind:     by_value
      - .offset:         8
        .size:           8
        .value_kind:     by_value
      - .offset:         16
        .size:           4
        .value_kind:     by_value
      - .actual_access:  read_only
        .address_space:  global
        .offset:         24
        .size:           8
        .value_kind:     global_buffer
      - .actual_access:  read_only
        .address_space:  global
        .offset:         32
        .size:           8
        .value_kind:     global_buffer
      - .actual_access:  read_only
        .address_space:  global
        .offset:         40
        .size:           8
        .value_kind:     global_buffer
      - .actual_access:  read_only
        .address_space:  global
        .offset:         48
        .size:           8
        .value_kind:     global_buffer
      - .actual_access:  read_only
        .address_space:  global
        .offset:         56
        .size:           8
        .value_kind:     global_buffer
      - .actual_access:  read_only
        .address_space:  global
        .offset:         64
        .size:           8
        .value_kind:     global_buffer
      - .offset:         72
        .size:           8
        .value_kind:     by_value
      - .address_space:  global
        .offset:         80
        .size:           8
        .value_kind:     global_buffer
      - .offset:         88
        .size:           4
        .value_kind:     by_value
      - .offset:         92
        .size:           1
        .value_kind:     by_value
    .group_segment_fixed_size: 1296
    .kernarg_segment_align: 8
    .kernarg_segment_size: 96
    .language:       OpenCL C
    .language_version:
      - 2
      - 0
    .max_flat_workgroup_size: 324
    .name:           _ZN9rocsparseL20bsrxmvn_17_32_kernelILj18EfliaafEEvT2_20rocsparse_direction_NS_24const_host_device_scalarIT0_EES1_PKS1_PKT1_SA_S7_PKT3_PKT4_S5_PT5_21rocsparse_index_base_b
    .private_segment_fixed_size: 0
    .sgpr_count:     30
    .sgpr_spill_count: 0
    .symbol:         _ZN9rocsparseL20bsrxmvn_17_32_kernelILj18EfliaafEEvT2_20rocsparse_direction_NS_24const_host_device_scalarIT0_EES1_PKS1_PKT1_SA_S7_PKT3_PKT4_S5_PT5_21rocsparse_index_base_b.kd
    .uniform_work_group_size: 1
    .uses_dynamic_stack: false
    .vgpr_count:     13
    .vgpr_spill_count: 0
    .wavefront_size: 64
  - .args:
      - .offset:         0
        .size:           4
        .value_kind:     by_value
      - .offset:         4
        .size:           4
        .value_kind:     by_value
      - .offset:         8
        .size:           8
        .value_kind:     by_value
      - .offset:         16
        .size:           4
        .value_kind:     by_value
      - .actual_access:  read_only
        .address_space:  global
        .offset:         24
        .size:           8
        .value_kind:     global_buffer
      - .actual_access:  read_only
        .address_space:  global
        .offset:         32
        .size:           8
        .value_kind:     global_buffer
      - .actual_access:  read_only
        .address_space:  global
        .offset:         40
        .size:           8
        .value_kind:     global_buffer
      - .actual_access:  read_only
        .address_space:  global
        .offset:         48
        .size:           8
        .value_kind:     global_buffer
      - .actual_access:  read_only
        .address_space:  global
        .offset:         56
        .size:           8
        .value_kind:     global_buffer
      - .actual_access:  read_only
        .address_space:  global
        .offset:         64
        .size:           8
        .value_kind:     global_buffer
      - .offset:         72
        .size:           8
        .value_kind:     by_value
      - .address_space:  global
        .offset:         80
        .size:           8
        .value_kind:     global_buffer
      - .offset:         88
        .size:           4
        .value_kind:     by_value
      - .offset:         92
        .size:           1
        .value_kind:     by_value
    .group_segment_fixed_size: 1444
    .kernarg_segment_align: 8
    .kernarg_segment_size: 96
    .language:       OpenCL C
    .language_version:
      - 2
      - 0
    .max_flat_workgroup_size: 361
    .name:           _ZN9rocsparseL20bsrxmvn_17_32_kernelILj19EfliaafEEvT2_20rocsparse_direction_NS_24const_host_device_scalarIT0_EES1_PKS1_PKT1_SA_S7_PKT3_PKT4_S5_PT5_21rocsparse_index_base_b
    .private_segment_fixed_size: 0
    .sgpr_count:     30
    .sgpr_spill_count: 0
    .symbol:         _ZN9rocsparseL20bsrxmvn_17_32_kernelILj19EfliaafEEvT2_20rocsparse_direction_NS_24const_host_device_scalarIT0_EES1_PKS1_PKT1_SA_S7_PKT3_PKT4_S5_PT5_21rocsparse_index_base_b.kd
    .uniform_work_group_size: 1
    .uses_dynamic_stack: false
    .vgpr_count:     13
    .vgpr_spill_count: 0
    .wavefront_size: 64
  - .args:
      - .offset:         0
        .size:           4
        .value_kind:     by_value
      - .offset:         4
        .size:           4
        .value_kind:     by_value
      - .offset:         8
        .size:           8
        .value_kind:     by_value
      - .offset:         16
        .size:           4
        .value_kind:     by_value
      - .actual_access:  read_only
        .address_space:  global
        .offset:         24
        .size:           8
        .value_kind:     global_buffer
      - .actual_access:  read_only
        .address_space:  global
        .offset:         32
        .size:           8
        .value_kind:     global_buffer
      - .actual_access:  read_only
        .address_space:  global
        .offset:         40
        .size:           8
        .value_kind:     global_buffer
      - .actual_access:  read_only
        .address_space:  global
        .offset:         48
        .size:           8
        .value_kind:     global_buffer
      - .actual_access:  read_only
        .address_space:  global
        .offset:         56
        .size:           8
        .value_kind:     global_buffer
      - .actual_access:  read_only
        .address_space:  global
        .offset:         64
        .size:           8
        .value_kind:     global_buffer
      - .offset:         72
        .size:           8
        .value_kind:     by_value
      - .address_space:  global
        .offset:         80
        .size:           8
        .value_kind:     global_buffer
      - .offset:         88
        .size:           4
        .value_kind:     by_value
      - .offset:         92
        .size:           1
        .value_kind:     by_value
    .group_segment_fixed_size: 1600
    .kernarg_segment_align: 8
    .kernarg_segment_size: 96
    .language:       OpenCL C
    .language_version:
      - 2
      - 0
    .max_flat_workgroup_size: 400
    .name:           _ZN9rocsparseL20bsrxmvn_17_32_kernelILj20EfliaafEEvT2_20rocsparse_direction_NS_24const_host_device_scalarIT0_EES1_PKS1_PKT1_SA_S7_PKT3_PKT4_S5_PT5_21rocsparse_index_base_b
    .private_segment_fixed_size: 0
    .sgpr_count:     30
    .sgpr_spill_count: 0
    .symbol:         _ZN9rocsparseL20bsrxmvn_17_32_kernelILj20EfliaafEEvT2_20rocsparse_direction_NS_24const_host_device_scalarIT0_EES1_PKS1_PKT1_SA_S7_PKT3_PKT4_S5_PT5_21rocsparse_index_base_b.kd
    .uniform_work_group_size: 1
    .uses_dynamic_stack: false
    .vgpr_count:     13
    .vgpr_spill_count: 0
    .wavefront_size: 64
  - .args:
      - .offset:         0
        .size:           4
        .value_kind:     by_value
      - .offset:         4
        .size:           4
        .value_kind:     by_value
      - .offset:         8
        .size:           8
        .value_kind:     by_value
      - .offset:         16
        .size:           4
        .value_kind:     by_value
      - .actual_access:  read_only
        .address_space:  global
        .offset:         24
        .size:           8
        .value_kind:     global_buffer
      - .actual_access:  read_only
        .address_space:  global
        .offset:         32
        .size:           8
        .value_kind:     global_buffer
      - .actual_access:  read_only
        .address_space:  global
        .offset:         40
        .size:           8
        .value_kind:     global_buffer
      - .actual_access:  read_only
        .address_space:  global
        .offset:         48
        .size:           8
        .value_kind:     global_buffer
      - .actual_access:  read_only
        .address_space:  global
        .offset:         56
        .size:           8
        .value_kind:     global_buffer
      - .actual_access:  read_only
        .address_space:  global
        .offset:         64
        .size:           8
        .value_kind:     global_buffer
      - .offset:         72
        .size:           8
        .value_kind:     by_value
      - .address_space:  global
        .offset:         80
        .size:           8
        .value_kind:     global_buffer
      - .offset:         88
        .size:           4
        .value_kind:     by_value
      - .offset:         92
        .size:           1
        .value_kind:     by_value
    .group_segment_fixed_size: 1764
    .kernarg_segment_align: 8
    .kernarg_segment_size: 96
    .language:       OpenCL C
    .language_version:
      - 2
      - 0
    .max_flat_workgroup_size: 441
    .name:           _ZN9rocsparseL20bsrxmvn_17_32_kernelILj21EfliaafEEvT2_20rocsparse_direction_NS_24const_host_device_scalarIT0_EES1_PKS1_PKT1_SA_S7_PKT3_PKT4_S5_PT5_21rocsparse_index_base_b
    .private_segment_fixed_size: 0
    .sgpr_count:     30
    .sgpr_spill_count: 0
    .symbol:         _ZN9rocsparseL20bsrxmvn_17_32_kernelILj21EfliaafEEvT2_20rocsparse_direction_NS_24const_host_device_scalarIT0_EES1_PKS1_PKT1_SA_S7_PKT3_PKT4_S5_PT5_21rocsparse_index_base_b.kd
    .uniform_work_group_size: 1
    .uses_dynamic_stack: false
    .vgpr_count:     13
    .vgpr_spill_count: 0
    .wavefront_size: 64
  - .args:
      - .offset:         0
        .size:           4
        .value_kind:     by_value
      - .offset:         4
        .size:           4
        .value_kind:     by_value
      - .offset:         8
        .size:           8
        .value_kind:     by_value
      - .offset:         16
        .size:           4
        .value_kind:     by_value
      - .actual_access:  read_only
        .address_space:  global
        .offset:         24
        .size:           8
        .value_kind:     global_buffer
      - .actual_access:  read_only
        .address_space:  global
        .offset:         32
        .size:           8
        .value_kind:     global_buffer
      - .actual_access:  read_only
        .address_space:  global
        .offset:         40
        .size:           8
        .value_kind:     global_buffer
      - .actual_access:  read_only
        .address_space:  global
        .offset:         48
        .size:           8
        .value_kind:     global_buffer
      - .actual_access:  read_only
        .address_space:  global
        .offset:         56
        .size:           8
        .value_kind:     global_buffer
      - .actual_access:  read_only
        .address_space:  global
        .offset:         64
        .size:           8
        .value_kind:     global_buffer
      - .offset:         72
        .size:           8
        .value_kind:     by_value
      - .address_space:  global
        .offset:         80
        .size:           8
        .value_kind:     global_buffer
      - .offset:         88
        .size:           4
        .value_kind:     by_value
      - .offset:         92
        .size:           1
        .value_kind:     by_value
    .group_segment_fixed_size: 1936
    .kernarg_segment_align: 8
    .kernarg_segment_size: 96
    .language:       OpenCL C
    .language_version:
      - 2
      - 0
    .max_flat_workgroup_size: 484
    .name:           _ZN9rocsparseL20bsrxmvn_17_32_kernelILj22EfliaafEEvT2_20rocsparse_direction_NS_24const_host_device_scalarIT0_EES1_PKS1_PKT1_SA_S7_PKT3_PKT4_S5_PT5_21rocsparse_index_base_b
    .private_segment_fixed_size: 0
    .sgpr_count:     30
    .sgpr_spill_count: 0
    .symbol:         _ZN9rocsparseL20bsrxmvn_17_32_kernelILj22EfliaafEEvT2_20rocsparse_direction_NS_24const_host_device_scalarIT0_EES1_PKS1_PKT1_SA_S7_PKT3_PKT4_S5_PT5_21rocsparse_index_base_b.kd
    .uniform_work_group_size: 1
    .uses_dynamic_stack: false
    .vgpr_count:     13
    .vgpr_spill_count: 0
    .wavefront_size: 64
  - .args:
      - .offset:         0
        .size:           4
        .value_kind:     by_value
      - .offset:         4
        .size:           4
        .value_kind:     by_value
      - .offset:         8
        .size:           8
        .value_kind:     by_value
      - .offset:         16
        .size:           4
        .value_kind:     by_value
      - .actual_access:  read_only
        .address_space:  global
        .offset:         24
        .size:           8
        .value_kind:     global_buffer
      - .actual_access:  read_only
        .address_space:  global
        .offset:         32
        .size:           8
        .value_kind:     global_buffer
      - .actual_access:  read_only
        .address_space:  global
        .offset:         40
        .size:           8
        .value_kind:     global_buffer
      - .actual_access:  read_only
        .address_space:  global
        .offset:         48
        .size:           8
        .value_kind:     global_buffer
      - .actual_access:  read_only
        .address_space:  global
        .offset:         56
        .size:           8
        .value_kind:     global_buffer
      - .actual_access:  read_only
        .address_space:  global
        .offset:         64
        .size:           8
        .value_kind:     global_buffer
      - .offset:         72
        .size:           8
        .value_kind:     by_value
      - .address_space:  global
        .offset:         80
        .size:           8
        .value_kind:     global_buffer
      - .offset:         88
        .size:           4
        .value_kind:     by_value
      - .offset:         92
        .size:           1
        .value_kind:     by_value
    .group_segment_fixed_size: 2116
    .kernarg_segment_align: 8
    .kernarg_segment_size: 96
    .language:       OpenCL C
    .language_version:
      - 2
      - 0
    .max_flat_workgroup_size: 529
    .name:           _ZN9rocsparseL20bsrxmvn_17_32_kernelILj23EfliaafEEvT2_20rocsparse_direction_NS_24const_host_device_scalarIT0_EES1_PKS1_PKT1_SA_S7_PKT3_PKT4_S5_PT5_21rocsparse_index_base_b
    .private_segment_fixed_size: 0
    .sgpr_count:     30
    .sgpr_spill_count: 0
    .symbol:         _ZN9rocsparseL20bsrxmvn_17_32_kernelILj23EfliaafEEvT2_20rocsparse_direction_NS_24const_host_device_scalarIT0_EES1_PKS1_PKT1_SA_S7_PKT3_PKT4_S5_PT5_21rocsparse_index_base_b.kd
    .uniform_work_group_size: 1
    .uses_dynamic_stack: false
    .vgpr_count:     15
    .vgpr_spill_count: 0
    .wavefront_size: 64
  - .args:
      - .offset:         0
        .size:           4
        .value_kind:     by_value
      - .offset:         4
        .size:           4
        .value_kind:     by_value
      - .offset:         8
        .size:           8
        .value_kind:     by_value
      - .offset:         16
        .size:           4
        .value_kind:     by_value
      - .actual_access:  read_only
        .address_space:  global
        .offset:         24
        .size:           8
        .value_kind:     global_buffer
      - .actual_access:  read_only
        .address_space:  global
        .offset:         32
        .size:           8
        .value_kind:     global_buffer
      - .actual_access:  read_only
        .address_space:  global
        .offset:         40
        .size:           8
        .value_kind:     global_buffer
      - .actual_access:  read_only
        .address_space:  global
        .offset:         48
        .size:           8
        .value_kind:     global_buffer
      - .actual_access:  read_only
        .address_space:  global
        .offset:         56
        .size:           8
        .value_kind:     global_buffer
      - .actual_access:  read_only
        .address_space:  global
        .offset:         64
        .size:           8
        .value_kind:     global_buffer
      - .offset:         72
        .size:           8
        .value_kind:     by_value
      - .address_space:  global
        .offset:         80
        .size:           8
        .value_kind:     global_buffer
      - .offset:         88
        .size:           4
        .value_kind:     by_value
      - .offset:         92
        .size:           1
        .value_kind:     by_value
    .group_segment_fixed_size: 2304
    .kernarg_segment_align: 8
    .kernarg_segment_size: 96
    .language:       OpenCL C
    .language_version:
      - 2
      - 0
    .max_flat_workgroup_size: 576
    .name:           _ZN9rocsparseL20bsrxmvn_17_32_kernelILj24EfliaafEEvT2_20rocsparse_direction_NS_24const_host_device_scalarIT0_EES1_PKS1_PKT1_SA_S7_PKT3_PKT4_S5_PT5_21rocsparse_index_base_b
    .private_segment_fixed_size: 0
    .sgpr_count:     30
    .sgpr_spill_count: 0
    .symbol:         _ZN9rocsparseL20bsrxmvn_17_32_kernelILj24EfliaafEEvT2_20rocsparse_direction_NS_24const_host_device_scalarIT0_EES1_PKS1_PKT1_SA_S7_PKT3_PKT4_S5_PT5_21rocsparse_index_base_b.kd
    .uniform_work_group_size: 1
    .uses_dynamic_stack: false
    .vgpr_count:     15
    .vgpr_spill_count: 0
    .wavefront_size: 64
  - .args:
      - .offset:         0
        .size:           4
        .value_kind:     by_value
      - .offset:         4
        .size:           4
        .value_kind:     by_value
      - .offset:         8
        .size:           8
        .value_kind:     by_value
      - .offset:         16
        .size:           4
        .value_kind:     by_value
      - .actual_access:  read_only
        .address_space:  global
        .offset:         24
        .size:           8
        .value_kind:     global_buffer
      - .actual_access:  read_only
        .address_space:  global
        .offset:         32
        .size:           8
        .value_kind:     global_buffer
      - .actual_access:  read_only
        .address_space:  global
        .offset:         40
        .size:           8
        .value_kind:     global_buffer
      - .actual_access:  read_only
        .address_space:  global
        .offset:         48
        .size:           8
        .value_kind:     global_buffer
      - .actual_access:  read_only
        .address_space:  global
        .offset:         56
        .size:           8
        .value_kind:     global_buffer
      - .actual_access:  read_only
        .address_space:  global
        .offset:         64
        .size:           8
        .value_kind:     global_buffer
      - .offset:         72
        .size:           8
        .value_kind:     by_value
      - .address_space:  global
        .offset:         80
        .size:           8
        .value_kind:     global_buffer
      - .offset:         88
        .size:           4
        .value_kind:     by_value
      - .offset:         92
        .size:           1
        .value_kind:     by_value
    .group_segment_fixed_size: 2500
    .kernarg_segment_align: 8
    .kernarg_segment_size: 96
    .language:       OpenCL C
    .language_version:
      - 2
      - 0
    .max_flat_workgroup_size: 625
    .name:           _ZN9rocsparseL20bsrxmvn_17_32_kernelILj25EfliaafEEvT2_20rocsparse_direction_NS_24const_host_device_scalarIT0_EES1_PKS1_PKT1_SA_S7_PKT3_PKT4_S5_PT5_21rocsparse_index_base_b
    .private_segment_fixed_size: 0
    .sgpr_count:     30
    .sgpr_spill_count: 0
    .symbol:         _ZN9rocsparseL20bsrxmvn_17_32_kernelILj25EfliaafEEvT2_20rocsparse_direction_NS_24const_host_device_scalarIT0_EES1_PKS1_PKT1_SA_S7_PKT3_PKT4_S5_PT5_21rocsparse_index_base_b.kd
    .uniform_work_group_size: 1
    .uses_dynamic_stack: false
    .vgpr_count:     15
    .vgpr_spill_count: 0
    .wavefront_size: 64
  - .args:
      - .offset:         0
        .size:           4
        .value_kind:     by_value
      - .offset:         4
        .size:           4
        .value_kind:     by_value
      - .offset:         8
        .size:           8
        .value_kind:     by_value
      - .offset:         16
        .size:           4
        .value_kind:     by_value
      - .actual_access:  read_only
        .address_space:  global
        .offset:         24
        .size:           8
        .value_kind:     global_buffer
      - .actual_access:  read_only
        .address_space:  global
        .offset:         32
        .size:           8
        .value_kind:     global_buffer
      - .actual_access:  read_only
        .address_space:  global
        .offset:         40
        .size:           8
        .value_kind:     global_buffer
      - .actual_access:  read_only
        .address_space:  global
        .offset:         48
        .size:           8
        .value_kind:     global_buffer
      - .actual_access:  read_only
        .address_space:  global
        .offset:         56
        .size:           8
        .value_kind:     global_buffer
      - .actual_access:  read_only
        .address_space:  global
        .offset:         64
        .size:           8
        .value_kind:     global_buffer
      - .offset:         72
        .size:           8
        .value_kind:     by_value
      - .address_space:  global
        .offset:         80
        .size:           8
        .value_kind:     global_buffer
      - .offset:         88
        .size:           4
        .value_kind:     by_value
      - .offset:         92
        .size:           1
        .value_kind:     by_value
    .group_segment_fixed_size: 2704
    .kernarg_segment_align: 8
    .kernarg_segment_size: 96
    .language:       OpenCL C
    .language_version:
      - 2
      - 0
    .max_flat_workgroup_size: 676
    .name:           _ZN9rocsparseL20bsrxmvn_17_32_kernelILj26EfliaafEEvT2_20rocsparse_direction_NS_24const_host_device_scalarIT0_EES1_PKS1_PKT1_SA_S7_PKT3_PKT4_S5_PT5_21rocsparse_index_base_b
    .private_segment_fixed_size: 0
    .sgpr_count:     30
    .sgpr_spill_count: 0
    .symbol:         _ZN9rocsparseL20bsrxmvn_17_32_kernelILj26EfliaafEEvT2_20rocsparse_direction_NS_24const_host_device_scalarIT0_EES1_PKS1_PKT1_SA_S7_PKT3_PKT4_S5_PT5_21rocsparse_index_base_b.kd
    .uniform_work_group_size: 1
    .uses_dynamic_stack: false
    .vgpr_count:     15
    .vgpr_spill_count: 0
    .wavefront_size: 64
  - .args:
      - .offset:         0
        .size:           4
        .value_kind:     by_value
      - .offset:         4
        .size:           4
        .value_kind:     by_value
      - .offset:         8
        .size:           8
        .value_kind:     by_value
      - .offset:         16
        .size:           4
        .value_kind:     by_value
      - .actual_access:  read_only
        .address_space:  global
        .offset:         24
        .size:           8
        .value_kind:     global_buffer
      - .actual_access:  read_only
        .address_space:  global
        .offset:         32
        .size:           8
        .value_kind:     global_buffer
      - .actual_access:  read_only
        .address_space:  global
        .offset:         40
        .size:           8
        .value_kind:     global_buffer
      - .actual_access:  read_only
        .address_space:  global
        .offset:         48
        .size:           8
        .value_kind:     global_buffer
      - .actual_access:  read_only
        .address_space:  global
        .offset:         56
        .size:           8
        .value_kind:     global_buffer
      - .actual_access:  read_only
        .address_space:  global
        .offset:         64
        .size:           8
        .value_kind:     global_buffer
      - .offset:         72
        .size:           8
        .value_kind:     by_value
      - .address_space:  global
        .offset:         80
        .size:           8
        .value_kind:     global_buffer
      - .offset:         88
        .size:           4
        .value_kind:     by_value
      - .offset:         92
        .size:           1
        .value_kind:     by_value
    .group_segment_fixed_size: 2916
    .kernarg_segment_align: 8
    .kernarg_segment_size: 96
    .language:       OpenCL C
    .language_version:
      - 2
      - 0
    .max_flat_workgroup_size: 729
    .name:           _ZN9rocsparseL20bsrxmvn_17_32_kernelILj27EfliaafEEvT2_20rocsparse_direction_NS_24const_host_device_scalarIT0_EES1_PKS1_PKT1_SA_S7_PKT3_PKT4_S5_PT5_21rocsparse_index_base_b
    .private_segment_fixed_size: 0
    .sgpr_count:     30
    .sgpr_spill_count: 0
    .symbol:         _ZN9rocsparseL20bsrxmvn_17_32_kernelILj27EfliaafEEvT2_20rocsparse_direction_NS_24const_host_device_scalarIT0_EES1_PKS1_PKT1_SA_S7_PKT3_PKT4_S5_PT5_21rocsparse_index_base_b.kd
    .uniform_work_group_size: 1
    .uses_dynamic_stack: false
    .vgpr_count:     15
    .vgpr_spill_count: 0
    .wavefront_size: 64
  - .args:
      - .offset:         0
        .size:           4
        .value_kind:     by_value
      - .offset:         4
        .size:           4
        .value_kind:     by_value
      - .offset:         8
        .size:           8
        .value_kind:     by_value
      - .offset:         16
        .size:           4
        .value_kind:     by_value
      - .actual_access:  read_only
        .address_space:  global
        .offset:         24
        .size:           8
        .value_kind:     global_buffer
      - .actual_access:  read_only
        .address_space:  global
        .offset:         32
        .size:           8
        .value_kind:     global_buffer
      - .actual_access:  read_only
        .address_space:  global
        .offset:         40
        .size:           8
        .value_kind:     global_buffer
      - .actual_access:  read_only
        .address_space:  global
        .offset:         48
        .size:           8
        .value_kind:     global_buffer
      - .actual_access:  read_only
        .address_space:  global
        .offset:         56
        .size:           8
        .value_kind:     global_buffer
      - .actual_access:  read_only
        .address_space:  global
        .offset:         64
        .size:           8
        .value_kind:     global_buffer
      - .offset:         72
        .size:           8
        .value_kind:     by_value
      - .address_space:  global
        .offset:         80
        .size:           8
        .value_kind:     global_buffer
      - .offset:         88
        .size:           4
        .value_kind:     by_value
      - .offset:         92
        .size:           1
        .value_kind:     by_value
    .group_segment_fixed_size: 3136
    .kernarg_segment_align: 8
    .kernarg_segment_size: 96
    .language:       OpenCL C
    .language_version:
      - 2
      - 0
    .max_flat_workgroup_size: 784
    .name:           _ZN9rocsparseL20bsrxmvn_17_32_kernelILj28EfliaafEEvT2_20rocsparse_direction_NS_24const_host_device_scalarIT0_EES1_PKS1_PKT1_SA_S7_PKT3_PKT4_S5_PT5_21rocsparse_index_base_b
    .private_segment_fixed_size: 0
    .sgpr_count:     30
    .sgpr_spill_count: 0
    .symbol:         _ZN9rocsparseL20bsrxmvn_17_32_kernelILj28EfliaafEEvT2_20rocsparse_direction_NS_24const_host_device_scalarIT0_EES1_PKS1_PKT1_SA_S7_PKT3_PKT4_S5_PT5_21rocsparse_index_base_b.kd
    .uniform_work_group_size: 1
    .uses_dynamic_stack: false
    .vgpr_count:     15
    .vgpr_spill_count: 0
    .wavefront_size: 64
  - .args:
      - .offset:         0
        .size:           4
        .value_kind:     by_value
      - .offset:         4
        .size:           4
        .value_kind:     by_value
      - .offset:         8
        .size:           8
        .value_kind:     by_value
      - .offset:         16
        .size:           4
        .value_kind:     by_value
      - .actual_access:  read_only
        .address_space:  global
        .offset:         24
        .size:           8
        .value_kind:     global_buffer
      - .actual_access:  read_only
        .address_space:  global
        .offset:         32
        .size:           8
        .value_kind:     global_buffer
      - .actual_access:  read_only
        .address_space:  global
        .offset:         40
        .size:           8
        .value_kind:     global_buffer
      - .actual_access:  read_only
        .address_space:  global
        .offset:         48
        .size:           8
        .value_kind:     global_buffer
      - .actual_access:  read_only
        .address_space:  global
        .offset:         56
        .size:           8
        .value_kind:     global_buffer
      - .actual_access:  read_only
        .address_space:  global
        .offset:         64
        .size:           8
        .value_kind:     global_buffer
      - .offset:         72
        .size:           8
        .value_kind:     by_value
      - .address_space:  global
        .offset:         80
        .size:           8
        .value_kind:     global_buffer
      - .offset:         88
        .size:           4
        .value_kind:     by_value
      - .offset:         92
        .size:           1
        .value_kind:     by_value
    .group_segment_fixed_size: 3364
    .kernarg_segment_align: 8
    .kernarg_segment_size: 96
    .language:       OpenCL C
    .language_version:
      - 2
      - 0
    .max_flat_workgroup_size: 841
    .name:           _ZN9rocsparseL20bsrxmvn_17_32_kernelILj29EfliaafEEvT2_20rocsparse_direction_NS_24const_host_device_scalarIT0_EES1_PKS1_PKT1_SA_S7_PKT3_PKT4_S5_PT5_21rocsparse_index_base_b
    .private_segment_fixed_size: 0
    .sgpr_count:     30
    .sgpr_spill_count: 0
    .symbol:         _ZN9rocsparseL20bsrxmvn_17_32_kernelILj29EfliaafEEvT2_20rocsparse_direction_NS_24const_host_device_scalarIT0_EES1_PKS1_PKT1_SA_S7_PKT3_PKT4_S5_PT5_21rocsparse_index_base_b.kd
    .uniform_work_group_size: 1
    .uses_dynamic_stack: false
    .vgpr_count:     15
    .vgpr_spill_count: 0
    .wavefront_size: 64
  - .args:
      - .offset:         0
        .size:           4
        .value_kind:     by_value
      - .offset:         4
        .size:           4
        .value_kind:     by_value
      - .offset:         8
        .size:           8
        .value_kind:     by_value
      - .offset:         16
        .size:           4
        .value_kind:     by_value
      - .actual_access:  read_only
        .address_space:  global
        .offset:         24
        .size:           8
        .value_kind:     global_buffer
      - .actual_access:  read_only
        .address_space:  global
        .offset:         32
        .size:           8
        .value_kind:     global_buffer
      - .actual_access:  read_only
        .address_space:  global
        .offset:         40
        .size:           8
        .value_kind:     global_buffer
      - .actual_access:  read_only
        .address_space:  global
        .offset:         48
        .size:           8
        .value_kind:     global_buffer
      - .actual_access:  read_only
        .address_space:  global
        .offset:         56
        .size:           8
        .value_kind:     global_buffer
      - .actual_access:  read_only
        .address_space:  global
        .offset:         64
        .size:           8
        .value_kind:     global_buffer
      - .offset:         72
        .size:           8
        .value_kind:     by_value
      - .address_space:  global
        .offset:         80
        .size:           8
        .value_kind:     global_buffer
      - .offset:         88
        .size:           4
        .value_kind:     by_value
      - .offset:         92
        .size:           1
        .value_kind:     by_value
    .group_segment_fixed_size: 3600
    .kernarg_segment_align: 8
    .kernarg_segment_size: 96
    .language:       OpenCL C
    .language_version:
      - 2
      - 0
    .max_flat_workgroup_size: 900
    .name:           _ZN9rocsparseL20bsrxmvn_17_32_kernelILj30EfliaafEEvT2_20rocsparse_direction_NS_24const_host_device_scalarIT0_EES1_PKS1_PKT1_SA_S7_PKT3_PKT4_S5_PT5_21rocsparse_index_base_b
    .private_segment_fixed_size: 0
    .sgpr_count:     30
    .sgpr_spill_count: 0
    .symbol:         _ZN9rocsparseL20bsrxmvn_17_32_kernelILj30EfliaafEEvT2_20rocsparse_direction_NS_24const_host_device_scalarIT0_EES1_PKS1_PKT1_SA_S7_PKT3_PKT4_S5_PT5_21rocsparse_index_base_b.kd
    .uniform_work_group_size: 1
    .uses_dynamic_stack: false
    .vgpr_count:     15
    .vgpr_spill_count: 0
    .wavefront_size: 64
  - .args:
      - .offset:         0
        .size:           4
        .value_kind:     by_value
      - .offset:         4
        .size:           4
        .value_kind:     by_value
      - .offset:         8
        .size:           8
        .value_kind:     by_value
      - .offset:         16
        .size:           4
        .value_kind:     by_value
      - .actual_access:  read_only
        .address_space:  global
        .offset:         24
        .size:           8
        .value_kind:     global_buffer
      - .actual_access:  read_only
        .address_space:  global
        .offset:         32
        .size:           8
        .value_kind:     global_buffer
      - .actual_access:  read_only
        .address_space:  global
        .offset:         40
        .size:           8
        .value_kind:     global_buffer
      - .actual_access:  read_only
        .address_space:  global
        .offset:         48
        .size:           8
        .value_kind:     global_buffer
      - .actual_access:  read_only
        .address_space:  global
        .offset:         56
        .size:           8
        .value_kind:     global_buffer
      - .actual_access:  read_only
        .address_space:  global
        .offset:         64
        .size:           8
        .value_kind:     global_buffer
      - .offset:         72
        .size:           8
        .value_kind:     by_value
      - .address_space:  global
        .offset:         80
        .size:           8
        .value_kind:     global_buffer
      - .offset:         88
        .size:           4
        .value_kind:     by_value
      - .offset:         92
        .size:           1
        .value_kind:     by_value
    .group_segment_fixed_size: 3844
    .kernarg_segment_align: 8
    .kernarg_segment_size: 96
    .language:       OpenCL C
    .language_version:
      - 2
      - 0
    .max_flat_workgroup_size: 961
    .name:           _ZN9rocsparseL20bsrxmvn_17_32_kernelILj31EfliaafEEvT2_20rocsparse_direction_NS_24const_host_device_scalarIT0_EES1_PKS1_PKT1_SA_S7_PKT3_PKT4_S5_PT5_21rocsparse_index_base_b
    .private_segment_fixed_size: 0
    .sgpr_count:     30
    .sgpr_spill_count: 0
    .symbol:         _ZN9rocsparseL20bsrxmvn_17_32_kernelILj31EfliaafEEvT2_20rocsparse_direction_NS_24const_host_device_scalarIT0_EES1_PKS1_PKT1_SA_S7_PKT3_PKT4_S5_PT5_21rocsparse_index_base_b.kd
    .uniform_work_group_size: 1
    .uses_dynamic_stack: false
    .vgpr_count:     15
    .vgpr_spill_count: 0
    .wavefront_size: 64
  - .args:
      - .offset:         0
        .size:           4
        .value_kind:     by_value
      - .offset:         4
        .size:           4
        .value_kind:     by_value
      - .offset:         8
        .size:           8
        .value_kind:     by_value
      - .offset:         16
        .size:           4
        .value_kind:     by_value
      - .actual_access:  read_only
        .address_space:  global
        .offset:         24
        .size:           8
        .value_kind:     global_buffer
      - .actual_access:  read_only
        .address_space:  global
        .offset:         32
        .size:           8
        .value_kind:     global_buffer
      - .actual_access:  read_only
        .address_space:  global
        .offset:         40
        .size:           8
        .value_kind:     global_buffer
      - .actual_access:  read_only
        .address_space:  global
        .offset:         48
        .size:           8
        .value_kind:     global_buffer
      - .actual_access:  read_only
        .address_space:  global
        .offset:         56
        .size:           8
        .value_kind:     global_buffer
      - .actual_access:  read_only
        .address_space:  global
        .offset:         64
        .size:           8
        .value_kind:     global_buffer
      - .offset:         72
        .size:           8
        .value_kind:     by_value
      - .address_space:  global
        .offset:         80
        .size:           8
        .value_kind:     global_buffer
      - .offset:         88
        .size:           4
        .value_kind:     by_value
      - .offset:         92
        .size:           1
        .value_kind:     by_value
    .group_segment_fixed_size: 4096
    .kernarg_segment_align: 8
    .kernarg_segment_size: 96
    .language:       OpenCL C
    .language_version:
      - 2
      - 0
    .max_flat_workgroup_size: 1024
    .name:           _ZN9rocsparseL20bsrxmvn_17_32_kernelILj32EfliaafEEvT2_20rocsparse_direction_NS_24const_host_device_scalarIT0_EES1_PKS1_PKT1_SA_S7_PKT3_PKT4_S5_PT5_21rocsparse_index_base_b
    .private_segment_fixed_size: 0
    .sgpr_count:     32
    .sgpr_spill_count: 0
    .symbol:         _ZN9rocsparseL20bsrxmvn_17_32_kernelILj32EfliaafEEvT2_20rocsparse_direction_NS_24const_host_device_scalarIT0_EES1_PKS1_PKT1_SA_S7_PKT3_PKT4_S5_PT5_21rocsparse_index_base_b.kd
    .uniform_work_group_size: 1
    .uses_dynamic_stack: false
    .vgpr_count:     12
    .vgpr_spill_count: 0
    .wavefront_size: 64
  - .args:
      - .offset:         0
        .size:           8
        .value_kind:     by_value
      - .offset:         8
        .size:           4
        .value_kind:     by_value
      - .offset:         16
        .size:           8
        .value_kind:     by_value
      - .offset:         24
        .size:           8
        .value_kind:     by_value
      - .actual_access:  read_only
        .address_space:  global
        .offset:         32
        .size:           8
        .value_kind:     global_buffer
      - .actual_access:  read_only
        .address_space:  global
        .offset:         40
        .size:           8
        .value_kind:     global_buffer
      - .actual_access:  read_only
        .address_space:  global
        .offset:         48
        .size:           8
        .value_kind:     global_buffer
      - .actual_access:  read_only
        .address_space:  global
        .offset:         56
        .size:           8
        .value_kind:     global_buffer
      - .actual_access:  read_only
        .address_space:  global
        .offset:         64
        .size:           8
        .value_kind:     global_buffer
      - .actual_access:  read_only
        .address_space:  global
        .offset:         72
        .size:           8
        .value_kind:     global_buffer
      - .offset:         80
        .size:           8
        .value_kind:     by_value
      - .address_space:  global
        .offset:         88
        .size:           8
        .value_kind:     global_buffer
      - .offset:         96
        .size:           4
        .value_kind:     by_value
      - .offset:         100
        .size:           1
        .value_kind:     by_value
    .group_segment_fixed_size: 1156
    .kernarg_segment_align: 8
    .kernarg_segment_size: 104
    .language:       OpenCL C
    .language_version:
      - 2
      - 0
    .max_flat_workgroup_size: 289
    .name:           _ZN9rocsparseL20bsrxmvn_17_32_kernelILj17EfllaafEEvT2_20rocsparse_direction_NS_24const_host_device_scalarIT0_EES1_PKS1_PKT1_SA_S7_PKT3_PKT4_S5_PT5_21rocsparse_index_base_b
    .private_segment_fixed_size: 0
    .sgpr_count:     30
    .sgpr_spill_count: 0
    .symbol:         _ZN9rocsparseL20bsrxmvn_17_32_kernelILj17EfllaafEEvT2_20rocsparse_direction_NS_24const_host_device_scalarIT0_EES1_PKS1_PKT1_SA_S7_PKT3_PKT4_S5_PT5_21rocsparse_index_base_b.kd
    .uniform_work_group_size: 1
    .uses_dynamic_stack: false
    .vgpr_count:     13
    .vgpr_spill_count: 0
    .wavefront_size: 64
  - .args:
      - .offset:         0
        .size:           8
        .value_kind:     by_value
      - .offset:         8
        .size:           4
        .value_kind:     by_value
      - .offset:         16
        .size:           8
        .value_kind:     by_value
      - .offset:         24
        .size:           8
        .value_kind:     by_value
      - .actual_access:  read_only
        .address_space:  global
        .offset:         32
        .size:           8
        .value_kind:     global_buffer
      - .actual_access:  read_only
        .address_space:  global
        .offset:         40
        .size:           8
        .value_kind:     global_buffer
      - .actual_access:  read_only
        .address_space:  global
        .offset:         48
        .size:           8
        .value_kind:     global_buffer
      - .actual_access:  read_only
        .address_space:  global
        .offset:         56
        .size:           8
        .value_kind:     global_buffer
      - .actual_access:  read_only
        .address_space:  global
        .offset:         64
        .size:           8
        .value_kind:     global_buffer
      - .actual_access:  read_only
        .address_space:  global
        .offset:         72
        .size:           8
        .value_kind:     global_buffer
      - .offset:         80
        .size:           8
        .value_kind:     by_value
      - .address_space:  global
        .offset:         88
        .size:           8
        .value_kind:     global_buffer
      - .offset:         96
        .size:           4
        .value_kind:     by_value
      - .offset:         100
        .size:           1
        .value_kind:     by_value
    .group_segment_fixed_size: 1296
    .kernarg_segment_align: 8
    .kernarg_segment_size: 104
    .language:       OpenCL C
    .language_version:
      - 2
      - 0
    .max_flat_workgroup_size: 324
    .name:           _ZN9rocsparseL20bsrxmvn_17_32_kernelILj18EfllaafEEvT2_20rocsparse_direction_NS_24const_host_device_scalarIT0_EES1_PKS1_PKT1_SA_S7_PKT3_PKT4_S5_PT5_21rocsparse_index_base_b
    .private_segment_fixed_size: 0
    .sgpr_count:     30
    .sgpr_spill_count: 0
    .symbol:         _ZN9rocsparseL20bsrxmvn_17_32_kernelILj18EfllaafEEvT2_20rocsparse_direction_NS_24const_host_device_scalarIT0_EES1_PKS1_PKT1_SA_S7_PKT3_PKT4_S5_PT5_21rocsparse_index_base_b.kd
    .uniform_work_group_size: 1
    .uses_dynamic_stack: false
    .vgpr_count:     13
    .vgpr_spill_count: 0
    .wavefront_size: 64
  - .args:
      - .offset:         0
        .size:           8
        .value_kind:     by_value
      - .offset:         8
        .size:           4
        .value_kind:     by_value
      - .offset:         16
        .size:           8
        .value_kind:     by_value
      - .offset:         24
        .size:           8
        .value_kind:     by_value
      - .actual_access:  read_only
        .address_space:  global
        .offset:         32
        .size:           8
        .value_kind:     global_buffer
      - .actual_access:  read_only
        .address_space:  global
        .offset:         40
        .size:           8
        .value_kind:     global_buffer
      - .actual_access:  read_only
        .address_space:  global
        .offset:         48
        .size:           8
        .value_kind:     global_buffer
      - .actual_access:  read_only
        .address_space:  global
        .offset:         56
        .size:           8
        .value_kind:     global_buffer
      - .actual_access:  read_only
        .address_space:  global
        .offset:         64
        .size:           8
        .value_kind:     global_buffer
      - .actual_access:  read_only
        .address_space:  global
        .offset:         72
        .size:           8
        .value_kind:     global_buffer
      - .offset:         80
        .size:           8
        .value_kind:     by_value
      - .address_space:  global
        .offset:         88
        .size:           8
        .value_kind:     global_buffer
      - .offset:         96
        .size:           4
        .value_kind:     by_value
      - .offset:         100
        .size:           1
        .value_kind:     by_value
    .group_segment_fixed_size: 1444
    .kernarg_segment_align: 8
    .kernarg_segment_size: 104
    .language:       OpenCL C
    .language_version:
      - 2
      - 0
    .max_flat_workgroup_size: 361
    .name:           _ZN9rocsparseL20bsrxmvn_17_32_kernelILj19EfllaafEEvT2_20rocsparse_direction_NS_24const_host_device_scalarIT0_EES1_PKS1_PKT1_SA_S7_PKT3_PKT4_S5_PT5_21rocsparse_index_base_b
    .private_segment_fixed_size: 0
    .sgpr_count:     30
    .sgpr_spill_count: 0
    .symbol:         _ZN9rocsparseL20bsrxmvn_17_32_kernelILj19EfllaafEEvT2_20rocsparse_direction_NS_24const_host_device_scalarIT0_EES1_PKS1_PKT1_SA_S7_PKT3_PKT4_S5_PT5_21rocsparse_index_base_b.kd
    .uniform_work_group_size: 1
    .uses_dynamic_stack: false
    .vgpr_count:     13
    .vgpr_spill_count: 0
    .wavefront_size: 64
  - .args:
      - .offset:         0
        .size:           8
        .value_kind:     by_value
      - .offset:         8
        .size:           4
        .value_kind:     by_value
      - .offset:         16
        .size:           8
        .value_kind:     by_value
      - .offset:         24
        .size:           8
        .value_kind:     by_value
      - .actual_access:  read_only
        .address_space:  global
        .offset:         32
        .size:           8
        .value_kind:     global_buffer
      - .actual_access:  read_only
        .address_space:  global
        .offset:         40
        .size:           8
        .value_kind:     global_buffer
      - .actual_access:  read_only
        .address_space:  global
        .offset:         48
        .size:           8
        .value_kind:     global_buffer
      - .actual_access:  read_only
        .address_space:  global
        .offset:         56
        .size:           8
        .value_kind:     global_buffer
      - .actual_access:  read_only
        .address_space:  global
        .offset:         64
        .size:           8
        .value_kind:     global_buffer
      - .actual_access:  read_only
        .address_space:  global
        .offset:         72
        .size:           8
        .value_kind:     global_buffer
      - .offset:         80
        .size:           8
        .value_kind:     by_value
      - .address_space:  global
        .offset:         88
        .size:           8
        .value_kind:     global_buffer
      - .offset:         96
        .size:           4
        .value_kind:     by_value
      - .offset:         100
        .size:           1
        .value_kind:     by_value
    .group_segment_fixed_size: 1600
    .kernarg_segment_align: 8
    .kernarg_segment_size: 104
    .language:       OpenCL C
    .language_version:
      - 2
      - 0
    .max_flat_workgroup_size: 400
    .name:           _ZN9rocsparseL20bsrxmvn_17_32_kernelILj20EfllaafEEvT2_20rocsparse_direction_NS_24const_host_device_scalarIT0_EES1_PKS1_PKT1_SA_S7_PKT3_PKT4_S5_PT5_21rocsparse_index_base_b
    .private_segment_fixed_size: 0
    .sgpr_count:     30
    .sgpr_spill_count: 0
    .symbol:         _ZN9rocsparseL20bsrxmvn_17_32_kernelILj20EfllaafEEvT2_20rocsparse_direction_NS_24const_host_device_scalarIT0_EES1_PKS1_PKT1_SA_S7_PKT3_PKT4_S5_PT5_21rocsparse_index_base_b.kd
    .uniform_work_group_size: 1
    .uses_dynamic_stack: false
    .vgpr_count:     13
    .vgpr_spill_count: 0
    .wavefront_size: 64
  - .args:
      - .offset:         0
        .size:           8
        .value_kind:     by_value
      - .offset:         8
        .size:           4
        .value_kind:     by_value
      - .offset:         16
        .size:           8
        .value_kind:     by_value
      - .offset:         24
        .size:           8
        .value_kind:     by_value
      - .actual_access:  read_only
        .address_space:  global
        .offset:         32
        .size:           8
        .value_kind:     global_buffer
      - .actual_access:  read_only
        .address_space:  global
        .offset:         40
        .size:           8
        .value_kind:     global_buffer
      - .actual_access:  read_only
        .address_space:  global
        .offset:         48
        .size:           8
        .value_kind:     global_buffer
      - .actual_access:  read_only
        .address_space:  global
        .offset:         56
        .size:           8
        .value_kind:     global_buffer
      - .actual_access:  read_only
        .address_space:  global
        .offset:         64
        .size:           8
        .value_kind:     global_buffer
      - .actual_access:  read_only
        .address_space:  global
        .offset:         72
        .size:           8
        .value_kind:     global_buffer
      - .offset:         80
        .size:           8
        .value_kind:     by_value
      - .address_space:  global
        .offset:         88
        .size:           8
        .value_kind:     global_buffer
      - .offset:         96
        .size:           4
        .value_kind:     by_value
      - .offset:         100
        .size:           1
        .value_kind:     by_value
    .group_segment_fixed_size: 1764
    .kernarg_segment_align: 8
    .kernarg_segment_size: 104
    .language:       OpenCL C
    .language_version:
      - 2
      - 0
    .max_flat_workgroup_size: 441
    .name:           _ZN9rocsparseL20bsrxmvn_17_32_kernelILj21EfllaafEEvT2_20rocsparse_direction_NS_24const_host_device_scalarIT0_EES1_PKS1_PKT1_SA_S7_PKT3_PKT4_S5_PT5_21rocsparse_index_base_b
    .private_segment_fixed_size: 0
    .sgpr_count:     30
    .sgpr_spill_count: 0
    .symbol:         _ZN9rocsparseL20bsrxmvn_17_32_kernelILj21EfllaafEEvT2_20rocsparse_direction_NS_24const_host_device_scalarIT0_EES1_PKS1_PKT1_SA_S7_PKT3_PKT4_S5_PT5_21rocsparse_index_base_b.kd
    .uniform_work_group_size: 1
    .uses_dynamic_stack: false
    .vgpr_count:     13
    .vgpr_spill_count: 0
    .wavefront_size: 64
  - .args:
      - .offset:         0
        .size:           8
        .value_kind:     by_value
      - .offset:         8
        .size:           4
        .value_kind:     by_value
      - .offset:         16
        .size:           8
        .value_kind:     by_value
      - .offset:         24
        .size:           8
        .value_kind:     by_value
      - .actual_access:  read_only
        .address_space:  global
        .offset:         32
        .size:           8
        .value_kind:     global_buffer
      - .actual_access:  read_only
        .address_space:  global
        .offset:         40
        .size:           8
        .value_kind:     global_buffer
      - .actual_access:  read_only
        .address_space:  global
        .offset:         48
        .size:           8
        .value_kind:     global_buffer
      - .actual_access:  read_only
        .address_space:  global
        .offset:         56
        .size:           8
        .value_kind:     global_buffer
      - .actual_access:  read_only
        .address_space:  global
        .offset:         64
        .size:           8
        .value_kind:     global_buffer
      - .actual_access:  read_only
        .address_space:  global
        .offset:         72
        .size:           8
        .value_kind:     global_buffer
      - .offset:         80
        .size:           8
        .value_kind:     by_value
      - .address_space:  global
        .offset:         88
        .size:           8
        .value_kind:     global_buffer
      - .offset:         96
        .size:           4
        .value_kind:     by_value
      - .offset:         100
        .size:           1
        .value_kind:     by_value
    .group_segment_fixed_size: 1936
    .kernarg_segment_align: 8
    .kernarg_segment_size: 104
    .language:       OpenCL C
    .language_version:
      - 2
      - 0
    .max_flat_workgroup_size: 484
    .name:           _ZN9rocsparseL20bsrxmvn_17_32_kernelILj22EfllaafEEvT2_20rocsparse_direction_NS_24const_host_device_scalarIT0_EES1_PKS1_PKT1_SA_S7_PKT3_PKT4_S5_PT5_21rocsparse_index_base_b
    .private_segment_fixed_size: 0
    .sgpr_count:     30
    .sgpr_spill_count: 0
    .symbol:         _ZN9rocsparseL20bsrxmvn_17_32_kernelILj22EfllaafEEvT2_20rocsparse_direction_NS_24const_host_device_scalarIT0_EES1_PKS1_PKT1_SA_S7_PKT3_PKT4_S5_PT5_21rocsparse_index_base_b.kd
    .uniform_work_group_size: 1
    .uses_dynamic_stack: false
    .vgpr_count:     13
    .vgpr_spill_count: 0
    .wavefront_size: 64
  - .args:
      - .offset:         0
        .size:           8
        .value_kind:     by_value
      - .offset:         8
        .size:           4
        .value_kind:     by_value
      - .offset:         16
        .size:           8
        .value_kind:     by_value
      - .offset:         24
        .size:           8
        .value_kind:     by_value
      - .actual_access:  read_only
        .address_space:  global
        .offset:         32
        .size:           8
        .value_kind:     global_buffer
      - .actual_access:  read_only
        .address_space:  global
        .offset:         40
        .size:           8
        .value_kind:     global_buffer
      - .actual_access:  read_only
        .address_space:  global
        .offset:         48
        .size:           8
        .value_kind:     global_buffer
      - .actual_access:  read_only
        .address_space:  global
        .offset:         56
        .size:           8
        .value_kind:     global_buffer
      - .actual_access:  read_only
        .address_space:  global
        .offset:         64
        .size:           8
        .value_kind:     global_buffer
      - .actual_access:  read_only
        .address_space:  global
        .offset:         72
        .size:           8
        .value_kind:     global_buffer
      - .offset:         80
        .size:           8
        .value_kind:     by_value
      - .address_space:  global
        .offset:         88
        .size:           8
        .value_kind:     global_buffer
      - .offset:         96
        .size:           4
        .value_kind:     by_value
      - .offset:         100
        .size:           1
        .value_kind:     by_value
    .group_segment_fixed_size: 2116
    .kernarg_segment_align: 8
    .kernarg_segment_size: 104
    .language:       OpenCL C
    .language_version:
      - 2
      - 0
    .max_flat_workgroup_size: 529
    .name:           _ZN9rocsparseL20bsrxmvn_17_32_kernelILj23EfllaafEEvT2_20rocsparse_direction_NS_24const_host_device_scalarIT0_EES1_PKS1_PKT1_SA_S7_PKT3_PKT4_S5_PT5_21rocsparse_index_base_b
    .private_segment_fixed_size: 0
    .sgpr_count:     30
    .sgpr_spill_count: 0
    .symbol:         _ZN9rocsparseL20bsrxmvn_17_32_kernelILj23EfllaafEEvT2_20rocsparse_direction_NS_24const_host_device_scalarIT0_EES1_PKS1_PKT1_SA_S7_PKT3_PKT4_S5_PT5_21rocsparse_index_base_b.kd
    .uniform_work_group_size: 1
    .uses_dynamic_stack: false
    .vgpr_count:     13
    .vgpr_spill_count: 0
    .wavefront_size: 64
  - .args:
      - .offset:         0
        .size:           8
        .value_kind:     by_value
      - .offset:         8
        .size:           4
        .value_kind:     by_value
      - .offset:         16
        .size:           8
        .value_kind:     by_value
      - .offset:         24
        .size:           8
        .value_kind:     by_value
      - .actual_access:  read_only
        .address_space:  global
        .offset:         32
        .size:           8
        .value_kind:     global_buffer
      - .actual_access:  read_only
        .address_space:  global
        .offset:         40
        .size:           8
        .value_kind:     global_buffer
      - .actual_access:  read_only
        .address_space:  global
        .offset:         48
        .size:           8
        .value_kind:     global_buffer
      - .actual_access:  read_only
        .address_space:  global
        .offset:         56
        .size:           8
        .value_kind:     global_buffer
      - .actual_access:  read_only
        .address_space:  global
        .offset:         64
        .size:           8
        .value_kind:     global_buffer
      - .actual_access:  read_only
        .address_space:  global
        .offset:         72
        .size:           8
        .value_kind:     global_buffer
      - .offset:         80
        .size:           8
        .value_kind:     by_value
      - .address_space:  global
        .offset:         88
        .size:           8
        .value_kind:     global_buffer
      - .offset:         96
        .size:           4
        .value_kind:     by_value
      - .offset:         100
        .size:           1
        .value_kind:     by_value
    .group_segment_fixed_size: 2304
    .kernarg_segment_align: 8
    .kernarg_segment_size: 104
    .language:       OpenCL C
    .language_version:
      - 2
      - 0
    .max_flat_workgroup_size: 576
    .name:           _ZN9rocsparseL20bsrxmvn_17_32_kernelILj24EfllaafEEvT2_20rocsparse_direction_NS_24const_host_device_scalarIT0_EES1_PKS1_PKT1_SA_S7_PKT3_PKT4_S5_PT5_21rocsparse_index_base_b
    .private_segment_fixed_size: 0
    .sgpr_count:     30
    .sgpr_spill_count: 0
    .symbol:         _ZN9rocsparseL20bsrxmvn_17_32_kernelILj24EfllaafEEvT2_20rocsparse_direction_NS_24const_host_device_scalarIT0_EES1_PKS1_PKT1_SA_S7_PKT3_PKT4_S5_PT5_21rocsparse_index_base_b.kd
    .uniform_work_group_size: 1
    .uses_dynamic_stack: false
    .vgpr_count:     13
    .vgpr_spill_count: 0
    .wavefront_size: 64
  - .args:
      - .offset:         0
        .size:           8
        .value_kind:     by_value
      - .offset:         8
        .size:           4
        .value_kind:     by_value
      - .offset:         16
        .size:           8
        .value_kind:     by_value
      - .offset:         24
        .size:           8
        .value_kind:     by_value
      - .actual_access:  read_only
        .address_space:  global
        .offset:         32
        .size:           8
        .value_kind:     global_buffer
      - .actual_access:  read_only
        .address_space:  global
        .offset:         40
        .size:           8
        .value_kind:     global_buffer
      - .actual_access:  read_only
        .address_space:  global
        .offset:         48
        .size:           8
        .value_kind:     global_buffer
      - .actual_access:  read_only
        .address_space:  global
        .offset:         56
        .size:           8
        .value_kind:     global_buffer
      - .actual_access:  read_only
        .address_space:  global
        .offset:         64
        .size:           8
        .value_kind:     global_buffer
      - .actual_access:  read_only
        .address_space:  global
        .offset:         72
        .size:           8
        .value_kind:     global_buffer
      - .offset:         80
        .size:           8
        .value_kind:     by_value
      - .address_space:  global
        .offset:         88
        .size:           8
        .value_kind:     global_buffer
      - .offset:         96
        .size:           4
        .value_kind:     by_value
      - .offset:         100
        .size:           1
        .value_kind:     by_value
    .group_segment_fixed_size: 2500
    .kernarg_segment_align: 8
    .kernarg_segment_size: 104
    .language:       OpenCL C
    .language_version:
      - 2
      - 0
    .max_flat_workgroup_size: 625
    .name:           _ZN9rocsparseL20bsrxmvn_17_32_kernelILj25EfllaafEEvT2_20rocsparse_direction_NS_24const_host_device_scalarIT0_EES1_PKS1_PKT1_SA_S7_PKT3_PKT4_S5_PT5_21rocsparse_index_base_b
    .private_segment_fixed_size: 0
    .sgpr_count:     30
    .sgpr_spill_count: 0
    .symbol:         _ZN9rocsparseL20bsrxmvn_17_32_kernelILj25EfllaafEEvT2_20rocsparse_direction_NS_24const_host_device_scalarIT0_EES1_PKS1_PKT1_SA_S7_PKT3_PKT4_S5_PT5_21rocsparse_index_base_b.kd
    .uniform_work_group_size: 1
    .uses_dynamic_stack: false
    .vgpr_count:     15
    .vgpr_spill_count: 0
    .wavefront_size: 64
  - .args:
      - .offset:         0
        .size:           8
        .value_kind:     by_value
      - .offset:         8
        .size:           4
        .value_kind:     by_value
      - .offset:         16
        .size:           8
        .value_kind:     by_value
      - .offset:         24
        .size:           8
        .value_kind:     by_value
      - .actual_access:  read_only
        .address_space:  global
        .offset:         32
        .size:           8
        .value_kind:     global_buffer
      - .actual_access:  read_only
        .address_space:  global
        .offset:         40
        .size:           8
        .value_kind:     global_buffer
      - .actual_access:  read_only
        .address_space:  global
        .offset:         48
        .size:           8
        .value_kind:     global_buffer
      - .actual_access:  read_only
        .address_space:  global
        .offset:         56
        .size:           8
        .value_kind:     global_buffer
      - .actual_access:  read_only
        .address_space:  global
        .offset:         64
        .size:           8
        .value_kind:     global_buffer
      - .actual_access:  read_only
        .address_space:  global
        .offset:         72
        .size:           8
        .value_kind:     global_buffer
      - .offset:         80
        .size:           8
        .value_kind:     by_value
      - .address_space:  global
        .offset:         88
        .size:           8
        .value_kind:     global_buffer
      - .offset:         96
        .size:           4
        .value_kind:     by_value
      - .offset:         100
        .size:           1
        .value_kind:     by_value
    .group_segment_fixed_size: 2704
    .kernarg_segment_align: 8
    .kernarg_segment_size: 104
    .language:       OpenCL C
    .language_version:
      - 2
      - 0
    .max_flat_workgroup_size: 676
    .name:           _ZN9rocsparseL20bsrxmvn_17_32_kernelILj26EfllaafEEvT2_20rocsparse_direction_NS_24const_host_device_scalarIT0_EES1_PKS1_PKT1_SA_S7_PKT3_PKT4_S5_PT5_21rocsparse_index_base_b
    .private_segment_fixed_size: 0
    .sgpr_count:     30
    .sgpr_spill_count: 0
    .symbol:         _ZN9rocsparseL20bsrxmvn_17_32_kernelILj26EfllaafEEvT2_20rocsparse_direction_NS_24const_host_device_scalarIT0_EES1_PKS1_PKT1_SA_S7_PKT3_PKT4_S5_PT5_21rocsparse_index_base_b.kd
    .uniform_work_group_size: 1
    .uses_dynamic_stack: false
    .vgpr_count:     15
    .vgpr_spill_count: 0
    .wavefront_size: 64
  - .args:
      - .offset:         0
        .size:           8
        .value_kind:     by_value
      - .offset:         8
        .size:           4
        .value_kind:     by_value
      - .offset:         16
        .size:           8
        .value_kind:     by_value
      - .offset:         24
        .size:           8
        .value_kind:     by_value
      - .actual_access:  read_only
        .address_space:  global
        .offset:         32
        .size:           8
        .value_kind:     global_buffer
      - .actual_access:  read_only
        .address_space:  global
        .offset:         40
        .size:           8
        .value_kind:     global_buffer
      - .actual_access:  read_only
        .address_space:  global
        .offset:         48
        .size:           8
        .value_kind:     global_buffer
      - .actual_access:  read_only
        .address_space:  global
        .offset:         56
        .size:           8
        .value_kind:     global_buffer
      - .actual_access:  read_only
        .address_space:  global
        .offset:         64
        .size:           8
        .value_kind:     global_buffer
      - .actual_access:  read_only
        .address_space:  global
        .offset:         72
        .size:           8
        .value_kind:     global_buffer
      - .offset:         80
        .size:           8
        .value_kind:     by_value
      - .address_space:  global
        .offset:         88
        .size:           8
        .value_kind:     global_buffer
      - .offset:         96
        .size:           4
        .value_kind:     by_value
      - .offset:         100
        .size:           1
        .value_kind:     by_value
    .group_segment_fixed_size: 2916
    .kernarg_segment_align: 8
    .kernarg_segment_size: 104
    .language:       OpenCL C
    .language_version:
      - 2
      - 0
    .max_flat_workgroup_size: 729
    .name:           _ZN9rocsparseL20bsrxmvn_17_32_kernelILj27EfllaafEEvT2_20rocsparse_direction_NS_24const_host_device_scalarIT0_EES1_PKS1_PKT1_SA_S7_PKT3_PKT4_S5_PT5_21rocsparse_index_base_b
    .private_segment_fixed_size: 0
    .sgpr_count:     30
    .sgpr_spill_count: 0
    .symbol:         _ZN9rocsparseL20bsrxmvn_17_32_kernelILj27EfllaafEEvT2_20rocsparse_direction_NS_24const_host_device_scalarIT0_EES1_PKS1_PKT1_SA_S7_PKT3_PKT4_S5_PT5_21rocsparse_index_base_b.kd
    .uniform_work_group_size: 1
    .uses_dynamic_stack: false
    .vgpr_count:     15
    .vgpr_spill_count: 0
    .wavefront_size: 64
  - .args:
      - .offset:         0
        .size:           8
        .value_kind:     by_value
      - .offset:         8
        .size:           4
        .value_kind:     by_value
      - .offset:         16
        .size:           8
        .value_kind:     by_value
      - .offset:         24
        .size:           8
        .value_kind:     by_value
      - .actual_access:  read_only
        .address_space:  global
        .offset:         32
        .size:           8
        .value_kind:     global_buffer
      - .actual_access:  read_only
        .address_space:  global
        .offset:         40
        .size:           8
        .value_kind:     global_buffer
      - .actual_access:  read_only
        .address_space:  global
        .offset:         48
        .size:           8
        .value_kind:     global_buffer
      - .actual_access:  read_only
        .address_space:  global
        .offset:         56
        .size:           8
        .value_kind:     global_buffer
      - .actual_access:  read_only
        .address_space:  global
        .offset:         64
        .size:           8
        .value_kind:     global_buffer
      - .actual_access:  read_only
        .address_space:  global
        .offset:         72
        .size:           8
        .value_kind:     global_buffer
      - .offset:         80
        .size:           8
        .value_kind:     by_value
      - .address_space:  global
        .offset:         88
        .size:           8
        .value_kind:     global_buffer
      - .offset:         96
        .size:           4
        .value_kind:     by_value
      - .offset:         100
        .size:           1
        .value_kind:     by_value
    .group_segment_fixed_size: 3136
    .kernarg_segment_align: 8
    .kernarg_segment_size: 104
    .language:       OpenCL C
    .language_version:
      - 2
      - 0
    .max_flat_workgroup_size: 784
    .name:           _ZN9rocsparseL20bsrxmvn_17_32_kernelILj28EfllaafEEvT2_20rocsparse_direction_NS_24const_host_device_scalarIT0_EES1_PKS1_PKT1_SA_S7_PKT3_PKT4_S5_PT5_21rocsparse_index_base_b
    .private_segment_fixed_size: 0
    .sgpr_count:     30
    .sgpr_spill_count: 0
    .symbol:         _ZN9rocsparseL20bsrxmvn_17_32_kernelILj28EfllaafEEvT2_20rocsparse_direction_NS_24const_host_device_scalarIT0_EES1_PKS1_PKT1_SA_S7_PKT3_PKT4_S5_PT5_21rocsparse_index_base_b.kd
    .uniform_work_group_size: 1
    .uses_dynamic_stack: false
    .vgpr_count:     15
    .vgpr_spill_count: 0
    .wavefront_size: 64
  - .args:
      - .offset:         0
        .size:           8
        .value_kind:     by_value
      - .offset:         8
        .size:           4
        .value_kind:     by_value
      - .offset:         16
        .size:           8
        .value_kind:     by_value
      - .offset:         24
        .size:           8
        .value_kind:     by_value
      - .actual_access:  read_only
        .address_space:  global
        .offset:         32
        .size:           8
        .value_kind:     global_buffer
      - .actual_access:  read_only
        .address_space:  global
        .offset:         40
        .size:           8
        .value_kind:     global_buffer
      - .actual_access:  read_only
        .address_space:  global
        .offset:         48
        .size:           8
        .value_kind:     global_buffer
      - .actual_access:  read_only
        .address_space:  global
        .offset:         56
        .size:           8
        .value_kind:     global_buffer
      - .actual_access:  read_only
        .address_space:  global
        .offset:         64
        .size:           8
        .value_kind:     global_buffer
      - .actual_access:  read_only
        .address_space:  global
        .offset:         72
        .size:           8
        .value_kind:     global_buffer
      - .offset:         80
        .size:           8
        .value_kind:     by_value
      - .address_space:  global
        .offset:         88
        .size:           8
        .value_kind:     global_buffer
      - .offset:         96
        .size:           4
        .value_kind:     by_value
      - .offset:         100
        .size:           1
        .value_kind:     by_value
    .group_segment_fixed_size: 3364
    .kernarg_segment_align: 8
    .kernarg_segment_size: 104
    .language:       OpenCL C
    .language_version:
      - 2
      - 0
    .max_flat_workgroup_size: 841
    .name:           _ZN9rocsparseL20bsrxmvn_17_32_kernelILj29EfllaafEEvT2_20rocsparse_direction_NS_24const_host_device_scalarIT0_EES1_PKS1_PKT1_SA_S7_PKT3_PKT4_S5_PT5_21rocsparse_index_base_b
    .private_segment_fixed_size: 0
    .sgpr_count:     30
    .sgpr_spill_count: 0
    .symbol:         _ZN9rocsparseL20bsrxmvn_17_32_kernelILj29EfllaafEEvT2_20rocsparse_direction_NS_24const_host_device_scalarIT0_EES1_PKS1_PKT1_SA_S7_PKT3_PKT4_S5_PT5_21rocsparse_index_base_b.kd
    .uniform_work_group_size: 1
    .uses_dynamic_stack: false
    .vgpr_count:     15
    .vgpr_spill_count: 0
    .wavefront_size: 64
  - .args:
      - .offset:         0
        .size:           8
        .value_kind:     by_value
      - .offset:         8
        .size:           4
        .value_kind:     by_value
      - .offset:         16
        .size:           8
        .value_kind:     by_value
      - .offset:         24
        .size:           8
        .value_kind:     by_value
      - .actual_access:  read_only
        .address_space:  global
        .offset:         32
        .size:           8
        .value_kind:     global_buffer
      - .actual_access:  read_only
        .address_space:  global
        .offset:         40
        .size:           8
        .value_kind:     global_buffer
      - .actual_access:  read_only
        .address_space:  global
        .offset:         48
        .size:           8
        .value_kind:     global_buffer
      - .actual_access:  read_only
        .address_space:  global
        .offset:         56
        .size:           8
        .value_kind:     global_buffer
      - .actual_access:  read_only
        .address_space:  global
        .offset:         64
        .size:           8
        .value_kind:     global_buffer
      - .actual_access:  read_only
        .address_space:  global
        .offset:         72
        .size:           8
        .value_kind:     global_buffer
      - .offset:         80
        .size:           8
        .value_kind:     by_value
      - .address_space:  global
        .offset:         88
        .size:           8
        .value_kind:     global_buffer
      - .offset:         96
        .size:           4
        .value_kind:     by_value
      - .offset:         100
        .size:           1
        .value_kind:     by_value
    .group_segment_fixed_size: 3600
    .kernarg_segment_align: 8
    .kernarg_segment_size: 104
    .language:       OpenCL C
    .language_version:
      - 2
      - 0
    .max_flat_workgroup_size: 900
    .name:           _ZN9rocsparseL20bsrxmvn_17_32_kernelILj30EfllaafEEvT2_20rocsparse_direction_NS_24const_host_device_scalarIT0_EES1_PKS1_PKT1_SA_S7_PKT3_PKT4_S5_PT5_21rocsparse_index_base_b
    .private_segment_fixed_size: 0
    .sgpr_count:     30
    .sgpr_spill_count: 0
    .symbol:         _ZN9rocsparseL20bsrxmvn_17_32_kernelILj30EfllaafEEvT2_20rocsparse_direction_NS_24const_host_device_scalarIT0_EES1_PKS1_PKT1_SA_S7_PKT3_PKT4_S5_PT5_21rocsparse_index_base_b.kd
    .uniform_work_group_size: 1
    .uses_dynamic_stack: false
    .vgpr_count:     15
    .vgpr_spill_count: 0
    .wavefront_size: 64
  - .args:
      - .offset:         0
        .size:           8
        .value_kind:     by_value
      - .offset:         8
        .size:           4
        .value_kind:     by_value
      - .offset:         16
        .size:           8
        .value_kind:     by_value
      - .offset:         24
        .size:           8
        .value_kind:     by_value
      - .actual_access:  read_only
        .address_space:  global
        .offset:         32
        .size:           8
        .value_kind:     global_buffer
      - .actual_access:  read_only
        .address_space:  global
        .offset:         40
        .size:           8
        .value_kind:     global_buffer
      - .actual_access:  read_only
        .address_space:  global
        .offset:         48
        .size:           8
        .value_kind:     global_buffer
      - .actual_access:  read_only
        .address_space:  global
        .offset:         56
        .size:           8
        .value_kind:     global_buffer
      - .actual_access:  read_only
        .address_space:  global
        .offset:         64
        .size:           8
        .value_kind:     global_buffer
      - .actual_access:  read_only
        .address_space:  global
        .offset:         72
        .size:           8
        .value_kind:     global_buffer
      - .offset:         80
        .size:           8
        .value_kind:     by_value
      - .address_space:  global
        .offset:         88
        .size:           8
        .value_kind:     global_buffer
      - .offset:         96
        .size:           4
        .value_kind:     by_value
      - .offset:         100
        .size:           1
        .value_kind:     by_value
    .group_segment_fixed_size: 3844
    .kernarg_segment_align: 8
    .kernarg_segment_size: 104
    .language:       OpenCL C
    .language_version:
      - 2
      - 0
    .max_flat_workgroup_size: 961
    .name:           _ZN9rocsparseL20bsrxmvn_17_32_kernelILj31EfllaafEEvT2_20rocsparse_direction_NS_24const_host_device_scalarIT0_EES1_PKS1_PKT1_SA_S7_PKT3_PKT4_S5_PT5_21rocsparse_index_base_b
    .private_segment_fixed_size: 0
    .sgpr_count:     30
    .sgpr_spill_count: 0
    .symbol:         _ZN9rocsparseL20bsrxmvn_17_32_kernelILj31EfllaafEEvT2_20rocsparse_direction_NS_24const_host_device_scalarIT0_EES1_PKS1_PKT1_SA_S7_PKT3_PKT4_S5_PT5_21rocsparse_index_base_b.kd
    .uniform_work_group_size: 1
    .uses_dynamic_stack: false
    .vgpr_count:     15
    .vgpr_spill_count: 0
    .wavefront_size: 64
  - .args:
      - .offset:         0
        .size:           8
        .value_kind:     by_value
      - .offset:         8
        .size:           4
        .value_kind:     by_value
      - .offset:         16
        .size:           8
        .value_kind:     by_value
      - .offset:         24
        .size:           8
        .value_kind:     by_value
      - .actual_access:  read_only
        .address_space:  global
        .offset:         32
        .size:           8
        .value_kind:     global_buffer
      - .actual_access:  read_only
        .address_space:  global
        .offset:         40
        .size:           8
        .value_kind:     global_buffer
      - .actual_access:  read_only
        .address_space:  global
        .offset:         48
        .size:           8
        .value_kind:     global_buffer
      - .actual_access:  read_only
        .address_space:  global
        .offset:         56
        .size:           8
        .value_kind:     global_buffer
      - .actual_access:  read_only
        .address_space:  global
        .offset:         64
        .size:           8
        .value_kind:     global_buffer
      - .actual_access:  read_only
        .address_space:  global
        .offset:         72
        .size:           8
        .value_kind:     global_buffer
      - .offset:         80
        .size:           8
        .value_kind:     by_value
      - .address_space:  global
        .offset:         88
        .size:           8
        .value_kind:     global_buffer
      - .offset:         96
        .size:           4
        .value_kind:     by_value
      - .offset:         100
        .size:           1
        .value_kind:     by_value
    .group_segment_fixed_size: 4096
    .kernarg_segment_align: 8
    .kernarg_segment_size: 104
    .language:       OpenCL C
    .language_version:
      - 2
      - 0
    .max_flat_workgroup_size: 1024
    .name:           _ZN9rocsparseL20bsrxmvn_17_32_kernelILj32EfllaafEEvT2_20rocsparse_direction_NS_24const_host_device_scalarIT0_EES1_PKS1_PKT1_SA_S7_PKT3_PKT4_S5_PT5_21rocsparse_index_base_b
    .private_segment_fixed_size: 0
    .sgpr_count:     30
    .sgpr_spill_count: 0
    .symbol:         _ZN9rocsparseL20bsrxmvn_17_32_kernelILj32EfllaafEEvT2_20rocsparse_direction_NS_24const_host_device_scalarIT0_EES1_PKS1_PKT1_SA_S7_PKT3_PKT4_S5_PT5_21rocsparse_index_base_b.kd
    .uniform_work_group_size: 1
    .uses_dynamic_stack: false
    .vgpr_count:     12
    .vgpr_spill_count: 0
    .wavefront_size: 64
  - .args:
      - .offset:         0
        .size:           4
        .value_kind:     by_value
      - .offset:         4
        .size:           4
        .value_kind:     by_value
      - .offset:         8
        .size:           8
        .value_kind:     by_value
      - .offset:         16
        .size:           4
        .value_kind:     by_value
      - .actual_access:  read_only
        .address_space:  global
        .offset:         24
        .size:           8
        .value_kind:     global_buffer
      - .actual_access:  read_only
        .address_space:  global
        .offset:         32
        .size:           8
        .value_kind:     global_buffer
      - .actual_access:  read_only
        .address_space:  global
        .offset:         40
        .size:           8
        .value_kind:     global_buffer
      - .actual_access:  read_only
        .address_space:  global
        .offset:         48
        .size:           8
        .value_kind:     global_buffer
      - .actual_access:  read_only
        .address_space:  global
        .offset:         56
        .size:           8
        .value_kind:     global_buffer
      - .actual_access:  read_only
        .address_space:  global
        .offset:         64
        .size:           8
        .value_kind:     global_buffer
      - .offset:         72
        .size:           8
        .value_kind:     by_value
      - .address_space:  global
        .offset:         80
        .size:           8
        .value_kind:     global_buffer
      - .offset:         88
        .size:           4
        .value_kind:     by_value
      - .offset:         92
        .size:           1
        .value_kind:     by_value
    .group_segment_fixed_size: 1156
    .kernarg_segment_align: 8
    .kernarg_segment_size: 96
    .language:       OpenCL C
    .language_version:
      - 2
      - 0
    .max_flat_workgroup_size: 289
    .name:           _ZN9rocsparseL20bsrxmvn_17_32_kernelILj17EfiiDF16_DF16_fEEvT2_20rocsparse_direction_NS_24const_host_device_scalarIT0_EES1_PKS1_PKT1_SA_S7_PKT3_PKT4_S5_PT5_21rocsparse_index_base_b
    .private_segment_fixed_size: 0
    .sgpr_count:     26
    .sgpr_spill_count: 0
    .symbol:         _ZN9rocsparseL20bsrxmvn_17_32_kernelILj17EfiiDF16_DF16_fEEvT2_20rocsparse_direction_NS_24const_host_device_scalarIT0_EES1_PKS1_PKT1_SA_S7_PKT3_PKT4_S5_PT5_21rocsparse_index_base_b.kd
    .uniform_work_group_size: 1
    .uses_dynamic_stack: false
    .vgpr_count:     11
    .vgpr_spill_count: 0
    .wavefront_size: 64
  - .args:
      - .offset:         0
        .size:           4
        .value_kind:     by_value
      - .offset:         4
        .size:           4
        .value_kind:     by_value
      - .offset:         8
        .size:           8
        .value_kind:     by_value
      - .offset:         16
        .size:           4
        .value_kind:     by_value
      - .actual_access:  read_only
        .address_space:  global
        .offset:         24
        .size:           8
        .value_kind:     global_buffer
      - .actual_access:  read_only
        .address_space:  global
        .offset:         32
        .size:           8
        .value_kind:     global_buffer
      - .actual_access:  read_only
        .address_space:  global
        .offset:         40
        .size:           8
        .value_kind:     global_buffer
      - .actual_access:  read_only
        .address_space:  global
        .offset:         48
        .size:           8
        .value_kind:     global_buffer
      - .actual_access:  read_only
        .address_space:  global
        .offset:         56
        .size:           8
        .value_kind:     global_buffer
      - .actual_access:  read_only
        .address_space:  global
        .offset:         64
        .size:           8
        .value_kind:     global_buffer
      - .offset:         72
        .size:           8
        .value_kind:     by_value
      - .address_space:  global
        .offset:         80
        .size:           8
        .value_kind:     global_buffer
      - .offset:         88
        .size:           4
        .value_kind:     by_value
      - .offset:         92
        .size:           1
        .value_kind:     by_value
    .group_segment_fixed_size: 1296
    .kernarg_segment_align: 8
    .kernarg_segment_size: 96
    .language:       OpenCL C
    .language_version:
      - 2
      - 0
    .max_flat_workgroup_size: 324
    .name:           _ZN9rocsparseL20bsrxmvn_17_32_kernelILj18EfiiDF16_DF16_fEEvT2_20rocsparse_direction_NS_24const_host_device_scalarIT0_EES1_PKS1_PKT1_SA_S7_PKT3_PKT4_S5_PT5_21rocsparse_index_base_b
    .private_segment_fixed_size: 0
    .sgpr_count:     26
    .sgpr_spill_count: 0
    .symbol:         _ZN9rocsparseL20bsrxmvn_17_32_kernelILj18EfiiDF16_DF16_fEEvT2_20rocsparse_direction_NS_24const_host_device_scalarIT0_EES1_PKS1_PKT1_SA_S7_PKT3_PKT4_S5_PT5_21rocsparse_index_base_b.kd
    .uniform_work_group_size: 1
    .uses_dynamic_stack: false
    .vgpr_count:     11
    .vgpr_spill_count: 0
    .wavefront_size: 64
  - .args:
      - .offset:         0
        .size:           4
        .value_kind:     by_value
      - .offset:         4
        .size:           4
        .value_kind:     by_value
      - .offset:         8
        .size:           8
        .value_kind:     by_value
      - .offset:         16
        .size:           4
        .value_kind:     by_value
      - .actual_access:  read_only
        .address_space:  global
        .offset:         24
        .size:           8
        .value_kind:     global_buffer
      - .actual_access:  read_only
        .address_space:  global
        .offset:         32
        .size:           8
        .value_kind:     global_buffer
      - .actual_access:  read_only
        .address_space:  global
        .offset:         40
        .size:           8
        .value_kind:     global_buffer
      - .actual_access:  read_only
        .address_space:  global
        .offset:         48
        .size:           8
        .value_kind:     global_buffer
      - .actual_access:  read_only
        .address_space:  global
        .offset:         56
        .size:           8
        .value_kind:     global_buffer
      - .actual_access:  read_only
        .address_space:  global
        .offset:         64
        .size:           8
        .value_kind:     global_buffer
      - .offset:         72
        .size:           8
        .value_kind:     by_value
      - .address_space:  global
        .offset:         80
        .size:           8
        .value_kind:     global_buffer
      - .offset:         88
        .size:           4
        .value_kind:     by_value
      - .offset:         92
        .size:           1
        .value_kind:     by_value
    .group_segment_fixed_size: 1444
    .kernarg_segment_align: 8
    .kernarg_segment_size: 96
    .language:       OpenCL C
    .language_version:
      - 2
      - 0
    .max_flat_workgroup_size: 361
    .name:           _ZN9rocsparseL20bsrxmvn_17_32_kernelILj19EfiiDF16_DF16_fEEvT2_20rocsparse_direction_NS_24const_host_device_scalarIT0_EES1_PKS1_PKT1_SA_S7_PKT3_PKT4_S5_PT5_21rocsparse_index_base_b
    .private_segment_fixed_size: 0
    .sgpr_count:     26
    .sgpr_spill_count: 0
    .symbol:         _ZN9rocsparseL20bsrxmvn_17_32_kernelILj19EfiiDF16_DF16_fEEvT2_20rocsparse_direction_NS_24const_host_device_scalarIT0_EES1_PKS1_PKT1_SA_S7_PKT3_PKT4_S5_PT5_21rocsparse_index_base_b.kd
    .uniform_work_group_size: 1
    .uses_dynamic_stack: false
    .vgpr_count:     11
    .vgpr_spill_count: 0
    .wavefront_size: 64
  - .args:
      - .offset:         0
        .size:           4
        .value_kind:     by_value
      - .offset:         4
        .size:           4
        .value_kind:     by_value
      - .offset:         8
        .size:           8
        .value_kind:     by_value
      - .offset:         16
        .size:           4
        .value_kind:     by_value
      - .actual_access:  read_only
        .address_space:  global
        .offset:         24
        .size:           8
        .value_kind:     global_buffer
      - .actual_access:  read_only
        .address_space:  global
        .offset:         32
        .size:           8
        .value_kind:     global_buffer
      - .actual_access:  read_only
        .address_space:  global
        .offset:         40
        .size:           8
        .value_kind:     global_buffer
      - .actual_access:  read_only
        .address_space:  global
        .offset:         48
        .size:           8
        .value_kind:     global_buffer
      - .actual_access:  read_only
        .address_space:  global
        .offset:         56
        .size:           8
        .value_kind:     global_buffer
      - .actual_access:  read_only
        .address_space:  global
        .offset:         64
        .size:           8
        .value_kind:     global_buffer
      - .offset:         72
        .size:           8
        .value_kind:     by_value
      - .address_space:  global
        .offset:         80
        .size:           8
        .value_kind:     global_buffer
      - .offset:         88
        .size:           4
        .value_kind:     by_value
      - .offset:         92
        .size:           1
        .value_kind:     by_value
    .group_segment_fixed_size: 1600
    .kernarg_segment_align: 8
    .kernarg_segment_size: 96
    .language:       OpenCL C
    .language_version:
      - 2
      - 0
    .max_flat_workgroup_size: 400
    .name:           _ZN9rocsparseL20bsrxmvn_17_32_kernelILj20EfiiDF16_DF16_fEEvT2_20rocsparse_direction_NS_24const_host_device_scalarIT0_EES1_PKS1_PKT1_SA_S7_PKT3_PKT4_S5_PT5_21rocsparse_index_base_b
    .private_segment_fixed_size: 0
    .sgpr_count:     26
    .sgpr_spill_count: 0
    .symbol:         _ZN9rocsparseL20bsrxmvn_17_32_kernelILj20EfiiDF16_DF16_fEEvT2_20rocsparse_direction_NS_24const_host_device_scalarIT0_EES1_PKS1_PKT1_SA_S7_PKT3_PKT4_S5_PT5_21rocsparse_index_base_b.kd
    .uniform_work_group_size: 1
    .uses_dynamic_stack: false
    .vgpr_count:     11
    .vgpr_spill_count: 0
    .wavefront_size: 64
  - .args:
      - .offset:         0
        .size:           4
        .value_kind:     by_value
      - .offset:         4
        .size:           4
        .value_kind:     by_value
      - .offset:         8
        .size:           8
        .value_kind:     by_value
      - .offset:         16
        .size:           4
        .value_kind:     by_value
      - .actual_access:  read_only
        .address_space:  global
        .offset:         24
        .size:           8
        .value_kind:     global_buffer
      - .actual_access:  read_only
        .address_space:  global
        .offset:         32
        .size:           8
        .value_kind:     global_buffer
      - .actual_access:  read_only
        .address_space:  global
        .offset:         40
        .size:           8
        .value_kind:     global_buffer
      - .actual_access:  read_only
        .address_space:  global
        .offset:         48
        .size:           8
        .value_kind:     global_buffer
      - .actual_access:  read_only
        .address_space:  global
        .offset:         56
        .size:           8
        .value_kind:     global_buffer
      - .actual_access:  read_only
        .address_space:  global
        .offset:         64
        .size:           8
        .value_kind:     global_buffer
      - .offset:         72
        .size:           8
        .value_kind:     by_value
      - .address_space:  global
        .offset:         80
        .size:           8
        .value_kind:     global_buffer
      - .offset:         88
        .size:           4
        .value_kind:     by_value
      - .offset:         92
        .size:           1
        .value_kind:     by_value
    .group_segment_fixed_size: 1764
    .kernarg_segment_align: 8
    .kernarg_segment_size: 96
    .language:       OpenCL C
    .language_version:
      - 2
      - 0
    .max_flat_workgroup_size: 441
    .name:           _ZN9rocsparseL20bsrxmvn_17_32_kernelILj21EfiiDF16_DF16_fEEvT2_20rocsparse_direction_NS_24const_host_device_scalarIT0_EES1_PKS1_PKT1_SA_S7_PKT3_PKT4_S5_PT5_21rocsparse_index_base_b
    .private_segment_fixed_size: 0
    .sgpr_count:     26
    .sgpr_spill_count: 0
    .symbol:         _ZN9rocsparseL20bsrxmvn_17_32_kernelILj21EfiiDF16_DF16_fEEvT2_20rocsparse_direction_NS_24const_host_device_scalarIT0_EES1_PKS1_PKT1_SA_S7_PKT3_PKT4_S5_PT5_21rocsparse_index_base_b.kd
    .uniform_work_group_size: 1
    .uses_dynamic_stack: false
    .vgpr_count:     11
    .vgpr_spill_count: 0
    .wavefront_size: 64
  - .args:
      - .offset:         0
        .size:           4
        .value_kind:     by_value
      - .offset:         4
        .size:           4
        .value_kind:     by_value
      - .offset:         8
        .size:           8
        .value_kind:     by_value
      - .offset:         16
        .size:           4
        .value_kind:     by_value
      - .actual_access:  read_only
        .address_space:  global
        .offset:         24
        .size:           8
        .value_kind:     global_buffer
      - .actual_access:  read_only
        .address_space:  global
        .offset:         32
        .size:           8
        .value_kind:     global_buffer
      - .actual_access:  read_only
        .address_space:  global
        .offset:         40
        .size:           8
        .value_kind:     global_buffer
      - .actual_access:  read_only
        .address_space:  global
        .offset:         48
        .size:           8
        .value_kind:     global_buffer
      - .actual_access:  read_only
        .address_space:  global
        .offset:         56
        .size:           8
        .value_kind:     global_buffer
      - .actual_access:  read_only
        .address_space:  global
        .offset:         64
        .size:           8
        .value_kind:     global_buffer
      - .offset:         72
        .size:           8
        .value_kind:     by_value
      - .address_space:  global
        .offset:         80
        .size:           8
        .value_kind:     global_buffer
      - .offset:         88
        .size:           4
        .value_kind:     by_value
      - .offset:         92
        .size:           1
        .value_kind:     by_value
    .group_segment_fixed_size: 1936
    .kernarg_segment_align: 8
    .kernarg_segment_size: 96
    .language:       OpenCL C
    .language_version:
      - 2
      - 0
    .max_flat_workgroup_size: 484
    .name:           _ZN9rocsparseL20bsrxmvn_17_32_kernelILj22EfiiDF16_DF16_fEEvT2_20rocsparse_direction_NS_24const_host_device_scalarIT0_EES1_PKS1_PKT1_SA_S7_PKT3_PKT4_S5_PT5_21rocsparse_index_base_b
    .private_segment_fixed_size: 0
    .sgpr_count:     26
    .sgpr_spill_count: 0
    .symbol:         _ZN9rocsparseL20bsrxmvn_17_32_kernelILj22EfiiDF16_DF16_fEEvT2_20rocsparse_direction_NS_24const_host_device_scalarIT0_EES1_PKS1_PKT1_SA_S7_PKT3_PKT4_S5_PT5_21rocsparse_index_base_b.kd
    .uniform_work_group_size: 1
    .uses_dynamic_stack: false
    .vgpr_count:     11
    .vgpr_spill_count: 0
    .wavefront_size: 64
  - .args:
      - .offset:         0
        .size:           4
        .value_kind:     by_value
      - .offset:         4
        .size:           4
        .value_kind:     by_value
      - .offset:         8
        .size:           8
        .value_kind:     by_value
      - .offset:         16
        .size:           4
        .value_kind:     by_value
      - .actual_access:  read_only
        .address_space:  global
        .offset:         24
        .size:           8
        .value_kind:     global_buffer
      - .actual_access:  read_only
        .address_space:  global
        .offset:         32
        .size:           8
        .value_kind:     global_buffer
      - .actual_access:  read_only
        .address_space:  global
        .offset:         40
        .size:           8
        .value_kind:     global_buffer
      - .actual_access:  read_only
        .address_space:  global
        .offset:         48
        .size:           8
        .value_kind:     global_buffer
      - .actual_access:  read_only
        .address_space:  global
        .offset:         56
        .size:           8
        .value_kind:     global_buffer
      - .actual_access:  read_only
        .address_space:  global
        .offset:         64
        .size:           8
        .value_kind:     global_buffer
      - .offset:         72
        .size:           8
        .value_kind:     by_value
      - .address_space:  global
        .offset:         80
        .size:           8
        .value_kind:     global_buffer
      - .offset:         88
        .size:           4
        .value_kind:     by_value
      - .offset:         92
        .size:           1
        .value_kind:     by_value
    .group_segment_fixed_size: 2116
    .kernarg_segment_align: 8
    .kernarg_segment_size: 96
    .language:       OpenCL C
    .language_version:
      - 2
      - 0
    .max_flat_workgroup_size: 529
    .name:           _ZN9rocsparseL20bsrxmvn_17_32_kernelILj23EfiiDF16_DF16_fEEvT2_20rocsparse_direction_NS_24const_host_device_scalarIT0_EES1_PKS1_PKT1_SA_S7_PKT3_PKT4_S5_PT5_21rocsparse_index_base_b
    .private_segment_fixed_size: 0
    .sgpr_count:     26
    .sgpr_spill_count: 0
    .symbol:         _ZN9rocsparseL20bsrxmvn_17_32_kernelILj23EfiiDF16_DF16_fEEvT2_20rocsparse_direction_NS_24const_host_device_scalarIT0_EES1_PKS1_PKT1_SA_S7_PKT3_PKT4_S5_PT5_21rocsparse_index_base_b.kd
    .uniform_work_group_size: 1
    .uses_dynamic_stack: false
    .vgpr_count:     11
    .vgpr_spill_count: 0
    .wavefront_size: 64
  - .args:
      - .offset:         0
        .size:           4
        .value_kind:     by_value
      - .offset:         4
        .size:           4
        .value_kind:     by_value
      - .offset:         8
        .size:           8
        .value_kind:     by_value
      - .offset:         16
        .size:           4
        .value_kind:     by_value
      - .actual_access:  read_only
        .address_space:  global
        .offset:         24
        .size:           8
        .value_kind:     global_buffer
      - .actual_access:  read_only
        .address_space:  global
        .offset:         32
        .size:           8
        .value_kind:     global_buffer
      - .actual_access:  read_only
        .address_space:  global
        .offset:         40
        .size:           8
        .value_kind:     global_buffer
      - .actual_access:  read_only
        .address_space:  global
        .offset:         48
        .size:           8
        .value_kind:     global_buffer
      - .actual_access:  read_only
        .address_space:  global
        .offset:         56
        .size:           8
        .value_kind:     global_buffer
      - .actual_access:  read_only
        .address_space:  global
        .offset:         64
        .size:           8
        .value_kind:     global_buffer
      - .offset:         72
        .size:           8
        .value_kind:     by_value
      - .address_space:  global
        .offset:         80
        .size:           8
        .value_kind:     global_buffer
      - .offset:         88
        .size:           4
        .value_kind:     by_value
      - .offset:         92
        .size:           1
        .value_kind:     by_value
    .group_segment_fixed_size: 2304
    .kernarg_segment_align: 8
    .kernarg_segment_size: 96
    .language:       OpenCL C
    .language_version:
      - 2
      - 0
    .max_flat_workgroup_size: 576
    .name:           _ZN9rocsparseL20bsrxmvn_17_32_kernelILj24EfiiDF16_DF16_fEEvT2_20rocsparse_direction_NS_24const_host_device_scalarIT0_EES1_PKS1_PKT1_SA_S7_PKT3_PKT4_S5_PT5_21rocsparse_index_base_b
    .private_segment_fixed_size: 0
    .sgpr_count:     26
    .sgpr_spill_count: 0
    .symbol:         _ZN9rocsparseL20bsrxmvn_17_32_kernelILj24EfiiDF16_DF16_fEEvT2_20rocsparse_direction_NS_24const_host_device_scalarIT0_EES1_PKS1_PKT1_SA_S7_PKT3_PKT4_S5_PT5_21rocsparse_index_base_b.kd
    .uniform_work_group_size: 1
    .uses_dynamic_stack: false
    .vgpr_count:     11
    .vgpr_spill_count: 0
    .wavefront_size: 64
  - .args:
      - .offset:         0
        .size:           4
        .value_kind:     by_value
      - .offset:         4
        .size:           4
        .value_kind:     by_value
      - .offset:         8
        .size:           8
        .value_kind:     by_value
      - .offset:         16
        .size:           4
        .value_kind:     by_value
      - .actual_access:  read_only
        .address_space:  global
        .offset:         24
        .size:           8
        .value_kind:     global_buffer
      - .actual_access:  read_only
        .address_space:  global
        .offset:         32
        .size:           8
        .value_kind:     global_buffer
      - .actual_access:  read_only
        .address_space:  global
        .offset:         40
        .size:           8
        .value_kind:     global_buffer
      - .actual_access:  read_only
        .address_space:  global
        .offset:         48
        .size:           8
        .value_kind:     global_buffer
      - .actual_access:  read_only
        .address_space:  global
        .offset:         56
        .size:           8
        .value_kind:     global_buffer
      - .actual_access:  read_only
        .address_space:  global
        .offset:         64
        .size:           8
        .value_kind:     global_buffer
      - .offset:         72
        .size:           8
        .value_kind:     by_value
      - .address_space:  global
        .offset:         80
        .size:           8
        .value_kind:     global_buffer
      - .offset:         88
        .size:           4
        .value_kind:     by_value
      - .offset:         92
        .size:           1
        .value_kind:     by_value
    .group_segment_fixed_size: 2500
    .kernarg_segment_align: 8
    .kernarg_segment_size: 96
    .language:       OpenCL C
    .language_version:
      - 2
      - 0
    .max_flat_workgroup_size: 625
    .name:           _ZN9rocsparseL20bsrxmvn_17_32_kernelILj25EfiiDF16_DF16_fEEvT2_20rocsparse_direction_NS_24const_host_device_scalarIT0_EES1_PKS1_PKT1_SA_S7_PKT3_PKT4_S5_PT5_21rocsparse_index_base_b
    .private_segment_fixed_size: 0
    .sgpr_count:     26
    .sgpr_spill_count: 0
    .symbol:         _ZN9rocsparseL20bsrxmvn_17_32_kernelILj25EfiiDF16_DF16_fEEvT2_20rocsparse_direction_NS_24const_host_device_scalarIT0_EES1_PKS1_PKT1_SA_S7_PKT3_PKT4_S5_PT5_21rocsparse_index_base_b.kd
    .uniform_work_group_size: 1
    .uses_dynamic_stack: false
    .vgpr_count:     11
    .vgpr_spill_count: 0
    .wavefront_size: 64
  - .args:
      - .offset:         0
        .size:           4
        .value_kind:     by_value
      - .offset:         4
        .size:           4
        .value_kind:     by_value
      - .offset:         8
        .size:           8
        .value_kind:     by_value
      - .offset:         16
        .size:           4
        .value_kind:     by_value
      - .actual_access:  read_only
        .address_space:  global
        .offset:         24
        .size:           8
        .value_kind:     global_buffer
      - .actual_access:  read_only
        .address_space:  global
        .offset:         32
        .size:           8
        .value_kind:     global_buffer
      - .actual_access:  read_only
        .address_space:  global
        .offset:         40
        .size:           8
        .value_kind:     global_buffer
      - .actual_access:  read_only
        .address_space:  global
        .offset:         48
        .size:           8
        .value_kind:     global_buffer
      - .actual_access:  read_only
        .address_space:  global
        .offset:         56
        .size:           8
        .value_kind:     global_buffer
      - .actual_access:  read_only
        .address_space:  global
        .offset:         64
        .size:           8
        .value_kind:     global_buffer
      - .offset:         72
        .size:           8
        .value_kind:     by_value
      - .address_space:  global
        .offset:         80
        .size:           8
        .value_kind:     global_buffer
      - .offset:         88
        .size:           4
        .value_kind:     by_value
      - .offset:         92
        .size:           1
        .value_kind:     by_value
    .group_segment_fixed_size: 2704
    .kernarg_segment_align: 8
    .kernarg_segment_size: 96
    .language:       OpenCL C
    .language_version:
      - 2
      - 0
    .max_flat_workgroup_size: 676
    .name:           _ZN9rocsparseL20bsrxmvn_17_32_kernelILj26EfiiDF16_DF16_fEEvT2_20rocsparse_direction_NS_24const_host_device_scalarIT0_EES1_PKS1_PKT1_SA_S7_PKT3_PKT4_S5_PT5_21rocsparse_index_base_b
    .private_segment_fixed_size: 0
    .sgpr_count:     26
    .sgpr_spill_count: 0
    .symbol:         _ZN9rocsparseL20bsrxmvn_17_32_kernelILj26EfiiDF16_DF16_fEEvT2_20rocsparse_direction_NS_24const_host_device_scalarIT0_EES1_PKS1_PKT1_SA_S7_PKT3_PKT4_S5_PT5_21rocsparse_index_base_b.kd
    .uniform_work_group_size: 1
    .uses_dynamic_stack: false
    .vgpr_count:     11
    .vgpr_spill_count: 0
    .wavefront_size: 64
  - .args:
      - .offset:         0
        .size:           4
        .value_kind:     by_value
      - .offset:         4
        .size:           4
        .value_kind:     by_value
      - .offset:         8
        .size:           8
        .value_kind:     by_value
      - .offset:         16
        .size:           4
        .value_kind:     by_value
      - .actual_access:  read_only
        .address_space:  global
        .offset:         24
        .size:           8
        .value_kind:     global_buffer
      - .actual_access:  read_only
        .address_space:  global
        .offset:         32
        .size:           8
        .value_kind:     global_buffer
      - .actual_access:  read_only
        .address_space:  global
        .offset:         40
        .size:           8
        .value_kind:     global_buffer
      - .actual_access:  read_only
        .address_space:  global
        .offset:         48
        .size:           8
        .value_kind:     global_buffer
      - .actual_access:  read_only
        .address_space:  global
        .offset:         56
        .size:           8
        .value_kind:     global_buffer
      - .actual_access:  read_only
        .address_space:  global
        .offset:         64
        .size:           8
        .value_kind:     global_buffer
      - .offset:         72
        .size:           8
        .value_kind:     by_value
      - .address_space:  global
        .offset:         80
        .size:           8
        .value_kind:     global_buffer
      - .offset:         88
        .size:           4
        .value_kind:     by_value
      - .offset:         92
        .size:           1
        .value_kind:     by_value
    .group_segment_fixed_size: 2916
    .kernarg_segment_align: 8
    .kernarg_segment_size: 96
    .language:       OpenCL C
    .language_version:
      - 2
      - 0
    .max_flat_workgroup_size: 729
    .name:           _ZN9rocsparseL20bsrxmvn_17_32_kernelILj27EfiiDF16_DF16_fEEvT2_20rocsparse_direction_NS_24const_host_device_scalarIT0_EES1_PKS1_PKT1_SA_S7_PKT3_PKT4_S5_PT5_21rocsparse_index_base_b
    .private_segment_fixed_size: 0
    .sgpr_count:     26
    .sgpr_spill_count: 0
    .symbol:         _ZN9rocsparseL20bsrxmvn_17_32_kernelILj27EfiiDF16_DF16_fEEvT2_20rocsparse_direction_NS_24const_host_device_scalarIT0_EES1_PKS1_PKT1_SA_S7_PKT3_PKT4_S5_PT5_21rocsparse_index_base_b.kd
    .uniform_work_group_size: 1
    .uses_dynamic_stack: false
    .vgpr_count:     11
    .vgpr_spill_count: 0
    .wavefront_size: 64
  - .args:
      - .offset:         0
        .size:           4
        .value_kind:     by_value
      - .offset:         4
        .size:           4
        .value_kind:     by_value
      - .offset:         8
        .size:           8
        .value_kind:     by_value
      - .offset:         16
        .size:           4
        .value_kind:     by_value
      - .actual_access:  read_only
        .address_space:  global
        .offset:         24
        .size:           8
        .value_kind:     global_buffer
      - .actual_access:  read_only
        .address_space:  global
        .offset:         32
        .size:           8
        .value_kind:     global_buffer
      - .actual_access:  read_only
        .address_space:  global
        .offset:         40
        .size:           8
        .value_kind:     global_buffer
      - .actual_access:  read_only
        .address_space:  global
        .offset:         48
        .size:           8
        .value_kind:     global_buffer
      - .actual_access:  read_only
        .address_space:  global
        .offset:         56
        .size:           8
        .value_kind:     global_buffer
      - .actual_access:  read_only
        .address_space:  global
        .offset:         64
        .size:           8
        .value_kind:     global_buffer
      - .offset:         72
        .size:           8
        .value_kind:     by_value
      - .address_space:  global
        .offset:         80
        .size:           8
        .value_kind:     global_buffer
      - .offset:         88
        .size:           4
        .value_kind:     by_value
      - .offset:         92
        .size:           1
        .value_kind:     by_value
    .group_segment_fixed_size: 3136
    .kernarg_segment_align: 8
    .kernarg_segment_size: 96
    .language:       OpenCL C
    .language_version:
      - 2
      - 0
    .max_flat_workgroup_size: 784
    .name:           _ZN9rocsparseL20bsrxmvn_17_32_kernelILj28EfiiDF16_DF16_fEEvT2_20rocsparse_direction_NS_24const_host_device_scalarIT0_EES1_PKS1_PKT1_SA_S7_PKT3_PKT4_S5_PT5_21rocsparse_index_base_b
    .private_segment_fixed_size: 0
    .sgpr_count:     26
    .sgpr_spill_count: 0
    .symbol:         _ZN9rocsparseL20bsrxmvn_17_32_kernelILj28EfiiDF16_DF16_fEEvT2_20rocsparse_direction_NS_24const_host_device_scalarIT0_EES1_PKS1_PKT1_SA_S7_PKT3_PKT4_S5_PT5_21rocsparse_index_base_b.kd
    .uniform_work_group_size: 1
    .uses_dynamic_stack: false
    .vgpr_count:     11
    .vgpr_spill_count: 0
    .wavefront_size: 64
  - .args:
      - .offset:         0
        .size:           4
        .value_kind:     by_value
      - .offset:         4
        .size:           4
        .value_kind:     by_value
      - .offset:         8
        .size:           8
        .value_kind:     by_value
      - .offset:         16
        .size:           4
        .value_kind:     by_value
      - .actual_access:  read_only
        .address_space:  global
        .offset:         24
        .size:           8
        .value_kind:     global_buffer
      - .actual_access:  read_only
        .address_space:  global
        .offset:         32
        .size:           8
        .value_kind:     global_buffer
      - .actual_access:  read_only
        .address_space:  global
        .offset:         40
        .size:           8
        .value_kind:     global_buffer
      - .actual_access:  read_only
        .address_space:  global
        .offset:         48
        .size:           8
        .value_kind:     global_buffer
      - .actual_access:  read_only
        .address_space:  global
        .offset:         56
        .size:           8
        .value_kind:     global_buffer
      - .actual_access:  read_only
        .address_space:  global
        .offset:         64
        .size:           8
        .value_kind:     global_buffer
      - .offset:         72
        .size:           8
        .value_kind:     by_value
      - .address_space:  global
        .offset:         80
        .size:           8
        .value_kind:     global_buffer
      - .offset:         88
        .size:           4
        .value_kind:     by_value
      - .offset:         92
        .size:           1
        .value_kind:     by_value
    .group_segment_fixed_size: 3364
    .kernarg_segment_align: 8
    .kernarg_segment_size: 96
    .language:       OpenCL C
    .language_version:
      - 2
      - 0
    .max_flat_workgroup_size: 841
    .name:           _ZN9rocsparseL20bsrxmvn_17_32_kernelILj29EfiiDF16_DF16_fEEvT2_20rocsparse_direction_NS_24const_host_device_scalarIT0_EES1_PKS1_PKT1_SA_S7_PKT3_PKT4_S5_PT5_21rocsparse_index_base_b
    .private_segment_fixed_size: 0
    .sgpr_count:     26
    .sgpr_spill_count: 0
    .symbol:         _ZN9rocsparseL20bsrxmvn_17_32_kernelILj29EfiiDF16_DF16_fEEvT2_20rocsparse_direction_NS_24const_host_device_scalarIT0_EES1_PKS1_PKT1_SA_S7_PKT3_PKT4_S5_PT5_21rocsparse_index_base_b.kd
    .uniform_work_group_size: 1
    .uses_dynamic_stack: false
    .vgpr_count:     11
    .vgpr_spill_count: 0
    .wavefront_size: 64
  - .args:
      - .offset:         0
        .size:           4
        .value_kind:     by_value
      - .offset:         4
        .size:           4
        .value_kind:     by_value
      - .offset:         8
        .size:           8
        .value_kind:     by_value
      - .offset:         16
        .size:           4
        .value_kind:     by_value
      - .actual_access:  read_only
        .address_space:  global
        .offset:         24
        .size:           8
        .value_kind:     global_buffer
      - .actual_access:  read_only
        .address_space:  global
        .offset:         32
        .size:           8
        .value_kind:     global_buffer
      - .actual_access:  read_only
        .address_space:  global
        .offset:         40
        .size:           8
        .value_kind:     global_buffer
      - .actual_access:  read_only
        .address_space:  global
        .offset:         48
        .size:           8
        .value_kind:     global_buffer
      - .actual_access:  read_only
        .address_space:  global
        .offset:         56
        .size:           8
        .value_kind:     global_buffer
      - .actual_access:  read_only
        .address_space:  global
        .offset:         64
        .size:           8
        .value_kind:     global_buffer
      - .offset:         72
        .size:           8
        .value_kind:     by_value
      - .address_space:  global
        .offset:         80
        .size:           8
        .value_kind:     global_buffer
      - .offset:         88
        .size:           4
        .value_kind:     by_value
      - .offset:         92
        .size:           1
        .value_kind:     by_value
    .group_segment_fixed_size: 3600
    .kernarg_segment_align: 8
    .kernarg_segment_size: 96
    .language:       OpenCL C
    .language_version:
      - 2
      - 0
    .max_flat_workgroup_size: 900
    .name:           _ZN9rocsparseL20bsrxmvn_17_32_kernelILj30EfiiDF16_DF16_fEEvT2_20rocsparse_direction_NS_24const_host_device_scalarIT0_EES1_PKS1_PKT1_SA_S7_PKT3_PKT4_S5_PT5_21rocsparse_index_base_b
    .private_segment_fixed_size: 0
    .sgpr_count:     26
    .sgpr_spill_count: 0
    .symbol:         _ZN9rocsparseL20bsrxmvn_17_32_kernelILj30EfiiDF16_DF16_fEEvT2_20rocsparse_direction_NS_24const_host_device_scalarIT0_EES1_PKS1_PKT1_SA_S7_PKT3_PKT4_S5_PT5_21rocsparse_index_base_b.kd
    .uniform_work_group_size: 1
    .uses_dynamic_stack: false
    .vgpr_count:     11
    .vgpr_spill_count: 0
    .wavefront_size: 64
  - .args:
      - .offset:         0
        .size:           4
        .value_kind:     by_value
      - .offset:         4
        .size:           4
        .value_kind:     by_value
      - .offset:         8
        .size:           8
        .value_kind:     by_value
      - .offset:         16
        .size:           4
        .value_kind:     by_value
      - .actual_access:  read_only
        .address_space:  global
        .offset:         24
        .size:           8
        .value_kind:     global_buffer
      - .actual_access:  read_only
        .address_space:  global
        .offset:         32
        .size:           8
        .value_kind:     global_buffer
      - .actual_access:  read_only
        .address_space:  global
        .offset:         40
        .size:           8
        .value_kind:     global_buffer
      - .actual_access:  read_only
        .address_space:  global
        .offset:         48
        .size:           8
        .value_kind:     global_buffer
      - .actual_access:  read_only
        .address_space:  global
        .offset:         56
        .size:           8
        .value_kind:     global_buffer
      - .actual_access:  read_only
        .address_space:  global
        .offset:         64
        .size:           8
        .value_kind:     global_buffer
      - .offset:         72
        .size:           8
        .value_kind:     by_value
      - .address_space:  global
        .offset:         80
        .size:           8
        .value_kind:     global_buffer
      - .offset:         88
        .size:           4
        .value_kind:     by_value
      - .offset:         92
        .size:           1
        .value_kind:     by_value
    .group_segment_fixed_size: 3844
    .kernarg_segment_align: 8
    .kernarg_segment_size: 96
    .language:       OpenCL C
    .language_version:
      - 2
      - 0
    .max_flat_workgroup_size: 961
    .name:           _ZN9rocsparseL20bsrxmvn_17_32_kernelILj31EfiiDF16_DF16_fEEvT2_20rocsparse_direction_NS_24const_host_device_scalarIT0_EES1_PKS1_PKT1_SA_S7_PKT3_PKT4_S5_PT5_21rocsparse_index_base_b
    .private_segment_fixed_size: 0
    .sgpr_count:     26
    .sgpr_spill_count: 0
    .symbol:         _ZN9rocsparseL20bsrxmvn_17_32_kernelILj31EfiiDF16_DF16_fEEvT2_20rocsparse_direction_NS_24const_host_device_scalarIT0_EES1_PKS1_PKT1_SA_S7_PKT3_PKT4_S5_PT5_21rocsparse_index_base_b.kd
    .uniform_work_group_size: 1
    .uses_dynamic_stack: false
    .vgpr_count:     11
    .vgpr_spill_count: 0
    .wavefront_size: 64
  - .args:
      - .offset:         0
        .size:           4
        .value_kind:     by_value
      - .offset:         4
        .size:           4
        .value_kind:     by_value
      - .offset:         8
        .size:           8
        .value_kind:     by_value
      - .offset:         16
        .size:           4
        .value_kind:     by_value
      - .actual_access:  read_only
        .address_space:  global
        .offset:         24
        .size:           8
        .value_kind:     global_buffer
      - .actual_access:  read_only
        .address_space:  global
        .offset:         32
        .size:           8
        .value_kind:     global_buffer
      - .actual_access:  read_only
        .address_space:  global
        .offset:         40
        .size:           8
        .value_kind:     global_buffer
      - .actual_access:  read_only
        .address_space:  global
        .offset:         48
        .size:           8
        .value_kind:     global_buffer
      - .actual_access:  read_only
        .address_space:  global
        .offset:         56
        .size:           8
        .value_kind:     global_buffer
      - .actual_access:  read_only
        .address_space:  global
        .offset:         64
        .size:           8
        .value_kind:     global_buffer
      - .offset:         72
        .size:           8
        .value_kind:     by_value
      - .address_space:  global
        .offset:         80
        .size:           8
        .value_kind:     global_buffer
      - .offset:         88
        .size:           4
        .value_kind:     by_value
      - .offset:         92
        .size:           1
        .value_kind:     by_value
    .group_segment_fixed_size: 4096
    .kernarg_segment_align: 8
    .kernarg_segment_size: 96
    .language:       OpenCL C
    .language_version:
      - 2
      - 0
    .max_flat_workgroup_size: 1024
    .name:           _ZN9rocsparseL20bsrxmvn_17_32_kernelILj32EfiiDF16_DF16_fEEvT2_20rocsparse_direction_NS_24const_host_device_scalarIT0_EES1_PKS1_PKT1_SA_S7_PKT3_PKT4_S5_PT5_21rocsparse_index_base_b
    .private_segment_fixed_size: 0
    .sgpr_count:     26
    .sgpr_spill_count: 0
    .symbol:         _ZN9rocsparseL20bsrxmvn_17_32_kernelILj32EfiiDF16_DF16_fEEvT2_20rocsparse_direction_NS_24const_host_device_scalarIT0_EES1_PKS1_PKT1_SA_S7_PKT3_PKT4_S5_PT5_21rocsparse_index_base_b.kd
    .uniform_work_group_size: 1
    .uses_dynamic_stack: false
    .vgpr_count:     10
    .vgpr_spill_count: 0
    .wavefront_size: 64
  - .args:
      - .offset:         0
        .size:           4
        .value_kind:     by_value
      - .offset:         4
        .size:           4
        .value_kind:     by_value
      - .offset:         8
        .size:           8
        .value_kind:     by_value
      - .offset:         16
        .size:           4
        .value_kind:     by_value
      - .actual_access:  read_only
        .address_space:  global
        .offset:         24
        .size:           8
        .value_kind:     global_buffer
      - .actual_access:  read_only
        .address_space:  global
        .offset:         32
        .size:           8
        .value_kind:     global_buffer
      - .actual_access:  read_only
        .address_space:  global
        .offset:         40
        .size:           8
        .value_kind:     global_buffer
      - .actual_access:  read_only
        .address_space:  global
        .offset:         48
        .size:           8
        .value_kind:     global_buffer
      - .actual_access:  read_only
        .address_space:  global
        .offset:         56
        .size:           8
        .value_kind:     global_buffer
      - .actual_access:  read_only
        .address_space:  global
        .offset:         64
        .size:           8
        .value_kind:     global_buffer
      - .offset:         72
        .size:           8
        .value_kind:     by_value
      - .address_space:  global
        .offset:         80
        .size:           8
        .value_kind:     global_buffer
      - .offset:         88
        .size:           4
        .value_kind:     by_value
      - .offset:         92
        .size:           1
        .value_kind:     by_value
    .group_segment_fixed_size: 1156
    .kernarg_segment_align: 8
    .kernarg_segment_size: 96
    .language:       OpenCL C
    .language_version:
      - 2
      - 0
    .max_flat_workgroup_size: 289
    .name:           _ZN9rocsparseL20bsrxmvn_17_32_kernelILj17EfliDF16_DF16_fEEvT2_20rocsparse_direction_NS_24const_host_device_scalarIT0_EES1_PKS1_PKT1_SA_S7_PKT3_PKT4_S5_PT5_21rocsparse_index_base_b
    .private_segment_fixed_size: 0
    .sgpr_count:     30
    .sgpr_spill_count: 0
    .symbol:         _ZN9rocsparseL20bsrxmvn_17_32_kernelILj17EfliDF16_DF16_fEEvT2_20rocsparse_direction_NS_24const_host_device_scalarIT0_EES1_PKS1_PKT1_SA_S7_PKT3_PKT4_S5_PT5_21rocsparse_index_base_b.kd
    .uniform_work_group_size: 1
    .uses_dynamic_stack: false
    .vgpr_count:     13
    .vgpr_spill_count: 0
    .wavefront_size: 64
  - .args:
      - .offset:         0
        .size:           4
        .value_kind:     by_value
      - .offset:         4
        .size:           4
        .value_kind:     by_value
      - .offset:         8
        .size:           8
        .value_kind:     by_value
      - .offset:         16
        .size:           4
        .value_kind:     by_value
      - .actual_access:  read_only
        .address_space:  global
        .offset:         24
        .size:           8
        .value_kind:     global_buffer
      - .actual_access:  read_only
        .address_space:  global
        .offset:         32
        .size:           8
        .value_kind:     global_buffer
      - .actual_access:  read_only
        .address_space:  global
        .offset:         40
        .size:           8
        .value_kind:     global_buffer
      - .actual_access:  read_only
        .address_space:  global
        .offset:         48
        .size:           8
        .value_kind:     global_buffer
      - .actual_access:  read_only
        .address_space:  global
        .offset:         56
        .size:           8
        .value_kind:     global_buffer
      - .actual_access:  read_only
        .address_space:  global
        .offset:         64
        .size:           8
        .value_kind:     global_buffer
      - .offset:         72
        .size:           8
        .value_kind:     by_value
      - .address_space:  global
        .offset:         80
        .size:           8
        .value_kind:     global_buffer
      - .offset:         88
        .size:           4
        .value_kind:     by_value
      - .offset:         92
        .size:           1
        .value_kind:     by_value
    .group_segment_fixed_size: 1296
    .kernarg_segment_align: 8
    .kernarg_segment_size: 96
    .language:       OpenCL C
    .language_version:
      - 2
      - 0
    .max_flat_workgroup_size: 324
    .name:           _ZN9rocsparseL20bsrxmvn_17_32_kernelILj18EfliDF16_DF16_fEEvT2_20rocsparse_direction_NS_24const_host_device_scalarIT0_EES1_PKS1_PKT1_SA_S7_PKT3_PKT4_S5_PT5_21rocsparse_index_base_b
    .private_segment_fixed_size: 0
    .sgpr_count:     30
    .sgpr_spill_count: 0
    .symbol:         _ZN9rocsparseL20bsrxmvn_17_32_kernelILj18EfliDF16_DF16_fEEvT2_20rocsparse_direction_NS_24const_host_device_scalarIT0_EES1_PKS1_PKT1_SA_S7_PKT3_PKT4_S5_PT5_21rocsparse_index_base_b.kd
    .uniform_work_group_size: 1
    .uses_dynamic_stack: false
    .vgpr_count:     13
    .vgpr_spill_count: 0
    .wavefront_size: 64
  - .args:
      - .offset:         0
        .size:           4
        .value_kind:     by_value
      - .offset:         4
        .size:           4
        .value_kind:     by_value
      - .offset:         8
        .size:           8
        .value_kind:     by_value
      - .offset:         16
        .size:           4
        .value_kind:     by_value
      - .actual_access:  read_only
        .address_space:  global
        .offset:         24
        .size:           8
        .value_kind:     global_buffer
      - .actual_access:  read_only
        .address_space:  global
        .offset:         32
        .size:           8
        .value_kind:     global_buffer
      - .actual_access:  read_only
        .address_space:  global
        .offset:         40
        .size:           8
        .value_kind:     global_buffer
      - .actual_access:  read_only
        .address_space:  global
        .offset:         48
        .size:           8
        .value_kind:     global_buffer
      - .actual_access:  read_only
        .address_space:  global
        .offset:         56
        .size:           8
        .value_kind:     global_buffer
      - .actual_access:  read_only
        .address_space:  global
        .offset:         64
        .size:           8
        .value_kind:     global_buffer
      - .offset:         72
        .size:           8
        .value_kind:     by_value
      - .address_space:  global
        .offset:         80
        .size:           8
        .value_kind:     global_buffer
      - .offset:         88
        .size:           4
        .value_kind:     by_value
      - .offset:         92
        .size:           1
        .value_kind:     by_value
    .group_segment_fixed_size: 1444
    .kernarg_segment_align: 8
    .kernarg_segment_size: 96
    .language:       OpenCL C
    .language_version:
      - 2
      - 0
    .max_flat_workgroup_size: 361
    .name:           _ZN9rocsparseL20bsrxmvn_17_32_kernelILj19EfliDF16_DF16_fEEvT2_20rocsparse_direction_NS_24const_host_device_scalarIT0_EES1_PKS1_PKT1_SA_S7_PKT3_PKT4_S5_PT5_21rocsparse_index_base_b
    .private_segment_fixed_size: 0
    .sgpr_count:     30
    .sgpr_spill_count: 0
    .symbol:         _ZN9rocsparseL20bsrxmvn_17_32_kernelILj19EfliDF16_DF16_fEEvT2_20rocsparse_direction_NS_24const_host_device_scalarIT0_EES1_PKS1_PKT1_SA_S7_PKT3_PKT4_S5_PT5_21rocsparse_index_base_b.kd
    .uniform_work_group_size: 1
    .uses_dynamic_stack: false
    .vgpr_count:     13
    .vgpr_spill_count: 0
    .wavefront_size: 64
  - .args:
      - .offset:         0
        .size:           4
        .value_kind:     by_value
      - .offset:         4
        .size:           4
        .value_kind:     by_value
      - .offset:         8
        .size:           8
        .value_kind:     by_value
      - .offset:         16
        .size:           4
        .value_kind:     by_value
      - .actual_access:  read_only
        .address_space:  global
        .offset:         24
        .size:           8
        .value_kind:     global_buffer
      - .actual_access:  read_only
        .address_space:  global
        .offset:         32
        .size:           8
        .value_kind:     global_buffer
      - .actual_access:  read_only
        .address_space:  global
        .offset:         40
        .size:           8
        .value_kind:     global_buffer
      - .actual_access:  read_only
        .address_space:  global
        .offset:         48
        .size:           8
        .value_kind:     global_buffer
      - .actual_access:  read_only
        .address_space:  global
        .offset:         56
        .size:           8
        .value_kind:     global_buffer
      - .actual_access:  read_only
        .address_space:  global
        .offset:         64
        .size:           8
        .value_kind:     global_buffer
      - .offset:         72
        .size:           8
        .value_kind:     by_value
      - .address_space:  global
        .offset:         80
        .size:           8
        .value_kind:     global_buffer
      - .offset:         88
        .size:           4
        .value_kind:     by_value
      - .offset:         92
        .size:           1
        .value_kind:     by_value
    .group_segment_fixed_size: 1600
    .kernarg_segment_align: 8
    .kernarg_segment_size: 96
    .language:       OpenCL C
    .language_version:
      - 2
      - 0
    .max_flat_workgroup_size: 400
    .name:           _ZN9rocsparseL20bsrxmvn_17_32_kernelILj20EfliDF16_DF16_fEEvT2_20rocsparse_direction_NS_24const_host_device_scalarIT0_EES1_PKS1_PKT1_SA_S7_PKT3_PKT4_S5_PT5_21rocsparse_index_base_b
    .private_segment_fixed_size: 0
    .sgpr_count:     30
    .sgpr_spill_count: 0
    .symbol:         _ZN9rocsparseL20bsrxmvn_17_32_kernelILj20EfliDF16_DF16_fEEvT2_20rocsparse_direction_NS_24const_host_device_scalarIT0_EES1_PKS1_PKT1_SA_S7_PKT3_PKT4_S5_PT5_21rocsparse_index_base_b.kd
    .uniform_work_group_size: 1
    .uses_dynamic_stack: false
    .vgpr_count:     13
    .vgpr_spill_count: 0
    .wavefront_size: 64
  - .args:
      - .offset:         0
        .size:           4
        .value_kind:     by_value
      - .offset:         4
        .size:           4
        .value_kind:     by_value
      - .offset:         8
        .size:           8
        .value_kind:     by_value
      - .offset:         16
        .size:           4
        .value_kind:     by_value
      - .actual_access:  read_only
        .address_space:  global
        .offset:         24
        .size:           8
        .value_kind:     global_buffer
      - .actual_access:  read_only
        .address_space:  global
        .offset:         32
        .size:           8
        .value_kind:     global_buffer
      - .actual_access:  read_only
        .address_space:  global
        .offset:         40
        .size:           8
        .value_kind:     global_buffer
      - .actual_access:  read_only
        .address_space:  global
        .offset:         48
        .size:           8
        .value_kind:     global_buffer
      - .actual_access:  read_only
        .address_space:  global
        .offset:         56
        .size:           8
        .value_kind:     global_buffer
      - .actual_access:  read_only
        .address_space:  global
        .offset:         64
        .size:           8
        .value_kind:     global_buffer
      - .offset:         72
        .size:           8
        .value_kind:     by_value
      - .address_space:  global
        .offset:         80
        .size:           8
        .value_kind:     global_buffer
      - .offset:         88
        .size:           4
        .value_kind:     by_value
      - .offset:         92
        .size:           1
        .value_kind:     by_value
    .group_segment_fixed_size: 1764
    .kernarg_segment_align: 8
    .kernarg_segment_size: 96
    .language:       OpenCL C
    .language_version:
      - 2
      - 0
    .max_flat_workgroup_size: 441
    .name:           _ZN9rocsparseL20bsrxmvn_17_32_kernelILj21EfliDF16_DF16_fEEvT2_20rocsparse_direction_NS_24const_host_device_scalarIT0_EES1_PKS1_PKT1_SA_S7_PKT3_PKT4_S5_PT5_21rocsparse_index_base_b
    .private_segment_fixed_size: 0
    .sgpr_count:     30
    .sgpr_spill_count: 0
    .symbol:         _ZN9rocsparseL20bsrxmvn_17_32_kernelILj21EfliDF16_DF16_fEEvT2_20rocsparse_direction_NS_24const_host_device_scalarIT0_EES1_PKS1_PKT1_SA_S7_PKT3_PKT4_S5_PT5_21rocsparse_index_base_b.kd
    .uniform_work_group_size: 1
    .uses_dynamic_stack: false
    .vgpr_count:     13
    .vgpr_spill_count: 0
    .wavefront_size: 64
  - .args:
      - .offset:         0
        .size:           4
        .value_kind:     by_value
      - .offset:         4
        .size:           4
        .value_kind:     by_value
      - .offset:         8
        .size:           8
        .value_kind:     by_value
      - .offset:         16
        .size:           4
        .value_kind:     by_value
      - .actual_access:  read_only
        .address_space:  global
        .offset:         24
        .size:           8
        .value_kind:     global_buffer
      - .actual_access:  read_only
        .address_space:  global
        .offset:         32
        .size:           8
        .value_kind:     global_buffer
      - .actual_access:  read_only
        .address_space:  global
        .offset:         40
        .size:           8
        .value_kind:     global_buffer
      - .actual_access:  read_only
        .address_space:  global
        .offset:         48
        .size:           8
        .value_kind:     global_buffer
      - .actual_access:  read_only
        .address_space:  global
        .offset:         56
        .size:           8
        .value_kind:     global_buffer
      - .actual_access:  read_only
        .address_space:  global
        .offset:         64
        .size:           8
        .value_kind:     global_buffer
      - .offset:         72
        .size:           8
        .value_kind:     by_value
      - .address_space:  global
        .offset:         80
        .size:           8
        .value_kind:     global_buffer
      - .offset:         88
        .size:           4
        .value_kind:     by_value
      - .offset:         92
        .size:           1
        .value_kind:     by_value
    .group_segment_fixed_size: 1936
    .kernarg_segment_align: 8
    .kernarg_segment_size: 96
    .language:       OpenCL C
    .language_version:
      - 2
      - 0
    .max_flat_workgroup_size: 484
    .name:           _ZN9rocsparseL20bsrxmvn_17_32_kernelILj22EfliDF16_DF16_fEEvT2_20rocsparse_direction_NS_24const_host_device_scalarIT0_EES1_PKS1_PKT1_SA_S7_PKT3_PKT4_S5_PT5_21rocsparse_index_base_b
    .private_segment_fixed_size: 0
    .sgpr_count:     30
    .sgpr_spill_count: 0
    .symbol:         _ZN9rocsparseL20bsrxmvn_17_32_kernelILj22EfliDF16_DF16_fEEvT2_20rocsparse_direction_NS_24const_host_device_scalarIT0_EES1_PKS1_PKT1_SA_S7_PKT3_PKT4_S5_PT5_21rocsparse_index_base_b.kd
    .uniform_work_group_size: 1
    .uses_dynamic_stack: false
    .vgpr_count:     13
    .vgpr_spill_count: 0
    .wavefront_size: 64
  - .args:
      - .offset:         0
        .size:           4
        .value_kind:     by_value
      - .offset:         4
        .size:           4
        .value_kind:     by_value
      - .offset:         8
        .size:           8
        .value_kind:     by_value
      - .offset:         16
        .size:           4
        .value_kind:     by_value
      - .actual_access:  read_only
        .address_space:  global
        .offset:         24
        .size:           8
        .value_kind:     global_buffer
      - .actual_access:  read_only
        .address_space:  global
        .offset:         32
        .size:           8
        .value_kind:     global_buffer
      - .actual_access:  read_only
        .address_space:  global
        .offset:         40
        .size:           8
        .value_kind:     global_buffer
      - .actual_access:  read_only
        .address_space:  global
        .offset:         48
        .size:           8
        .value_kind:     global_buffer
      - .actual_access:  read_only
        .address_space:  global
        .offset:         56
        .size:           8
        .value_kind:     global_buffer
      - .actual_access:  read_only
        .address_space:  global
        .offset:         64
        .size:           8
        .value_kind:     global_buffer
      - .offset:         72
        .size:           8
        .value_kind:     by_value
      - .address_space:  global
        .offset:         80
        .size:           8
        .value_kind:     global_buffer
      - .offset:         88
        .size:           4
        .value_kind:     by_value
      - .offset:         92
        .size:           1
        .value_kind:     by_value
    .group_segment_fixed_size: 2116
    .kernarg_segment_align: 8
    .kernarg_segment_size: 96
    .language:       OpenCL C
    .language_version:
      - 2
      - 0
    .max_flat_workgroup_size: 529
    .name:           _ZN9rocsparseL20bsrxmvn_17_32_kernelILj23EfliDF16_DF16_fEEvT2_20rocsparse_direction_NS_24const_host_device_scalarIT0_EES1_PKS1_PKT1_SA_S7_PKT3_PKT4_S5_PT5_21rocsparse_index_base_b
    .private_segment_fixed_size: 0
    .sgpr_count:     30
    .sgpr_spill_count: 0
    .symbol:         _ZN9rocsparseL20bsrxmvn_17_32_kernelILj23EfliDF16_DF16_fEEvT2_20rocsparse_direction_NS_24const_host_device_scalarIT0_EES1_PKS1_PKT1_SA_S7_PKT3_PKT4_S5_PT5_21rocsparse_index_base_b.kd
    .uniform_work_group_size: 1
    .uses_dynamic_stack: false
    .vgpr_count:     13
    .vgpr_spill_count: 0
    .wavefront_size: 64
  - .args:
      - .offset:         0
        .size:           4
        .value_kind:     by_value
      - .offset:         4
        .size:           4
        .value_kind:     by_value
      - .offset:         8
        .size:           8
        .value_kind:     by_value
      - .offset:         16
        .size:           4
        .value_kind:     by_value
      - .actual_access:  read_only
        .address_space:  global
        .offset:         24
        .size:           8
        .value_kind:     global_buffer
      - .actual_access:  read_only
        .address_space:  global
        .offset:         32
        .size:           8
        .value_kind:     global_buffer
      - .actual_access:  read_only
        .address_space:  global
        .offset:         40
        .size:           8
        .value_kind:     global_buffer
      - .actual_access:  read_only
        .address_space:  global
        .offset:         48
        .size:           8
        .value_kind:     global_buffer
      - .actual_access:  read_only
        .address_space:  global
        .offset:         56
        .size:           8
        .value_kind:     global_buffer
      - .actual_access:  read_only
        .address_space:  global
        .offset:         64
        .size:           8
        .value_kind:     global_buffer
      - .offset:         72
        .size:           8
        .value_kind:     by_value
      - .address_space:  global
        .offset:         80
        .size:           8
        .value_kind:     global_buffer
      - .offset:         88
        .size:           4
        .value_kind:     by_value
      - .offset:         92
        .size:           1
        .value_kind:     by_value
    .group_segment_fixed_size: 2304
    .kernarg_segment_align: 8
    .kernarg_segment_size: 96
    .language:       OpenCL C
    .language_version:
      - 2
      - 0
    .max_flat_workgroup_size: 576
    .name:           _ZN9rocsparseL20bsrxmvn_17_32_kernelILj24EfliDF16_DF16_fEEvT2_20rocsparse_direction_NS_24const_host_device_scalarIT0_EES1_PKS1_PKT1_SA_S7_PKT3_PKT4_S5_PT5_21rocsparse_index_base_b
    .private_segment_fixed_size: 0
    .sgpr_count:     30
    .sgpr_spill_count: 0
    .symbol:         _ZN9rocsparseL20bsrxmvn_17_32_kernelILj24EfliDF16_DF16_fEEvT2_20rocsparse_direction_NS_24const_host_device_scalarIT0_EES1_PKS1_PKT1_SA_S7_PKT3_PKT4_S5_PT5_21rocsparse_index_base_b.kd
    .uniform_work_group_size: 1
    .uses_dynamic_stack: false
    .vgpr_count:     13
    .vgpr_spill_count: 0
    .wavefront_size: 64
  - .args:
      - .offset:         0
        .size:           4
        .value_kind:     by_value
      - .offset:         4
        .size:           4
        .value_kind:     by_value
      - .offset:         8
        .size:           8
        .value_kind:     by_value
      - .offset:         16
        .size:           4
        .value_kind:     by_value
      - .actual_access:  read_only
        .address_space:  global
        .offset:         24
        .size:           8
        .value_kind:     global_buffer
      - .actual_access:  read_only
        .address_space:  global
        .offset:         32
        .size:           8
        .value_kind:     global_buffer
      - .actual_access:  read_only
        .address_space:  global
        .offset:         40
        .size:           8
        .value_kind:     global_buffer
      - .actual_access:  read_only
        .address_space:  global
        .offset:         48
        .size:           8
        .value_kind:     global_buffer
      - .actual_access:  read_only
        .address_space:  global
        .offset:         56
        .size:           8
        .value_kind:     global_buffer
      - .actual_access:  read_only
        .address_space:  global
        .offset:         64
        .size:           8
        .value_kind:     global_buffer
      - .offset:         72
        .size:           8
        .value_kind:     by_value
      - .address_space:  global
        .offset:         80
        .size:           8
        .value_kind:     global_buffer
      - .offset:         88
        .size:           4
        .value_kind:     by_value
      - .offset:         92
        .size:           1
        .value_kind:     by_value
    .group_segment_fixed_size: 2500
    .kernarg_segment_align: 8
    .kernarg_segment_size: 96
    .language:       OpenCL C
    .language_version:
      - 2
      - 0
    .max_flat_workgroup_size: 625
    .name:           _ZN9rocsparseL20bsrxmvn_17_32_kernelILj25EfliDF16_DF16_fEEvT2_20rocsparse_direction_NS_24const_host_device_scalarIT0_EES1_PKS1_PKT1_SA_S7_PKT3_PKT4_S5_PT5_21rocsparse_index_base_b
    .private_segment_fixed_size: 0
    .sgpr_count:     30
    .sgpr_spill_count: 0
    .symbol:         _ZN9rocsparseL20bsrxmvn_17_32_kernelILj25EfliDF16_DF16_fEEvT2_20rocsparse_direction_NS_24const_host_device_scalarIT0_EES1_PKS1_PKT1_SA_S7_PKT3_PKT4_S5_PT5_21rocsparse_index_base_b.kd
    .uniform_work_group_size: 1
    .uses_dynamic_stack: false
    .vgpr_count:     15
    .vgpr_spill_count: 0
    .wavefront_size: 64
  - .args:
      - .offset:         0
        .size:           4
        .value_kind:     by_value
      - .offset:         4
        .size:           4
        .value_kind:     by_value
      - .offset:         8
        .size:           8
        .value_kind:     by_value
      - .offset:         16
        .size:           4
        .value_kind:     by_value
      - .actual_access:  read_only
        .address_space:  global
        .offset:         24
        .size:           8
        .value_kind:     global_buffer
      - .actual_access:  read_only
        .address_space:  global
        .offset:         32
        .size:           8
        .value_kind:     global_buffer
      - .actual_access:  read_only
        .address_space:  global
        .offset:         40
        .size:           8
        .value_kind:     global_buffer
      - .actual_access:  read_only
        .address_space:  global
        .offset:         48
        .size:           8
        .value_kind:     global_buffer
      - .actual_access:  read_only
        .address_space:  global
        .offset:         56
        .size:           8
        .value_kind:     global_buffer
      - .actual_access:  read_only
        .address_space:  global
        .offset:         64
        .size:           8
        .value_kind:     global_buffer
      - .offset:         72
        .size:           8
        .value_kind:     by_value
      - .address_space:  global
        .offset:         80
        .size:           8
        .value_kind:     global_buffer
      - .offset:         88
        .size:           4
        .value_kind:     by_value
      - .offset:         92
        .size:           1
        .value_kind:     by_value
    .group_segment_fixed_size: 2704
    .kernarg_segment_align: 8
    .kernarg_segment_size: 96
    .language:       OpenCL C
    .language_version:
      - 2
      - 0
    .max_flat_workgroup_size: 676
    .name:           _ZN9rocsparseL20bsrxmvn_17_32_kernelILj26EfliDF16_DF16_fEEvT2_20rocsparse_direction_NS_24const_host_device_scalarIT0_EES1_PKS1_PKT1_SA_S7_PKT3_PKT4_S5_PT5_21rocsparse_index_base_b
    .private_segment_fixed_size: 0
    .sgpr_count:     30
    .sgpr_spill_count: 0
    .symbol:         _ZN9rocsparseL20bsrxmvn_17_32_kernelILj26EfliDF16_DF16_fEEvT2_20rocsparse_direction_NS_24const_host_device_scalarIT0_EES1_PKS1_PKT1_SA_S7_PKT3_PKT4_S5_PT5_21rocsparse_index_base_b.kd
    .uniform_work_group_size: 1
    .uses_dynamic_stack: false
    .vgpr_count:     15
    .vgpr_spill_count: 0
    .wavefront_size: 64
  - .args:
      - .offset:         0
        .size:           4
        .value_kind:     by_value
      - .offset:         4
        .size:           4
        .value_kind:     by_value
      - .offset:         8
        .size:           8
        .value_kind:     by_value
      - .offset:         16
        .size:           4
        .value_kind:     by_value
      - .actual_access:  read_only
        .address_space:  global
        .offset:         24
        .size:           8
        .value_kind:     global_buffer
      - .actual_access:  read_only
        .address_space:  global
        .offset:         32
        .size:           8
        .value_kind:     global_buffer
      - .actual_access:  read_only
        .address_space:  global
        .offset:         40
        .size:           8
        .value_kind:     global_buffer
      - .actual_access:  read_only
        .address_space:  global
        .offset:         48
        .size:           8
        .value_kind:     global_buffer
      - .actual_access:  read_only
        .address_space:  global
        .offset:         56
        .size:           8
        .value_kind:     global_buffer
      - .actual_access:  read_only
        .address_space:  global
        .offset:         64
        .size:           8
        .value_kind:     global_buffer
      - .offset:         72
        .size:           8
        .value_kind:     by_value
      - .address_space:  global
        .offset:         80
        .size:           8
        .value_kind:     global_buffer
      - .offset:         88
        .size:           4
        .value_kind:     by_value
      - .offset:         92
        .size:           1
        .value_kind:     by_value
    .group_segment_fixed_size: 2916
    .kernarg_segment_align: 8
    .kernarg_segment_size: 96
    .language:       OpenCL C
    .language_version:
      - 2
      - 0
    .max_flat_workgroup_size: 729
    .name:           _ZN9rocsparseL20bsrxmvn_17_32_kernelILj27EfliDF16_DF16_fEEvT2_20rocsparse_direction_NS_24const_host_device_scalarIT0_EES1_PKS1_PKT1_SA_S7_PKT3_PKT4_S5_PT5_21rocsparse_index_base_b
    .private_segment_fixed_size: 0
    .sgpr_count:     30
    .sgpr_spill_count: 0
    .symbol:         _ZN9rocsparseL20bsrxmvn_17_32_kernelILj27EfliDF16_DF16_fEEvT2_20rocsparse_direction_NS_24const_host_device_scalarIT0_EES1_PKS1_PKT1_SA_S7_PKT3_PKT4_S5_PT5_21rocsparse_index_base_b.kd
    .uniform_work_group_size: 1
    .uses_dynamic_stack: false
    .vgpr_count:     15
    .vgpr_spill_count: 0
    .wavefront_size: 64
  - .args:
      - .offset:         0
        .size:           4
        .value_kind:     by_value
      - .offset:         4
        .size:           4
        .value_kind:     by_value
      - .offset:         8
        .size:           8
        .value_kind:     by_value
      - .offset:         16
        .size:           4
        .value_kind:     by_value
      - .actual_access:  read_only
        .address_space:  global
        .offset:         24
        .size:           8
        .value_kind:     global_buffer
      - .actual_access:  read_only
        .address_space:  global
        .offset:         32
        .size:           8
        .value_kind:     global_buffer
      - .actual_access:  read_only
        .address_space:  global
        .offset:         40
        .size:           8
        .value_kind:     global_buffer
      - .actual_access:  read_only
        .address_space:  global
        .offset:         48
        .size:           8
        .value_kind:     global_buffer
      - .actual_access:  read_only
        .address_space:  global
        .offset:         56
        .size:           8
        .value_kind:     global_buffer
      - .actual_access:  read_only
        .address_space:  global
        .offset:         64
        .size:           8
        .value_kind:     global_buffer
      - .offset:         72
        .size:           8
        .value_kind:     by_value
      - .address_space:  global
        .offset:         80
        .size:           8
        .value_kind:     global_buffer
      - .offset:         88
        .size:           4
        .value_kind:     by_value
      - .offset:         92
        .size:           1
        .value_kind:     by_value
    .group_segment_fixed_size: 3136
    .kernarg_segment_align: 8
    .kernarg_segment_size: 96
    .language:       OpenCL C
    .language_version:
      - 2
      - 0
    .max_flat_workgroup_size: 784
    .name:           _ZN9rocsparseL20bsrxmvn_17_32_kernelILj28EfliDF16_DF16_fEEvT2_20rocsparse_direction_NS_24const_host_device_scalarIT0_EES1_PKS1_PKT1_SA_S7_PKT3_PKT4_S5_PT5_21rocsparse_index_base_b
    .private_segment_fixed_size: 0
    .sgpr_count:     30
    .sgpr_spill_count: 0
    .symbol:         _ZN9rocsparseL20bsrxmvn_17_32_kernelILj28EfliDF16_DF16_fEEvT2_20rocsparse_direction_NS_24const_host_device_scalarIT0_EES1_PKS1_PKT1_SA_S7_PKT3_PKT4_S5_PT5_21rocsparse_index_base_b.kd
    .uniform_work_group_size: 1
    .uses_dynamic_stack: false
    .vgpr_count:     15
    .vgpr_spill_count: 0
    .wavefront_size: 64
  - .args:
      - .offset:         0
        .size:           4
        .value_kind:     by_value
      - .offset:         4
        .size:           4
        .value_kind:     by_value
      - .offset:         8
        .size:           8
        .value_kind:     by_value
      - .offset:         16
        .size:           4
        .value_kind:     by_value
      - .actual_access:  read_only
        .address_space:  global
        .offset:         24
        .size:           8
        .value_kind:     global_buffer
      - .actual_access:  read_only
        .address_space:  global
        .offset:         32
        .size:           8
        .value_kind:     global_buffer
      - .actual_access:  read_only
        .address_space:  global
        .offset:         40
        .size:           8
        .value_kind:     global_buffer
      - .actual_access:  read_only
        .address_space:  global
        .offset:         48
        .size:           8
        .value_kind:     global_buffer
      - .actual_access:  read_only
        .address_space:  global
        .offset:         56
        .size:           8
        .value_kind:     global_buffer
      - .actual_access:  read_only
        .address_space:  global
        .offset:         64
        .size:           8
        .value_kind:     global_buffer
      - .offset:         72
        .size:           8
        .value_kind:     by_value
      - .address_space:  global
        .offset:         80
        .size:           8
        .value_kind:     global_buffer
      - .offset:         88
        .size:           4
        .value_kind:     by_value
      - .offset:         92
        .size:           1
        .value_kind:     by_value
    .group_segment_fixed_size: 3364
    .kernarg_segment_align: 8
    .kernarg_segment_size: 96
    .language:       OpenCL C
    .language_version:
      - 2
      - 0
    .max_flat_workgroup_size: 841
    .name:           _ZN9rocsparseL20bsrxmvn_17_32_kernelILj29EfliDF16_DF16_fEEvT2_20rocsparse_direction_NS_24const_host_device_scalarIT0_EES1_PKS1_PKT1_SA_S7_PKT3_PKT4_S5_PT5_21rocsparse_index_base_b
    .private_segment_fixed_size: 0
    .sgpr_count:     30
    .sgpr_spill_count: 0
    .symbol:         _ZN9rocsparseL20bsrxmvn_17_32_kernelILj29EfliDF16_DF16_fEEvT2_20rocsparse_direction_NS_24const_host_device_scalarIT0_EES1_PKS1_PKT1_SA_S7_PKT3_PKT4_S5_PT5_21rocsparse_index_base_b.kd
    .uniform_work_group_size: 1
    .uses_dynamic_stack: false
    .vgpr_count:     15
    .vgpr_spill_count: 0
    .wavefront_size: 64
  - .args:
      - .offset:         0
        .size:           4
        .value_kind:     by_value
      - .offset:         4
        .size:           4
        .value_kind:     by_value
      - .offset:         8
        .size:           8
        .value_kind:     by_value
      - .offset:         16
        .size:           4
        .value_kind:     by_value
      - .actual_access:  read_only
        .address_space:  global
        .offset:         24
        .size:           8
        .value_kind:     global_buffer
      - .actual_access:  read_only
        .address_space:  global
        .offset:         32
        .size:           8
        .value_kind:     global_buffer
      - .actual_access:  read_only
        .address_space:  global
        .offset:         40
        .size:           8
        .value_kind:     global_buffer
      - .actual_access:  read_only
        .address_space:  global
        .offset:         48
        .size:           8
        .value_kind:     global_buffer
      - .actual_access:  read_only
        .address_space:  global
        .offset:         56
        .size:           8
        .value_kind:     global_buffer
      - .actual_access:  read_only
        .address_space:  global
        .offset:         64
        .size:           8
        .value_kind:     global_buffer
      - .offset:         72
        .size:           8
        .value_kind:     by_value
      - .address_space:  global
        .offset:         80
        .size:           8
        .value_kind:     global_buffer
      - .offset:         88
        .size:           4
        .value_kind:     by_value
      - .offset:         92
        .size:           1
        .value_kind:     by_value
    .group_segment_fixed_size: 3600
    .kernarg_segment_align: 8
    .kernarg_segment_size: 96
    .language:       OpenCL C
    .language_version:
      - 2
      - 0
    .max_flat_workgroup_size: 900
    .name:           _ZN9rocsparseL20bsrxmvn_17_32_kernelILj30EfliDF16_DF16_fEEvT2_20rocsparse_direction_NS_24const_host_device_scalarIT0_EES1_PKS1_PKT1_SA_S7_PKT3_PKT4_S5_PT5_21rocsparse_index_base_b
    .private_segment_fixed_size: 0
    .sgpr_count:     30
    .sgpr_spill_count: 0
    .symbol:         _ZN9rocsparseL20bsrxmvn_17_32_kernelILj30EfliDF16_DF16_fEEvT2_20rocsparse_direction_NS_24const_host_device_scalarIT0_EES1_PKS1_PKT1_SA_S7_PKT3_PKT4_S5_PT5_21rocsparse_index_base_b.kd
    .uniform_work_group_size: 1
    .uses_dynamic_stack: false
    .vgpr_count:     15
    .vgpr_spill_count: 0
    .wavefront_size: 64
  - .args:
      - .offset:         0
        .size:           4
        .value_kind:     by_value
      - .offset:         4
        .size:           4
        .value_kind:     by_value
      - .offset:         8
        .size:           8
        .value_kind:     by_value
      - .offset:         16
        .size:           4
        .value_kind:     by_value
      - .actual_access:  read_only
        .address_space:  global
        .offset:         24
        .size:           8
        .value_kind:     global_buffer
      - .actual_access:  read_only
        .address_space:  global
        .offset:         32
        .size:           8
        .value_kind:     global_buffer
      - .actual_access:  read_only
        .address_space:  global
        .offset:         40
        .size:           8
        .value_kind:     global_buffer
      - .actual_access:  read_only
        .address_space:  global
        .offset:         48
        .size:           8
        .value_kind:     global_buffer
      - .actual_access:  read_only
        .address_space:  global
        .offset:         56
        .size:           8
        .value_kind:     global_buffer
      - .actual_access:  read_only
        .address_space:  global
        .offset:         64
        .size:           8
        .value_kind:     global_buffer
      - .offset:         72
        .size:           8
        .value_kind:     by_value
      - .address_space:  global
        .offset:         80
        .size:           8
        .value_kind:     global_buffer
      - .offset:         88
        .size:           4
        .value_kind:     by_value
      - .offset:         92
        .size:           1
        .value_kind:     by_value
    .group_segment_fixed_size: 3844
    .kernarg_segment_align: 8
    .kernarg_segment_size: 96
    .language:       OpenCL C
    .language_version:
      - 2
      - 0
    .max_flat_workgroup_size: 961
    .name:           _ZN9rocsparseL20bsrxmvn_17_32_kernelILj31EfliDF16_DF16_fEEvT2_20rocsparse_direction_NS_24const_host_device_scalarIT0_EES1_PKS1_PKT1_SA_S7_PKT3_PKT4_S5_PT5_21rocsparse_index_base_b
    .private_segment_fixed_size: 0
    .sgpr_count:     30
    .sgpr_spill_count: 0
    .symbol:         _ZN9rocsparseL20bsrxmvn_17_32_kernelILj31EfliDF16_DF16_fEEvT2_20rocsparse_direction_NS_24const_host_device_scalarIT0_EES1_PKS1_PKT1_SA_S7_PKT3_PKT4_S5_PT5_21rocsparse_index_base_b.kd
    .uniform_work_group_size: 1
    .uses_dynamic_stack: false
    .vgpr_count:     15
    .vgpr_spill_count: 0
    .wavefront_size: 64
  - .args:
      - .offset:         0
        .size:           4
        .value_kind:     by_value
      - .offset:         4
        .size:           4
        .value_kind:     by_value
      - .offset:         8
        .size:           8
        .value_kind:     by_value
      - .offset:         16
        .size:           4
        .value_kind:     by_value
      - .actual_access:  read_only
        .address_space:  global
        .offset:         24
        .size:           8
        .value_kind:     global_buffer
      - .actual_access:  read_only
        .address_space:  global
        .offset:         32
        .size:           8
        .value_kind:     global_buffer
      - .actual_access:  read_only
        .address_space:  global
        .offset:         40
        .size:           8
        .value_kind:     global_buffer
      - .actual_access:  read_only
        .address_space:  global
        .offset:         48
        .size:           8
        .value_kind:     global_buffer
      - .actual_access:  read_only
        .address_space:  global
        .offset:         56
        .size:           8
        .value_kind:     global_buffer
      - .actual_access:  read_only
        .address_space:  global
        .offset:         64
        .size:           8
        .value_kind:     global_buffer
      - .offset:         72
        .size:           8
        .value_kind:     by_value
      - .address_space:  global
        .offset:         80
        .size:           8
        .value_kind:     global_buffer
      - .offset:         88
        .size:           4
        .value_kind:     by_value
      - .offset:         92
        .size:           1
        .value_kind:     by_value
    .group_segment_fixed_size: 4096
    .kernarg_segment_align: 8
    .kernarg_segment_size: 96
    .language:       OpenCL C
    .language_version:
      - 2
      - 0
    .max_flat_workgroup_size: 1024
    .name:           _ZN9rocsparseL20bsrxmvn_17_32_kernelILj32EfliDF16_DF16_fEEvT2_20rocsparse_direction_NS_24const_host_device_scalarIT0_EES1_PKS1_PKT1_SA_S7_PKT3_PKT4_S5_PT5_21rocsparse_index_base_b
    .private_segment_fixed_size: 0
    .sgpr_count:     32
    .sgpr_spill_count: 0
    .symbol:         _ZN9rocsparseL20bsrxmvn_17_32_kernelILj32EfliDF16_DF16_fEEvT2_20rocsparse_direction_NS_24const_host_device_scalarIT0_EES1_PKS1_PKT1_SA_S7_PKT3_PKT4_S5_PT5_21rocsparse_index_base_b.kd
    .uniform_work_group_size: 1
    .uses_dynamic_stack: false
    .vgpr_count:     12
    .vgpr_spill_count: 0
    .wavefront_size: 64
  - .args:
      - .offset:         0
        .size:           8
        .value_kind:     by_value
      - .offset:         8
        .size:           4
        .value_kind:     by_value
      - .offset:         16
        .size:           8
        .value_kind:     by_value
      - .offset:         24
        .size:           8
        .value_kind:     by_value
      - .actual_access:  read_only
        .address_space:  global
        .offset:         32
        .size:           8
        .value_kind:     global_buffer
      - .actual_access:  read_only
        .address_space:  global
        .offset:         40
        .size:           8
        .value_kind:     global_buffer
      - .actual_access:  read_only
        .address_space:  global
        .offset:         48
        .size:           8
        .value_kind:     global_buffer
      - .actual_access:  read_only
        .address_space:  global
        .offset:         56
        .size:           8
        .value_kind:     global_buffer
      - .actual_access:  read_only
        .address_space:  global
        .offset:         64
        .size:           8
        .value_kind:     global_buffer
      - .actual_access:  read_only
        .address_space:  global
        .offset:         72
        .size:           8
        .value_kind:     global_buffer
      - .offset:         80
        .size:           8
        .value_kind:     by_value
      - .address_space:  global
        .offset:         88
        .size:           8
        .value_kind:     global_buffer
      - .offset:         96
        .size:           4
        .value_kind:     by_value
      - .offset:         100
        .size:           1
        .value_kind:     by_value
    .group_segment_fixed_size: 1156
    .kernarg_segment_align: 8
    .kernarg_segment_size: 104
    .language:       OpenCL C
    .language_version:
      - 2
      - 0
    .max_flat_workgroup_size: 289
    .name:           _ZN9rocsparseL20bsrxmvn_17_32_kernelILj17EfllDF16_DF16_fEEvT2_20rocsparse_direction_NS_24const_host_device_scalarIT0_EES1_PKS1_PKT1_SA_S7_PKT3_PKT4_S5_PT5_21rocsparse_index_base_b
    .private_segment_fixed_size: 0
    .sgpr_count:     30
    .sgpr_spill_count: 0
    .symbol:         _ZN9rocsparseL20bsrxmvn_17_32_kernelILj17EfllDF16_DF16_fEEvT2_20rocsparse_direction_NS_24const_host_device_scalarIT0_EES1_PKS1_PKT1_SA_S7_PKT3_PKT4_S5_PT5_21rocsparse_index_base_b.kd
    .uniform_work_group_size: 1
    .uses_dynamic_stack: false
    .vgpr_count:     13
    .vgpr_spill_count: 0
    .wavefront_size: 64
  - .args:
      - .offset:         0
        .size:           8
        .value_kind:     by_value
      - .offset:         8
        .size:           4
        .value_kind:     by_value
      - .offset:         16
        .size:           8
        .value_kind:     by_value
      - .offset:         24
        .size:           8
        .value_kind:     by_value
      - .actual_access:  read_only
        .address_space:  global
        .offset:         32
        .size:           8
        .value_kind:     global_buffer
      - .actual_access:  read_only
        .address_space:  global
        .offset:         40
        .size:           8
        .value_kind:     global_buffer
      - .actual_access:  read_only
        .address_space:  global
        .offset:         48
        .size:           8
        .value_kind:     global_buffer
      - .actual_access:  read_only
        .address_space:  global
        .offset:         56
        .size:           8
        .value_kind:     global_buffer
      - .actual_access:  read_only
        .address_space:  global
        .offset:         64
        .size:           8
        .value_kind:     global_buffer
      - .actual_access:  read_only
        .address_space:  global
        .offset:         72
        .size:           8
        .value_kind:     global_buffer
      - .offset:         80
        .size:           8
        .value_kind:     by_value
      - .address_space:  global
        .offset:         88
        .size:           8
        .value_kind:     global_buffer
      - .offset:         96
        .size:           4
        .value_kind:     by_value
      - .offset:         100
        .size:           1
        .value_kind:     by_value
    .group_segment_fixed_size: 1296
    .kernarg_segment_align: 8
    .kernarg_segment_size: 104
    .language:       OpenCL C
    .language_version:
      - 2
      - 0
    .max_flat_workgroup_size: 324
    .name:           _ZN9rocsparseL20bsrxmvn_17_32_kernelILj18EfllDF16_DF16_fEEvT2_20rocsparse_direction_NS_24const_host_device_scalarIT0_EES1_PKS1_PKT1_SA_S7_PKT3_PKT4_S5_PT5_21rocsparse_index_base_b
    .private_segment_fixed_size: 0
    .sgpr_count:     30
    .sgpr_spill_count: 0
    .symbol:         _ZN9rocsparseL20bsrxmvn_17_32_kernelILj18EfllDF16_DF16_fEEvT2_20rocsparse_direction_NS_24const_host_device_scalarIT0_EES1_PKS1_PKT1_SA_S7_PKT3_PKT4_S5_PT5_21rocsparse_index_base_b.kd
    .uniform_work_group_size: 1
    .uses_dynamic_stack: false
    .vgpr_count:     13
    .vgpr_spill_count: 0
    .wavefront_size: 64
  - .args:
      - .offset:         0
        .size:           8
        .value_kind:     by_value
      - .offset:         8
        .size:           4
        .value_kind:     by_value
      - .offset:         16
        .size:           8
        .value_kind:     by_value
      - .offset:         24
        .size:           8
        .value_kind:     by_value
      - .actual_access:  read_only
        .address_space:  global
        .offset:         32
        .size:           8
        .value_kind:     global_buffer
      - .actual_access:  read_only
        .address_space:  global
        .offset:         40
        .size:           8
        .value_kind:     global_buffer
      - .actual_access:  read_only
        .address_space:  global
        .offset:         48
        .size:           8
        .value_kind:     global_buffer
      - .actual_access:  read_only
        .address_space:  global
        .offset:         56
        .size:           8
        .value_kind:     global_buffer
      - .actual_access:  read_only
        .address_space:  global
        .offset:         64
        .size:           8
        .value_kind:     global_buffer
      - .actual_access:  read_only
        .address_space:  global
        .offset:         72
        .size:           8
        .value_kind:     global_buffer
      - .offset:         80
        .size:           8
        .value_kind:     by_value
      - .address_space:  global
        .offset:         88
        .size:           8
        .value_kind:     global_buffer
      - .offset:         96
        .size:           4
        .value_kind:     by_value
      - .offset:         100
        .size:           1
        .value_kind:     by_value
    .group_segment_fixed_size: 1444
    .kernarg_segment_align: 8
    .kernarg_segment_size: 104
    .language:       OpenCL C
    .language_version:
      - 2
      - 0
    .max_flat_workgroup_size: 361
    .name:           _ZN9rocsparseL20bsrxmvn_17_32_kernelILj19EfllDF16_DF16_fEEvT2_20rocsparse_direction_NS_24const_host_device_scalarIT0_EES1_PKS1_PKT1_SA_S7_PKT3_PKT4_S5_PT5_21rocsparse_index_base_b
    .private_segment_fixed_size: 0
    .sgpr_count:     30
    .sgpr_spill_count: 0
    .symbol:         _ZN9rocsparseL20bsrxmvn_17_32_kernelILj19EfllDF16_DF16_fEEvT2_20rocsparse_direction_NS_24const_host_device_scalarIT0_EES1_PKS1_PKT1_SA_S7_PKT3_PKT4_S5_PT5_21rocsparse_index_base_b.kd
    .uniform_work_group_size: 1
    .uses_dynamic_stack: false
    .vgpr_count:     13
    .vgpr_spill_count: 0
    .wavefront_size: 64
  - .args:
      - .offset:         0
        .size:           8
        .value_kind:     by_value
      - .offset:         8
        .size:           4
        .value_kind:     by_value
      - .offset:         16
        .size:           8
        .value_kind:     by_value
      - .offset:         24
        .size:           8
        .value_kind:     by_value
      - .actual_access:  read_only
        .address_space:  global
        .offset:         32
        .size:           8
        .value_kind:     global_buffer
      - .actual_access:  read_only
        .address_space:  global
        .offset:         40
        .size:           8
        .value_kind:     global_buffer
      - .actual_access:  read_only
        .address_space:  global
        .offset:         48
        .size:           8
        .value_kind:     global_buffer
      - .actual_access:  read_only
        .address_space:  global
        .offset:         56
        .size:           8
        .value_kind:     global_buffer
      - .actual_access:  read_only
        .address_space:  global
        .offset:         64
        .size:           8
        .value_kind:     global_buffer
      - .actual_access:  read_only
        .address_space:  global
        .offset:         72
        .size:           8
        .value_kind:     global_buffer
      - .offset:         80
        .size:           8
        .value_kind:     by_value
      - .address_space:  global
        .offset:         88
        .size:           8
        .value_kind:     global_buffer
      - .offset:         96
        .size:           4
        .value_kind:     by_value
      - .offset:         100
        .size:           1
        .value_kind:     by_value
    .group_segment_fixed_size: 1600
    .kernarg_segment_align: 8
    .kernarg_segment_size: 104
    .language:       OpenCL C
    .language_version:
      - 2
      - 0
    .max_flat_workgroup_size: 400
    .name:           _ZN9rocsparseL20bsrxmvn_17_32_kernelILj20EfllDF16_DF16_fEEvT2_20rocsparse_direction_NS_24const_host_device_scalarIT0_EES1_PKS1_PKT1_SA_S7_PKT3_PKT4_S5_PT5_21rocsparse_index_base_b
    .private_segment_fixed_size: 0
    .sgpr_count:     30
    .sgpr_spill_count: 0
    .symbol:         _ZN9rocsparseL20bsrxmvn_17_32_kernelILj20EfllDF16_DF16_fEEvT2_20rocsparse_direction_NS_24const_host_device_scalarIT0_EES1_PKS1_PKT1_SA_S7_PKT3_PKT4_S5_PT5_21rocsparse_index_base_b.kd
    .uniform_work_group_size: 1
    .uses_dynamic_stack: false
    .vgpr_count:     13
    .vgpr_spill_count: 0
    .wavefront_size: 64
  - .args:
      - .offset:         0
        .size:           8
        .value_kind:     by_value
      - .offset:         8
        .size:           4
        .value_kind:     by_value
      - .offset:         16
        .size:           8
        .value_kind:     by_value
      - .offset:         24
        .size:           8
        .value_kind:     by_value
      - .actual_access:  read_only
        .address_space:  global
        .offset:         32
        .size:           8
        .value_kind:     global_buffer
      - .actual_access:  read_only
        .address_space:  global
        .offset:         40
        .size:           8
        .value_kind:     global_buffer
      - .actual_access:  read_only
        .address_space:  global
        .offset:         48
        .size:           8
        .value_kind:     global_buffer
      - .actual_access:  read_only
        .address_space:  global
        .offset:         56
        .size:           8
        .value_kind:     global_buffer
      - .actual_access:  read_only
        .address_space:  global
        .offset:         64
        .size:           8
        .value_kind:     global_buffer
      - .actual_access:  read_only
        .address_space:  global
        .offset:         72
        .size:           8
        .value_kind:     global_buffer
      - .offset:         80
        .size:           8
        .value_kind:     by_value
      - .address_space:  global
        .offset:         88
        .size:           8
        .value_kind:     global_buffer
      - .offset:         96
        .size:           4
        .value_kind:     by_value
      - .offset:         100
        .size:           1
        .value_kind:     by_value
    .group_segment_fixed_size: 1764
    .kernarg_segment_align: 8
    .kernarg_segment_size: 104
    .language:       OpenCL C
    .language_version:
      - 2
      - 0
    .max_flat_workgroup_size: 441
    .name:           _ZN9rocsparseL20bsrxmvn_17_32_kernelILj21EfllDF16_DF16_fEEvT2_20rocsparse_direction_NS_24const_host_device_scalarIT0_EES1_PKS1_PKT1_SA_S7_PKT3_PKT4_S5_PT5_21rocsparse_index_base_b
    .private_segment_fixed_size: 0
    .sgpr_count:     30
    .sgpr_spill_count: 0
    .symbol:         _ZN9rocsparseL20bsrxmvn_17_32_kernelILj21EfllDF16_DF16_fEEvT2_20rocsparse_direction_NS_24const_host_device_scalarIT0_EES1_PKS1_PKT1_SA_S7_PKT3_PKT4_S5_PT5_21rocsparse_index_base_b.kd
    .uniform_work_group_size: 1
    .uses_dynamic_stack: false
    .vgpr_count:     13
    .vgpr_spill_count: 0
    .wavefront_size: 64
  - .args:
      - .offset:         0
        .size:           8
        .value_kind:     by_value
      - .offset:         8
        .size:           4
        .value_kind:     by_value
      - .offset:         16
        .size:           8
        .value_kind:     by_value
      - .offset:         24
        .size:           8
        .value_kind:     by_value
      - .actual_access:  read_only
        .address_space:  global
        .offset:         32
        .size:           8
        .value_kind:     global_buffer
      - .actual_access:  read_only
        .address_space:  global
        .offset:         40
        .size:           8
        .value_kind:     global_buffer
      - .actual_access:  read_only
        .address_space:  global
        .offset:         48
        .size:           8
        .value_kind:     global_buffer
      - .actual_access:  read_only
        .address_space:  global
        .offset:         56
        .size:           8
        .value_kind:     global_buffer
      - .actual_access:  read_only
        .address_space:  global
        .offset:         64
        .size:           8
        .value_kind:     global_buffer
      - .actual_access:  read_only
        .address_space:  global
        .offset:         72
        .size:           8
        .value_kind:     global_buffer
      - .offset:         80
        .size:           8
        .value_kind:     by_value
      - .address_space:  global
        .offset:         88
        .size:           8
        .value_kind:     global_buffer
      - .offset:         96
        .size:           4
        .value_kind:     by_value
      - .offset:         100
        .size:           1
        .value_kind:     by_value
    .group_segment_fixed_size: 1936
    .kernarg_segment_align: 8
    .kernarg_segment_size: 104
    .language:       OpenCL C
    .language_version:
      - 2
      - 0
    .max_flat_workgroup_size: 484
    .name:           _ZN9rocsparseL20bsrxmvn_17_32_kernelILj22EfllDF16_DF16_fEEvT2_20rocsparse_direction_NS_24const_host_device_scalarIT0_EES1_PKS1_PKT1_SA_S7_PKT3_PKT4_S5_PT5_21rocsparse_index_base_b
    .private_segment_fixed_size: 0
    .sgpr_count:     30
    .sgpr_spill_count: 0
    .symbol:         _ZN9rocsparseL20bsrxmvn_17_32_kernelILj22EfllDF16_DF16_fEEvT2_20rocsparse_direction_NS_24const_host_device_scalarIT0_EES1_PKS1_PKT1_SA_S7_PKT3_PKT4_S5_PT5_21rocsparse_index_base_b.kd
    .uniform_work_group_size: 1
    .uses_dynamic_stack: false
    .vgpr_count:     13
    .vgpr_spill_count: 0
    .wavefront_size: 64
  - .args:
      - .offset:         0
        .size:           8
        .value_kind:     by_value
      - .offset:         8
        .size:           4
        .value_kind:     by_value
      - .offset:         16
        .size:           8
        .value_kind:     by_value
      - .offset:         24
        .size:           8
        .value_kind:     by_value
      - .actual_access:  read_only
        .address_space:  global
        .offset:         32
        .size:           8
        .value_kind:     global_buffer
      - .actual_access:  read_only
        .address_space:  global
        .offset:         40
        .size:           8
        .value_kind:     global_buffer
      - .actual_access:  read_only
        .address_space:  global
        .offset:         48
        .size:           8
        .value_kind:     global_buffer
      - .actual_access:  read_only
        .address_space:  global
        .offset:         56
        .size:           8
        .value_kind:     global_buffer
      - .actual_access:  read_only
        .address_space:  global
        .offset:         64
        .size:           8
        .value_kind:     global_buffer
      - .actual_access:  read_only
        .address_space:  global
        .offset:         72
        .size:           8
        .value_kind:     global_buffer
      - .offset:         80
        .size:           8
        .value_kind:     by_value
      - .address_space:  global
        .offset:         88
        .size:           8
        .value_kind:     global_buffer
      - .offset:         96
        .size:           4
        .value_kind:     by_value
      - .offset:         100
        .size:           1
        .value_kind:     by_value
    .group_segment_fixed_size: 2116
    .kernarg_segment_align: 8
    .kernarg_segment_size: 104
    .language:       OpenCL C
    .language_version:
      - 2
      - 0
    .max_flat_workgroup_size: 529
    .name:           _ZN9rocsparseL20bsrxmvn_17_32_kernelILj23EfllDF16_DF16_fEEvT2_20rocsparse_direction_NS_24const_host_device_scalarIT0_EES1_PKS1_PKT1_SA_S7_PKT3_PKT4_S5_PT5_21rocsparse_index_base_b
    .private_segment_fixed_size: 0
    .sgpr_count:     30
    .sgpr_spill_count: 0
    .symbol:         _ZN9rocsparseL20bsrxmvn_17_32_kernelILj23EfllDF16_DF16_fEEvT2_20rocsparse_direction_NS_24const_host_device_scalarIT0_EES1_PKS1_PKT1_SA_S7_PKT3_PKT4_S5_PT5_21rocsparse_index_base_b.kd
    .uniform_work_group_size: 1
    .uses_dynamic_stack: false
    .vgpr_count:     13
    .vgpr_spill_count: 0
    .wavefront_size: 64
  - .args:
      - .offset:         0
        .size:           8
        .value_kind:     by_value
      - .offset:         8
        .size:           4
        .value_kind:     by_value
      - .offset:         16
        .size:           8
        .value_kind:     by_value
      - .offset:         24
        .size:           8
        .value_kind:     by_value
      - .actual_access:  read_only
        .address_space:  global
        .offset:         32
        .size:           8
        .value_kind:     global_buffer
      - .actual_access:  read_only
        .address_space:  global
        .offset:         40
        .size:           8
        .value_kind:     global_buffer
      - .actual_access:  read_only
        .address_space:  global
        .offset:         48
        .size:           8
        .value_kind:     global_buffer
      - .actual_access:  read_only
        .address_space:  global
        .offset:         56
        .size:           8
        .value_kind:     global_buffer
      - .actual_access:  read_only
        .address_space:  global
        .offset:         64
        .size:           8
        .value_kind:     global_buffer
      - .actual_access:  read_only
        .address_space:  global
        .offset:         72
        .size:           8
        .value_kind:     global_buffer
      - .offset:         80
        .size:           8
        .value_kind:     by_value
      - .address_space:  global
        .offset:         88
        .size:           8
        .value_kind:     global_buffer
      - .offset:         96
        .size:           4
        .value_kind:     by_value
      - .offset:         100
        .size:           1
        .value_kind:     by_value
    .group_segment_fixed_size: 2304
    .kernarg_segment_align: 8
    .kernarg_segment_size: 104
    .language:       OpenCL C
    .language_version:
      - 2
      - 0
    .max_flat_workgroup_size: 576
    .name:           _ZN9rocsparseL20bsrxmvn_17_32_kernelILj24EfllDF16_DF16_fEEvT2_20rocsparse_direction_NS_24const_host_device_scalarIT0_EES1_PKS1_PKT1_SA_S7_PKT3_PKT4_S5_PT5_21rocsparse_index_base_b
    .private_segment_fixed_size: 0
    .sgpr_count:     30
    .sgpr_spill_count: 0
    .symbol:         _ZN9rocsparseL20bsrxmvn_17_32_kernelILj24EfllDF16_DF16_fEEvT2_20rocsparse_direction_NS_24const_host_device_scalarIT0_EES1_PKS1_PKT1_SA_S7_PKT3_PKT4_S5_PT5_21rocsparse_index_base_b.kd
    .uniform_work_group_size: 1
    .uses_dynamic_stack: false
    .vgpr_count:     13
    .vgpr_spill_count: 0
    .wavefront_size: 64
  - .args:
      - .offset:         0
        .size:           8
        .value_kind:     by_value
      - .offset:         8
        .size:           4
        .value_kind:     by_value
      - .offset:         16
        .size:           8
        .value_kind:     by_value
      - .offset:         24
        .size:           8
        .value_kind:     by_value
      - .actual_access:  read_only
        .address_space:  global
        .offset:         32
        .size:           8
        .value_kind:     global_buffer
      - .actual_access:  read_only
        .address_space:  global
        .offset:         40
        .size:           8
        .value_kind:     global_buffer
      - .actual_access:  read_only
        .address_space:  global
        .offset:         48
        .size:           8
        .value_kind:     global_buffer
      - .actual_access:  read_only
        .address_space:  global
        .offset:         56
        .size:           8
        .value_kind:     global_buffer
      - .actual_access:  read_only
        .address_space:  global
        .offset:         64
        .size:           8
        .value_kind:     global_buffer
      - .actual_access:  read_only
        .address_space:  global
        .offset:         72
        .size:           8
        .value_kind:     global_buffer
      - .offset:         80
        .size:           8
        .value_kind:     by_value
      - .address_space:  global
        .offset:         88
        .size:           8
        .value_kind:     global_buffer
      - .offset:         96
        .size:           4
        .value_kind:     by_value
      - .offset:         100
        .size:           1
        .value_kind:     by_value
    .group_segment_fixed_size: 2500
    .kernarg_segment_align: 8
    .kernarg_segment_size: 104
    .language:       OpenCL C
    .language_version:
      - 2
      - 0
    .max_flat_workgroup_size: 625
    .name:           _ZN9rocsparseL20bsrxmvn_17_32_kernelILj25EfllDF16_DF16_fEEvT2_20rocsparse_direction_NS_24const_host_device_scalarIT0_EES1_PKS1_PKT1_SA_S7_PKT3_PKT4_S5_PT5_21rocsparse_index_base_b
    .private_segment_fixed_size: 0
    .sgpr_count:     30
    .sgpr_spill_count: 0
    .symbol:         _ZN9rocsparseL20bsrxmvn_17_32_kernelILj25EfllDF16_DF16_fEEvT2_20rocsparse_direction_NS_24const_host_device_scalarIT0_EES1_PKS1_PKT1_SA_S7_PKT3_PKT4_S5_PT5_21rocsparse_index_base_b.kd
    .uniform_work_group_size: 1
    .uses_dynamic_stack: false
    .vgpr_count:     15
    .vgpr_spill_count: 0
    .wavefront_size: 64
  - .args:
      - .offset:         0
        .size:           8
        .value_kind:     by_value
      - .offset:         8
        .size:           4
        .value_kind:     by_value
      - .offset:         16
        .size:           8
        .value_kind:     by_value
      - .offset:         24
        .size:           8
        .value_kind:     by_value
      - .actual_access:  read_only
        .address_space:  global
        .offset:         32
        .size:           8
        .value_kind:     global_buffer
      - .actual_access:  read_only
        .address_space:  global
        .offset:         40
        .size:           8
        .value_kind:     global_buffer
      - .actual_access:  read_only
        .address_space:  global
        .offset:         48
        .size:           8
        .value_kind:     global_buffer
      - .actual_access:  read_only
        .address_space:  global
        .offset:         56
        .size:           8
        .value_kind:     global_buffer
      - .actual_access:  read_only
        .address_space:  global
        .offset:         64
        .size:           8
        .value_kind:     global_buffer
      - .actual_access:  read_only
        .address_space:  global
        .offset:         72
        .size:           8
        .value_kind:     global_buffer
      - .offset:         80
        .size:           8
        .value_kind:     by_value
      - .address_space:  global
        .offset:         88
        .size:           8
        .value_kind:     global_buffer
      - .offset:         96
        .size:           4
        .value_kind:     by_value
      - .offset:         100
        .size:           1
        .value_kind:     by_value
    .group_segment_fixed_size: 2704
    .kernarg_segment_align: 8
    .kernarg_segment_size: 104
    .language:       OpenCL C
    .language_version:
      - 2
      - 0
    .max_flat_workgroup_size: 676
    .name:           _ZN9rocsparseL20bsrxmvn_17_32_kernelILj26EfllDF16_DF16_fEEvT2_20rocsparse_direction_NS_24const_host_device_scalarIT0_EES1_PKS1_PKT1_SA_S7_PKT3_PKT4_S5_PT5_21rocsparse_index_base_b
    .private_segment_fixed_size: 0
    .sgpr_count:     30
    .sgpr_spill_count: 0
    .symbol:         _ZN9rocsparseL20bsrxmvn_17_32_kernelILj26EfllDF16_DF16_fEEvT2_20rocsparse_direction_NS_24const_host_device_scalarIT0_EES1_PKS1_PKT1_SA_S7_PKT3_PKT4_S5_PT5_21rocsparse_index_base_b.kd
    .uniform_work_group_size: 1
    .uses_dynamic_stack: false
    .vgpr_count:     15
    .vgpr_spill_count: 0
    .wavefront_size: 64
  - .args:
      - .offset:         0
        .size:           8
        .value_kind:     by_value
      - .offset:         8
        .size:           4
        .value_kind:     by_value
      - .offset:         16
        .size:           8
        .value_kind:     by_value
      - .offset:         24
        .size:           8
        .value_kind:     by_value
      - .actual_access:  read_only
        .address_space:  global
        .offset:         32
        .size:           8
        .value_kind:     global_buffer
      - .actual_access:  read_only
        .address_space:  global
        .offset:         40
        .size:           8
        .value_kind:     global_buffer
      - .actual_access:  read_only
        .address_space:  global
        .offset:         48
        .size:           8
        .value_kind:     global_buffer
      - .actual_access:  read_only
        .address_space:  global
        .offset:         56
        .size:           8
        .value_kind:     global_buffer
      - .actual_access:  read_only
        .address_space:  global
        .offset:         64
        .size:           8
        .value_kind:     global_buffer
      - .actual_access:  read_only
        .address_space:  global
        .offset:         72
        .size:           8
        .value_kind:     global_buffer
      - .offset:         80
        .size:           8
        .value_kind:     by_value
      - .address_space:  global
        .offset:         88
        .size:           8
        .value_kind:     global_buffer
      - .offset:         96
        .size:           4
        .value_kind:     by_value
      - .offset:         100
        .size:           1
        .value_kind:     by_value
    .group_segment_fixed_size: 2916
    .kernarg_segment_align: 8
    .kernarg_segment_size: 104
    .language:       OpenCL C
    .language_version:
      - 2
      - 0
    .max_flat_workgroup_size: 729
    .name:           _ZN9rocsparseL20bsrxmvn_17_32_kernelILj27EfllDF16_DF16_fEEvT2_20rocsparse_direction_NS_24const_host_device_scalarIT0_EES1_PKS1_PKT1_SA_S7_PKT3_PKT4_S5_PT5_21rocsparse_index_base_b
    .private_segment_fixed_size: 0
    .sgpr_count:     30
    .sgpr_spill_count: 0
    .symbol:         _ZN9rocsparseL20bsrxmvn_17_32_kernelILj27EfllDF16_DF16_fEEvT2_20rocsparse_direction_NS_24const_host_device_scalarIT0_EES1_PKS1_PKT1_SA_S7_PKT3_PKT4_S5_PT5_21rocsparse_index_base_b.kd
    .uniform_work_group_size: 1
    .uses_dynamic_stack: false
    .vgpr_count:     15
    .vgpr_spill_count: 0
    .wavefront_size: 64
  - .args:
      - .offset:         0
        .size:           8
        .value_kind:     by_value
      - .offset:         8
        .size:           4
        .value_kind:     by_value
      - .offset:         16
        .size:           8
        .value_kind:     by_value
      - .offset:         24
        .size:           8
        .value_kind:     by_value
      - .actual_access:  read_only
        .address_space:  global
        .offset:         32
        .size:           8
        .value_kind:     global_buffer
      - .actual_access:  read_only
        .address_space:  global
        .offset:         40
        .size:           8
        .value_kind:     global_buffer
      - .actual_access:  read_only
        .address_space:  global
        .offset:         48
        .size:           8
        .value_kind:     global_buffer
      - .actual_access:  read_only
        .address_space:  global
        .offset:         56
        .size:           8
        .value_kind:     global_buffer
      - .actual_access:  read_only
        .address_space:  global
        .offset:         64
        .size:           8
        .value_kind:     global_buffer
      - .actual_access:  read_only
        .address_space:  global
        .offset:         72
        .size:           8
        .value_kind:     global_buffer
      - .offset:         80
        .size:           8
        .value_kind:     by_value
      - .address_space:  global
        .offset:         88
        .size:           8
        .value_kind:     global_buffer
      - .offset:         96
        .size:           4
        .value_kind:     by_value
      - .offset:         100
        .size:           1
        .value_kind:     by_value
    .group_segment_fixed_size: 3136
    .kernarg_segment_align: 8
    .kernarg_segment_size: 104
    .language:       OpenCL C
    .language_version:
      - 2
      - 0
    .max_flat_workgroup_size: 784
    .name:           _ZN9rocsparseL20bsrxmvn_17_32_kernelILj28EfllDF16_DF16_fEEvT2_20rocsparse_direction_NS_24const_host_device_scalarIT0_EES1_PKS1_PKT1_SA_S7_PKT3_PKT4_S5_PT5_21rocsparse_index_base_b
    .private_segment_fixed_size: 0
    .sgpr_count:     30
    .sgpr_spill_count: 0
    .symbol:         _ZN9rocsparseL20bsrxmvn_17_32_kernelILj28EfllDF16_DF16_fEEvT2_20rocsparse_direction_NS_24const_host_device_scalarIT0_EES1_PKS1_PKT1_SA_S7_PKT3_PKT4_S5_PT5_21rocsparse_index_base_b.kd
    .uniform_work_group_size: 1
    .uses_dynamic_stack: false
    .vgpr_count:     15
    .vgpr_spill_count: 0
    .wavefront_size: 64
  - .args:
      - .offset:         0
        .size:           8
        .value_kind:     by_value
      - .offset:         8
        .size:           4
        .value_kind:     by_value
      - .offset:         16
        .size:           8
        .value_kind:     by_value
      - .offset:         24
        .size:           8
        .value_kind:     by_value
      - .actual_access:  read_only
        .address_space:  global
        .offset:         32
        .size:           8
        .value_kind:     global_buffer
      - .actual_access:  read_only
        .address_space:  global
        .offset:         40
        .size:           8
        .value_kind:     global_buffer
      - .actual_access:  read_only
        .address_space:  global
        .offset:         48
        .size:           8
        .value_kind:     global_buffer
      - .actual_access:  read_only
        .address_space:  global
        .offset:         56
        .size:           8
        .value_kind:     global_buffer
      - .actual_access:  read_only
        .address_space:  global
        .offset:         64
        .size:           8
        .value_kind:     global_buffer
      - .actual_access:  read_only
        .address_space:  global
        .offset:         72
        .size:           8
        .value_kind:     global_buffer
      - .offset:         80
        .size:           8
        .value_kind:     by_value
      - .address_space:  global
        .offset:         88
        .size:           8
        .value_kind:     global_buffer
      - .offset:         96
        .size:           4
        .value_kind:     by_value
      - .offset:         100
        .size:           1
        .value_kind:     by_value
    .group_segment_fixed_size: 3364
    .kernarg_segment_align: 8
    .kernarg_segment_size: 104
    .language:       OpenCL C
    .language_version:
      - 2
      - 0
    .max_flat_workgroup_size: 841
    .name:           _ZN9rocsparseL20bsrxmvn_17_32_kernelILj29EfllDF16_DF16_fEEvT2_20rocsparse_direction_NS_24const_host_device_scalarIT0_EES1_PKS1_PKT1_SA_S7_PKT3_PKT4_S5_PT5_21rocsparse_index_base_b
    .private_segment_fixed_size: 0
    .sgpr_count:     30
    .sgpr_spill_count: 0
    .symbol:         _ZN9rocsparseL20bsrxmvn_17_32_kernelILj29EfllDF16_DF16_fEEvT2_20rocsparse_direction_NS_24const_host_device_scalarIT0_EES1_PKS1_PKT1_SA_S7_PKT3_PKT4_S5_PT5_21rocsparse_index_base_b.kd
    .uniform_work_group_size: 1
    .uses_dynamic_stack: false
    .vgpr_count:     15
    .vgpr_spill_count: 0
    .wavefront_size: 64
  - .args:
      - .offset:         0
        .size:           8
        .value_kind:     by_value
      - .offset:         8
        .size:           4
        .value_kind:     by_value
      - .offset:         16
        .size:           8
        .value_kind:     by_value
      - .offset:         24
        .size:           8
        .value_kind:     by_value
      - .actual_access:  read_only
        .address_space:  global
        .offset:         32
        .size:           8
        .value_kind:     global_buffer
      - .actual_access:  read_only
        .address_space:  global
        .offset:         40
        .size:           8
        .value_kind:     global_buffer
      - .actual_access:  read_only
        .address_space:  global
        .offset:         48
        .size:           8
        .value_kind:     global_buffer
      - .actual_access:  read_only
        .address_space:  global
        .offset:         56
        .size:           8
        .value_kind:     global_buffer
      - .actual_access:  read_only
        .address_space:  global
        .offset:         64
        .size:           8
        .value_kind:     global_buffer
      - .actual_access:  read_only
        .address_space:  global
        .offset:         72
        .size:           8
        .value_kind:     global_buffer
      - .offset:         80
        .size:           8
        .value_kind:     by_value
      - .address_space:  global
        .offset:         88
        .size:           8
        .value_kind:     global_buffer
      - .offset:         96
        .size:           4
        .value_kind:     by_value
      - .offset:         100
        .size:           1
        .value_kind:     by_value
    .group_segment_fixed_size: 3600
    .kernarg_segment_align: 8
    .kernarg_segment_size: 104
    .language:       OpenCL C
    .language_version:
      - 2
      - 0
    .max_flat_workgroup_size: 900
    .name:           _ZN9rocsparseL20bsrxmvn_17_32_kernelILj30EfllDF16_DF16_fEEvT2_20rocsparse_direction_NS_24const_host_device_scalarIT0_EES1_PKS1_PKT1_SA_S7_PKT3_PKT4_S5_PT5_21rocsparse_index_base_b
    .private_segment_fixed_size: 0
    .sgpr_count:     30
    .sgpr_spill_count: 0
    .symbol:         _ZN9rocsparseL20bsrxmvn_17_32_kernelILj30EfllDF16_DF16_fEEvT2_20rocsparse_direction_NS_24const_host_device_scalarIT0_EES1_PKS1_PKT1_SA_S7_PKT3_PKT4_S5_PT5_21rocsparse_index_base_b.kd
    .uniform_work_group_size: 1
    .uses_dynamic_stack: false
    .vgpr_count:     15
    .vgpr_spill_count: 0
    .wavefront_size: 64
  - .args:
      - .offset:         0
        .size:           8
        .value_kind:     by_value
      - .offset:         8
        .size:           4
        .value_kind:     by_value
      - .offset:         16
        .size:           8
        .value_kind:     by_value
      - .offset:         24
        .size:           8
        .value_kind:     by_value
      - .actual_access:  read_only
        .address_space:  global
        .offset:         32
        .size:           8
        .value_kind:     global_buffer
      - .actual_access:  read_only
        .address_space:  global
        .offset:         40
        .size:           8
        .value_kind:     global_buffer
      - .actual_access:  read_only
        .address_space:  global
        .offset:         48
        .size:           8
        .value_kind:     global_buffer
      - .actual_access:  read_only
        .address_space:  global
        .offset:         56
        .size:           8
        .value_kind:     global_buffer
      - .actual_access:  read_only
        .address_space:  global
        .offset:         64
        .size:           8
        .value_kind:     global_buffer
      - .actual_access:  read_only
        .address_space:  global
        .offset:         72
        .size:           8
        .value_kind:     global_buffer
      - .offset:         80
        .size:           8
        .value_kind:     by_value
      - .address_space:  global
        .offset:         88
        .size:           8
        .value_kind:     global_buffer
      - .offset:         96
        .size:           4
        .value_kind:     by_value
      - .offset:         100
        .size:           1
        .value_kind:     by_value
    .group_segment_fixed_size: 3844
    .kernarg_segment_align: 8
    .kernarg_segment_size: 104
    .language:       OpenCL C
    .language_version:
      - 2
      - 0
    .max_flat_workgroup_size: 961
    .name:           _ZN9rocsparseL20bsrxmvn_17_32_kernelILj31EfllDF16_DF16_fEEvT2_20rocsparse_direction_NS_24const_host_device_scalarIT0_EES1_PKS1_PKT1_SA_S7_PKT3_PKT4_S5_PT5_21rocsparse_index_base_b
    .private_segment_fixed_size: 0
    .sgpr_count:     30
    .sgpr_spill_count: 0
    .symbol:         _ZN9rocsparseL20bsrxmvn_17_32_kernelILj31EfllDF16_DF16_fEEvT2_20rocsparse_direction_NS_24const_host_device_scalarIT0_EES1_PKS1_PKT1_SA_S7_PKT3_PKT4_S5_PT5_21rocsparse_index_base_b.kd
    .uniform_work_group_size: 1
    .uses_dynamic_stack: false
    .vgpr_count:     15
    .vgpr_spill_count: 0
    .wavefront_size: 64
  - .args:
      - .offset:         0
        .size:           8
        .value_kind:     by_value
      - .offset:         8
        .size:           4
        .value_kind:     by_value
      - .offset:         16
        .size:           8
        .value_kind:     by_value
      - .offset:         24
        .size:           8
        .value_kind:     by_value
      - .actual_access:  read_only
        .address_space:  global
        .offset:         32
        .size:           8
        .value_kind:     global_buffer
      - .actual_access:  read_only
        .address_space:  global
        .offset:         40
        .size:           8
        .value_kind:     global_buffer
      - .actual_access:  read_only
        .address_space:  global
        .offset:         48
        .size:           8
        .value_kind:     global_buffer
      - .actual_access:  read_only
        .address_space:  global
        .offset:         56
        .size:           8
        .value_kind:     global_buffer
      - .actual_access:  read_only
        .address_space:  global
        .offset:         64
        .size:           8
        .value_kind:     global_buffer
      - .actual_access:  read_only
        .address_space:  global
        .offset:         72
        .size:           8
        .value_kind:     global_buffer
      - .offset:         80
        .size:           8
        .value_kind:     by_value
      - .address_space:  global
        .offset:         88
        .size:           8
        .value_kind:     global_buffer
      - .offset:         96
        .size:           4
        .value_kind:     by_value
      - .offset:         100
        .size:           1
        .value_kind:     by_value
    .group_segment_fixed_size: 4096
    .kernarg_segment_align: 8
    .kernarg_segment_size: 104
    .language:       OpenCL C
    .language_version:
      - 2
      - 0
    .max_flat_workgroup_size: 1024
    .name:           _ZN9rocsparseL20bsrxmvn_17_32_kernelILj32EfllDF16_DF16_fEEvT2_20rocsparse_direction_NS_24const_host_device_scalarIT0_EES1_PKS1_PKT1_SA_S7_PKT3_PKT4_S5_PT5_21rocsparse_index_base_b
    .private_segment_fixed_size: 0
    .sgpr_count:     30
    .sgpr_spill_count: 0
    .symbol:         _ZN9rocsparseL20bsrxmvn_17_32_kernelILj32EfllDF16_DF16_fEEvT2_20rocsparse_direction_NS_24const_host_device_scalarIT0_EES1_PKS1_PKT1_SA_S7_PKT3_PKT4_S5_PT5_21rocsparse_index_base_b.kd
    .uniform_work_group_size: 1
    .uses_dynamic_stack: false
    .vgpr_count:     12
    .vgpr_spill_count: 0
    .wavefront_size: 64
  - .args:
      - .offset:         0
        .size:           4
        .value_kind:     by_value
      - .offset:         4
        .size:           4
        .value_kind:     by_value
      - .offset:         8
        .size:           8
        .value_kind:     by_value
      - .offset:         16
        .size:           4
        .value_kind:     by_value
      - .actual_access:  read_only
        .address_space:  global
        .offset:         24
        .size:           8
        .value_kind:     global_buffer
      - .actual_access:  read_only
        .address_space:  global
        .offset:         32
        .size:           8
        .value_kind:     global_buffer
      - .actual_access:  read_only
        .address_space:  global
        .offset:         40
        .size:           8
        .value_kind:     global_buffer
      - .actual_access:  read_only
        .address_space:  global
        .offset:         48
        .size:           8
        .value_kind:     global_buffer
      - .actual_access:  read_only
        .address_space:  global
        .offset:         56
        .size:           8
        .value_kind:     global_buffer
      - .actual_access:  read_only
        .address_space:  global
        .offset:         64
        .size:           8
        .value_kind:     global_buffer
      - .offset:         72
        .size:           8
        .value_kind:     by_value
      - .address_space:  global
        .offset:         80
        .size:           8
        .value_kind:     global_buffer
      - .offset:         88
        .size:           4
        .value_kind:     by_value
      - .offset:         92
        .size:           1
        .value_kind:     by_value
    .group_segment_fixed_size: 1156
    .kernarg_segment_align: 8
    .kernarg_segment_size: 96
    .language:       OpenCL C
    .language_version:
      - 2
      - 0
    .max_flat_workgroup_size: 289
    .name:           _ZN9rocsparseL20bsrxmvn_17_32_kernelILj17Efii18rocsparse_bfloat16S1_fEEvT2_20rocsparse_direction_NS_24const_host_device_scalarIT0_EES2_PKS2_PKT1_SB_S8_PKT3_PKT4_S6_PT5_21rocsparse_index_base_b
    .private_segment_fixed_size: 0
    .sgpr_count:     26
    .sgpr_spill_count: 0
    .symbol:         _ZN9rocsparseL20bsrxmvn_17_32_kernelILj17Efii18rocsparse_bfloat16S1_fEEvT2_20rocsparse_direction_NS_24const_host_device_scalarIT0_EES2_PKS2_PKT1_SB_S8_PKT3_PKT4_S6_PT5_21rocsparse_index_base_b.kd
    .uniform_work_group_size: 1
    .uses_dynamic_stack: false
    .vgpr_count:     11
    .vgpr_spill_count: 0
    .wavefront_size: 64
  - .args:
      - .offset:         0
        .size:           4
        .value_kind:     by_value
      - .offset:         4
        .size:           4
        .value_kind:     by_value
      - .offset:         8
        .size:           8
        .value_kind:     by_value
      - .offset:         16
        .size:           4
        .value_kind:     by_value
      - .actual_access:  read_only
        .address_space:  global
        .offset:         24
        .size:           8
        .value_kind:     global_buffer
      - .actual_access:  read_only
        .address_space:  global
        .offset:         32
        .size:           8
        .value_kind:     global_buffer
      - .actual_access:  read_only
        .address_space:  global
        .offset:         40
        .size:           8
        .value_kind:     global_buffer
      - .actual_access:  read_only
        .address_space:  global
        .offset:         48
        .size:           8
        .value_kind:     global_buffer
      - .actual_access:  read_only
        .address_space:  global
        .offset:         56
        .size:           8
        .value_kind:     global_buffer
      - .actual_access:  read_only
        .address_space:  global
        .offset:         64
        .size:           8
        .value_kind:     global_buffer
      - .offset:         72
        .size:           8
        .value_kind:     by_value
      - .address_space:  global
        .offset:         80
        .size:           8
        .value_kind:     global_buffer
      - .offset:         88
        .size:           4
        .value_kind:     by_value
      - .offset:         92
        .size:           1
        .value_kind:     by_value
    .group_segment_fixed_size: 1296
    .kernarg_segment_align: 8
    .kernarg_segment_size: 96
    .language:       OpenCL C
    .language_version:
      - 2
      - 0
    .max_flat_workgroup_size: 324
    .name:           _ZN9rocsparseL20bsrxmvn_17_32_kernelILj18Efii18rocsparse_bfloat16S1_fEEvT2_20rocsparse_direction_NS_24const_host_device_scalarIT0_EES2_PKS2_PKT1_SB_S8_PKT3_PKT4_S6_PT5_21rocsparse_index_base_b
    .private_segment_fixed_size: 0
    .sgpr_count:     26
    .sgpr_spill_count: 0
    .symbol:         _ZN9rocsparseL20bsrxmvn_17_32_kernelILj18Efii18rocsparse_bfloat16S1_fEEvT2_20rocsparse_direction_NS_24const_host_device_scalarIT0_EES2_PKS2_PKT1_SB_S8_PKT3_PKT4_S6_PT5_21rocsparse_index_base_b.kd
    .uniform_work_group_size: 1
    .uses_dynamic_stack: false
    .vgpr_count:     11
    .vgpr_spill_count: 0
    .wavefront_size: 64
  - .args:
      - .offset:         0
        .size:           4
        .value_kind:     by_value
      - .offset:         4
        .size:           4
        .value_kind:     by_value
      - .offset:         8
        .size:           8
        .value_kind:     by_value
      - .offset:         16
        .size:           4
        .value_kind:     by_value
      - .actual_access:  read_only
        .address_space:  global
        .offset:         24
        .size:           8
        .value_kind:     global_buffer
      - .actual_access:  read_only
        .address_space:  global
        .offset:         32
        .size:           8
        .value_kind:     global_buffer
      - .actual_access:  read_only
        .address_space:  global
        .offset:         40
        .size:           8
        .value_kind:     global_buffer
      - .actual_access:  read_only
        .address_space:  global
        .offset:         48
        .size:           8
        .value_kind:     global_buffer
      - .actual_access:  read_only
        .address_space:  global
        .offset:         56
        .size:           8
        .value_kind:     global_buffer
      - .actual_access:  read_only
        .address_space:  global
        .offset:         64
        .size:           8
        .value_kind:     global_buffer
      - .offset:         72
        .size:           8
        .value_kind:     by_value
      - .address_space:  global
        .offset:         80
        .size:           8
        .value_kind:     global_buffer
      - .offset:         88
        .size:           4
        .value_kind:     by_value
      - .offset:         92
        .size:           1
        .value_kind:     by_value
    .group_segment_fixed_size: 1444
    .kernarg_segment_align: 8
    .kernarg_segment_size: 96
    .language:       OpenCL C
    .language_version:
      - 2
      - 0
    .max_flat_workgroup_size: 361
    .name:           _ZN9rocsparseL20bsrxmvn_17_32_kernelILj19Efii18rocsparse_bfloat16S1_fEEvT2_20rocsparse_direction_NS_24const_host_device_scalarIT0_EES2_PKS2_PKT1_SB_S8_PKT3_PKT4_S6_PT5_21rocsparse_index_base_b
    .private_segment_fixed_size: 0
    .sgpr_count:     26
    .sgpr_spill_count: 0
    .symbol:         _ZN9rocsparseL20bsrxmvn_17_32_kernelILj19Efii18rocsparse_bfloat16S1_fEEvT2_20rocsparse_direction_NS_24const_host_device_scalarIT0_EES2_PKS2_PKT1_SB_S8_PKT3_PKT4_S6_PT5_21rocsparse_index_base_b.kd
    .uniform_work_group_size: 1
    .uses_dynamic_stack: false
    .vgpr_count:     11
    .vgpr_spill_count: 0
    .wavefront_size: 64
  - .args:
      - .offset:         0
        .size:           4
        .value_kind:     by_value
      - .offset:         4
        .size:           4
        .value_kind:     by_value
      - .offset:         8
        .size:           8
        .value_kind:     by_value
      - .offset:         16
        .size:           4
        .value_kind:     by_value
      - .actual_access:  read_only
        .address_space:  global
        .offset:         24
        .size:           8
        .value_kind:     global_buffer
      - .actual_access:  read_only
        .address_space:  global
        .offset:         32
        .size:           8
        .value_kind:     global_buffer
      - .actual_access:  read_only
        .address_space:  global
        .offset:         40
        .size:           8
        .value_kind:     global_buffer
      - .actual_access:  read_only
        .address_space:  global
        .offset:         48
        .size:           8
        .value_kind:     global_buffer
      - .actual_access:  read_only
        .address_space:  global
        .offset:         56
        .size:           8
        .value_kind:     global_buffer
      - .actual_access:  read_only
        .address_space:  global
        .offset:         64
        .size:           8
        .value_kind:     global_buffer
      - .offset:         72
        .size:           8
        .value_kind:     by_value
      - .address_space:  global
        .offset:         80
        .size:           8
        .value_kind:     global_buffer
      - .offset:         88
        .size:           4
        .value_kind:     by_value
      - .offset:         92
        .size:           1
        .value_kind:     by_value
    .group_segment_fixed_size: 1600
    .kernarg_segment_align: 8
    .kernarg_segment_size: 96
    .language:       OpenCL C
    .language_version:
      - 2
      - 0
    .max_flat_workgroup_size: 400
    .name:           _ZN9rocsparseL20bsrxmvn_17_32_kernelILj20Efii18rocsparse_bfloat16S1_fEEvT2_20rocsparse_direction_NS_24const_host_device_scalarIT0_EES2_PKS2_PKT1_SB_S8_PKT3_PKT4_S6_PT5_21rocsparse_index_base_b
    .private_segment_fixed_size: 0
    .sgpr_count:     26
    .sgpr_spill_count: 0
    .symbol:         _ZN9rocsparseL20bsrxmvn_17_32_kernelILj20Efii18rocsparse_bfloat16S1_fEEvT2_20rocsparse_direction_NS_24const_host_device_scalarIT0_EES2_PKS2_PKT1_SB_S8_PKT3_PKT4_S6_PT5_21rocsparse_index_base_b.kd
    .uniform_work_group_size: 1
    .uses_dynamic_stack: false
    .vgpr_count:     11
    .vgpr_spill_count: 0
    .wavefront_size: 64
  - .args:
      - .offset:         0
        .size:           4
        .value_kind:     by_value
      - .offset:         4
        .size:           4
        .value_kind:     by_value
      - .offset:         8
        .size:           8
        .value_kind:     by_value
      - .offset:         16
        .size:           4
        .value_kind:     by_value
      - .actual_access:  read_only
        .address_space:  global
        .offset:         24
        .size:           8
        .value_kind:     global_buffer
      - .actual_access:  read_only
        .address_space:  global
        .offset:         32
        .size:           8
        .value_kind:     global_buffer
      - .actual_access:  read_only
        .address_space:  global
        .offset:         40
        .size:           8
        .value_kind:     global_buffer
      - .actual_access:  read_only
        .address_space:  global
        .offset:         48
        .size:           8
        .value_kind:     global_buffer
      - .actual_access:  read_only
        .address_space:  global
        .offset:         56
        .size:           8
        .value_kind:     global_buffer
      - .actual_access:  read_only
        .address_space:  global
        .offset:         64
        .size:           8
        .value_kind:     global_buffer
      - .offset:         72
        .size:           8
        .value_kind:     by_value
      - .address_space:  global
        .offset:         80
        .size:           8
        .value_kind:     global_buffer
      - .offset:         88
        .size:           4
        .value_kind:     by_value
      - .offset:         92
        .size:           1
        .value_kind:     by_value
    .group_segment_fixed_size: 1764
    .kernarg_segment_align: 8
    .kernarg_segment_size: 96
    .language:       OpenCL C
    .language_version:
      - 2
      - 0
    .max_flat_workgroup_size: 441
    .name:           _ZN9rocsparseL20bsrxmvn_17_32_kernelILj21Efii18rocsparse_bfloat16S1_fEEvT2_20rocsparse_direction_NS_24const_host_device_scalarIT0_EES2_PKS2_PKT1_SB_S8_PKT3_PKT4_S6_PT5_21rocsparse_index_base_b
    .private_segment_fixed_size: 0
    .sgpr_count:     26
    .sgpr_spill_count: 0
    .symbol:         _ZN9rocsparseL20bsrxmvn_17_32_kernelILj21Efii18rocsparse_bfloat16S1_fEEvT2_20rocsparse_direction_NS_24const_host_device_scalarIT0_EES2_PKS2_PKT1_SB_S8_PKT3_PKT4_S6_PT5_21rocsparse_index_base_b.kd
    .uniform_work_group_size: 1
    .uses_dynamic_stack: false
    .vgpr_count:     11
    .vgpr_spill_count: 0
    .wavefront_size: 64
  - .args:
      - .offset:         0
        .size:           4
        .value_kind:     by_value
      - .offset:         4
        .size:           4
        .value_kind:     by_value
      - .offset:         8
        .size:           8
        .value_kind:     by_value
      - .offset:         16
        .size:           4
        .value_kind:     by_value
      - .actual_access:  read_only
        .address_space:  global
        .offset:         24
        .size:           8
        .value_kind:     global_buffer
      - .actual_access:  read_only
        .address_space:  global
        .offset:         32
        .size:           8
        .value_kind:     global_buffer
      - .actual_access:  read_only
        .address_space:  global
        .offset:         40
        .size:           8
        .value_kind:     global_buffer
      - .actual_access:  read_only
        .address_space:  global
        .offset:         48
        .size:           8
        .value_kind:     global_buffer
      - .actual_access:  read_only
        .address_space:  global
        .offset:         56
        .size:           8
        .value_kind:     global_buffer
      - .actual_access:  read_only
        .address_space:  global
        .offset:         64
        .size:           8
        .value_kind:     global_buffer
      - .offset:         72
        .size:           8
        .value_kind:     by_value
      - .address_space:  global
        .offset:         80
        .size:           8
        .value_kind:     global_buffer
      - .offset:         88
        .size:           4
        .value_kind:     by_value
      - .offset:         92
        .size:           1
        .value_kind:     by_value
    .group_segment_fixed_size: 1936
    .kernarg_segment_align: 8
    .kernarg_segment_size: 96
    .language:       OpenCL C
    .language_version:
      - 2
      - 0
    .max_flat_workgroup_size: 484
    .name:           _ZN9rocsparseL20bsrxmvn_17_32_kernelILj22Efii18rocsparse_bfloat16S1_fEEvT2_20rocsparse_direction_NS_24const_host_device_scalarIT0_EES2_PKS2_PKT1_SB_S8_PKT3_PKT4_S6_PT5_21rocsparse_index_base_b
    .private_segment_fixed_size: 0
    .sgpr_count:     26
    .sgpr_spill_count: 0
    .symbol:         _ZN9rocsparseL20bsrxmvn_17_32_kernelILj22Efii18rocsparse_bfloat16S1_fEEvT2_20rocsparse_direction_NS_24const_host_device_scalarIT0_EES2_PKS2_PKT1_SB_S8_PKT3_PKT4_S6_PT5_21rocsparse_index_base_b.kd
    .uniform_work_group_size: 1
    .uses_dynamic_stack: false
    .vgpr_count:     11
    .vgpr_spill_count: 0
    .wavefront_size: 64
  - .args:
      - .offset:         0
        .size:           4
        .value_kind:     by_value
      - .offset:         4
        .size:           4
        .value_kind:     by_value
      - .offset:         8
        .size:           8
        .value_kind:     by_value
      - .offset:         16
        .size:           4
        .value_kind:     by_value
      - .actual_access:  read_only
        .address_space:  global
        .offset:         24
        .size:           8
        .value_kind:     global_buffer
      - .actual_access:  read_only
        .address_space:  global
        .offset:         32
        .size:           8
        .value_kind:     global_buffer
      - .actual_access:  read_only
        .address_space:  global
        .offset:         40
        .size:           8
        .value_kind:     global_buffer
      - .actual_access:  read_only
        .address_space:  global
        .offset:         48
        .size:           8
        .value_kind:     global_buffer
      - .actual_access:  read_only
        .address_space:  global
        .offset:         56
        .size:           8
        .value_kind:     global_buffer
      - .actual_access:  read_only
        .address_space:  global
        .offset:         64
        .size:           8
        .value_kind:     global_buffer
      - .offset:         72
        .size:           8
        .value_kind:     by_value
      - .address_space:  global
        .offset:         80
        .size:           8
        .value_kind:     global_buffer
      - .offset:         88
        .size:           4
        .value_kind:     by_value
      - .offset:         92
        .size:           1
        .value_kind:     by_value
    .group_segment_fixed_size: 2116
    .kernarg_segment_align: 8
    .kernarg_segment_size: 96
    .language:       OpenCL C
    .language_version:
      - 2
      - 0
    .max_flat_workgroup_size: 529
    .name:           _ZN9rocsparseL20bsrxmvn_17_32_kernelILj23Efii18rocsparse_bfloat16S1_fEEvT2_20rocsparse_direction_NS_24const_host_device_scalarIT0_EES2_PKS2_PKT1_SB_S8_PKT3_PKT4_S6_PT5_21rocsparse_index_base_b
    .private_segment_fixed_size: 0
    .sgpr_count:     26
    .sgpr_spill_count: 0
    .symbol:         _ZN9rocsparseL20bsrxmvn_17_32_kernelILj23Efii18rocsparse_bfloat16S1_fEEvT2_20rocsparse_direction_NS_24const_host_device_scalarIT0_EES2_PKS2_PKT1_SB_S8_PKT3_PKT4_S6_PT5_21rocsparse_index_base_b.kd
    .uniform_work_group_size: 1
    .uses_dynamic_stack: false
    .vgpr_count:     11
    .vgpr_spill_count: 0
    .wavefront_size: 64
  - .args:
      - .offset:         0
        .size:           4
        .value_kind:     by_value
      - .offset:         4
        .size:           4
        .value_kind:     by_value
      - .offset:         8
        .size:           8
        .value_kind:     by_value
      - .offset:         16
        .size:           4
        .value_kind:     by_value
      - .actual_access:  read_only
        .address_space:  global
        .offset:         24
        .size:           8
        .value_kind:     global_buffer
      - .actual_access:  read_only
        .address_space:  global
        .offset:         32
        .size:           8
        .value_kind:     global_buffer
      - .actual_access:  read_only
        .address_space:  global
        .offset:         40
        .size:           8
        .value_kind:     global_buffer
      - .actual_access:  read_only
        .address_space:  global
        .offset:         48
        .size:           8
        .value_kind:     global_buffer
      - .actual_access:  read_only
        .address_space:  global
        .offset:         56
        .size:           8
        .value_kind:     global_buffer
      - .actual_access:  read_only
        .address_space:  global
        .offset:         64
        .size:           8
        .value_kind:     global_buffer
      - .offset:         72
        .size:           8
        .value_kind:     by_value
      - .address_space:  global
        .offset:         80
        .size:           8
        .value_kind:     global_buffer
      - .offset:         88
        .size:           4
        .value_kind:     by_value
      - .offset:         92
        .size:           1
        .value_kind:     by_value
    .group_segment_fixed_size: 2304
    .kernarg_segment_align: 8
    .kernarg_segment_size: 96
    .language:       OpenCL C
    .language_version:
      - 2
      - 0
    .max_flat_workgroup_size: 576
    .name:           _ZN9rocsparseL20bsrxmvn_17_32_kernelILj24Efii18rocsparse_bfloat16S1_fEEvT2_20rocsparse_direction_NS_24const_host_device_scalarIT0_EES2_PKS2_PKT1_SB_S8_PKT3_PKT4_S6_PT5_21rocsparse_index_base_b
    .private_segment_fixed_size: 0
    .sgpr_count:     26
    .sgpr_spill_count: 0
    .symbol:         _ZN9rocsparseL20bsrxmvn_17_32_kernelILj24Efii18rocsparse_bfloat16S1_fEEvT2_20rocsparse_direction_NS_24const_host_device_scalarIT0_EES2_PKS2_PKT1_SB_S8_PKT3_PKT4_S6_PT5_21rocsparse_index_base_b.kd
    .uniform_work_group_size: 1
    .uses_dynamic_stack: false
    .vgpr_count:     11
    .vgpr_spill_count: 0
    .wavefront_size: 64
  - .args:
      - .offset:         0
        .size:           4
        .value_kind:     by_value
      - .offset:         4
        .size:           4
        .value_kind:     by_value
      - .offset:         8
        .size:           8
        .value_kind:     by_value
      - .offset:         16
        .size:           4
        .value_kind:     by_value
      - .actual_access:  read_only
        .address_space:  global
        .offset:         24
        .size:           8
        .value_kind:     global_buffer
      - .actual_access:  read_only
        .address_space:  global
        .offset:         32
        .size:           8
        .value_kind:     global_buffer
      - .actual_access:  read_only
        .address_space:  global
        .offset:         40
        .size:           8
        .value_kind:     global_buffer
      - .actual_access:  read_only
        .address_space:  global
        .offset:         48
        .size:           8
        .value_kind:     global_buffer
      - .actual_access:  read_only
        .address_space:  global
        .offset:         56
        .size:           8
        .value_kind:     global_buffer
      - .actual_access:  read_only
        .address_space:  global
        .offset:         64
        .size:           8
        .value_kind:     global_buffer
      - .offset:         72
        .size:           8
        .value_kind:     by_value
      - .address_space:  global
        .offset:         80
        .size:           8
        .value_kind:     global_buffer
      - .offset:         88
        .size:           4
        .value_kind:     by_value
      - .offset:         92
        .size:           1
        .value_kind:     by_value
    .group_segment_fixed_size: 2500
    .kernarg_segment_align: 8
    .kernarg_segment_size: 96
    .language:       OpenCL C
    .language_version:
      - 2
      - 0
    .max_flat_workgroup_size: 625
    .name:           _ZN9rocsparseL20bsrxmvn_17_32_kernelILj25Efii18rocsparse_bfloat16S1_fEEvT2_20rocsparse_direction_NS_24const_host_device_scalarIT0_EES2_PKS2_PKT1_SB_S8_PKT3_PKT4_S6_PT5_21rocsparse_index_base_b
    .private_segment_fixed_size: 0
    .sgpr_count:     26
    .sgpr_spill_count: 0
    .symbol:         _ZN9rocsparseL20bsrxmvn_17_32_kernelILj25Efii18rocsparse_bfloat16S1_fEEvT2_20rocsparse_direction_NS_24const_host_device_scalarIT0_EES2_PKS2_PKT1_SB_S8_PKT3_PKT4_S6_PT5_21rocsparse_index_base_b.kd
    .uniform_work_group_size: 1
    .uses_dynamic_stack: false
    .vgpr_count:     11
    .vgpr_spill_count: 0
    .wavefront_size: 64
  - .args:
      - .offset:         0
        .size:           4
        .value_kind:     by_value
      - .offset:         4
        .size:           4
        .value_kind:     by_value
      - .offset:         8
        .size:           8
        .value_kind:     by_value
      - .offset:         16
        .size:           4
        .value_kind:     by_value
      - .actual_access:  read_only
        .address_space:  global
        .offset:         24
        .size:           8
        .value_kind:     global_buffer
      - .actual_access:  read_only
        .address_space:  global
        .offset:         32
        .size:           8
        .value_kind:     global_buffer
      - .actual_access:  read_only
        .address_space:  global
        .offset:         40
        .size:           8
        .value_kind:     global_buffer
      - .actual_access:  read_only
        .address_space:  global
        .offset:         48
        .size:           8
        .value_kind:     global_buffer
      - .actual_access:  read_only
        .address_space:  global
        .offset:         56
        .size:           8
        .value_kind:     global_buffer
      - .actual_access:  read_only
        .address_space:  global
        .offset:         64
        .size:           8
        .value_kind:     global_buffer
      - .offset:         72
        .size:           8
        .value_kind:     by_value
      - .address_space:  global
        .offset:         80
        .size:           8
        .value_kind:     global_buffer
      - .offset:         88
        .size:           4
        .value_kind:     by_value
      - .offset:         92
        .size:           1
        .value_kind:     by_value
    .group_segment_fixed_size: 2704
    .kernarg_segment_align: 8
    .kernarg_segment_size: 96
    .language:       OpenCL C
    .language_version:
      - 2
      - 0
    .max_flat_workgroup_size: 676
    .name:           _ZN9rocsparseL20bsrxmvn_17_32_kernelILj26Efii18rocsparse_bfloat16S1_fEEvT2_20rocsparse_direction_NS_24const_host_device_scalarIT0_EES2_PKS2_PKT1_SB_S8_PKT3_PKT4_S6_PT5_21rocsparse_index_base_b
    .private_segment_fixed_size: 0
    .sgpr_count:     26
    .sgpr_spill_count: 0
    .symbol:         _ZN9rocsparseL20bsrxmvn_17_32_kernelILj26Efii18rocsparse_bfloat16S1_fEEvT2_20rocsparse_direction_NS_24const_host_device_scalarIT0_EES2_PKS2_PKT1_SB_S8_PKT3_PKT4_S6_PT5_21rocsparse_index_base_b.kd
    .uniform_work_group_size: 1
    .uses_dynamic_stack: false
    .vgpr_count:     11
    .vgpr_spill_count: 0
    .wavefront_size: 64
  - .args:
      - .offset:         0
        .size:           4
        .value_kind:     by_value
      - .offset:         4
        .size:           4
        .value_kind:     by_value
      - .offset:         8
        .size:           8
        .value_kind:     by_value
      - .offset:         16
        .size:           4
        .value_kind:     by_value
      - .actual_access:  read_only
        .address_space:  global
        .offset:         24
        .size:           8
        .value_kind:     global_buffer
      - .actual_access:  read_only
        .address_space:  global
        .offset:         32
        .size:           8
        .value_kind:     global_buffer
      - .actual_access:  read_only
        .address_space:  global
        .offset:         40
        .size:           8
        .value_kind:     global_buffer
      - .actual_access:  read_only
        .address_space:  global
        .offset:         48
        .size:           8
        .value_kind:     global_buffer
      - .actual_access:  read_only
        .address_space:  global
        .offset:         56
        .size:           8
        .value_kind:     global_buffer
      - .actual_access:  read_only
        .address_space:  global
        .offset:         64
        .size:           8
        .value_kind:     global_buffer
      - .offset:         72
        .size:           8
        .value_kind:     by_value
      - .address_space:  global
        .offset:         80
        .size:           8
        .value_kind:     global_buffer
      - .offset:         88
        .size:           4
        .value_kind:     by_value
      - .offset:         92
        .size:           1
        .value_kind:     by_value
    .group_segment_fixed_size: 2916
    .kernarg_segment_align: 8
    .kernarg_segment_size: 96
    .language:       OpenCL C
    .language_version:
      - 2
      - 0
    .max_flat_workgroup_size: 729
    .name:           _ZN9rocsparseL20bsrxmvn_17_32_kernelILj27Efii18rocsparse_bfloat16S1_fEEvT2_20rocsparse_direction_NS_24const_host_device_scalarIT0_EES2_PKS2_PKT1_SB_S8_PKT3_PKT4_S6_PT5_21rocsparse_index_base_b
    .private_segment_fixed_size: 0
    .sgpr_count:     26
    .sgpr_spill_count: 0
    .symbol:         _ZN9rocsparseL20bsrxmvn_17_32_kernelILj27Efii18rocsparse_bfloat16S1_fEEvT2_20rocsparse_direction_NS_24const_host_device_scalarIT0_EES2_PKS2_PKT1_SB_S8_PKT3_PKT4_S6_PT5_21rocsparse_index_base_b.kd
    .uniform_work_group_size: 1
    .uses_dynamic_stack: false
    .vgpr_count:     11
    .vgpr_spill_count: 0
    .wavefront_size: 64
  - .args:
      - .offset:         0
        .size:           4
        .value_kind:     by_value
      - .offset:         4
        .size:           4
        .value_kind:     by_value
      - .offset:         8
        .size:           8
        .value_kind:     by_value
      - .offset:         16
        .size:           4
        .value_kind:     by_value
      - .actual_access:  read_only
        .address_space:  global
        .offset:         24
        .size:           8
        .value_kind:     global_buffer
      - .actual_access:  read_only
        .address_space:  global
        .offset:         32
        .size:           8
        .value_kind:     global_buffer
      - .actual_access:  read_only
        .address_space:  global
        .offset:         40
        .size:           8
        .value_kind:     global_buffer
      - .actual_access:  read_only
        .address_space:  global
        .offset:         48
        .size:           8
        .value_kind:     global_buffer
      - .actual_access:  read_only
        .address_space:  global
        .offset:         56
        .size:           8
        .value_kind:     global_buffer
      - .actual_access:  read_only
        .address_space:  global
        .offset:         64
        .size:           8
        .value_kind:     global_buffer
      - .offset:         72
        .size:           8
        .value_kind:     by_value
      - .address_space:  global
        .offset:         80
        .size:           8
        .value_kind:     global_buffer
      - .offset:         88
        .size:           4
        .value_kind:     by_value
      - .offset:         92
        .size:           1
        .value_kind:     by_value
    .group_segment_fixed_size: 3136
    .kernarg_segment_align: 8
    .kernarg_segment_size: 96
    .language:       OpenCL C
    .language_version:
      - 2
      - 0
    .max_flat_workgroup_size: 784
    .name:           _ZN9rocsparseL20bsrxmvn_17_32_kernelILj28Efii18rocsparse_bfloat16S1_fEEvT2_20rocsparse_direction_NS_24const_host_device_scalarIT0_EES2_PKS2_PKT1_SB_S8_PKT3_PKT4_S6_PT5_21rocsparse_index_base_b
    .private_segment_fixed_size: 0
    .sgpr_count:     26
    .sgpr_spill_count: 0
    .symbol:         _ZN9rocsparseL20bsrxmvn_17_32_kernelILj28Efii18rocsparse_bfloat16S1_fEEvT2_20rocsparse_direction_NS_24const_host_device_scalarIT0_EES2_PKS2_PKT1_SB_S8_PKT3_PKT4_S6_PT5_21rocsparse_index_base_b.kd
    .uniform_work_group_size: 1
    .uses_dynamic_stack: false
    .vgpr_count:     11
    .vgpr_spill_count: 0
    .wavefront_size: 64
  - .args:
      - .offset:         0
        .size:           4
        .value_kind:     by_value
      - .offset:         4
        .size:           4
        .value_kind:     by_value
      - .offset:         8
        .size:           8
        .value_kind:     by_value
      - .offset:         16
        .size:           4
        .value_kind:     by_value
      - .actual_access:  read_only
        .address_space:  global
        .offset:         24
        .size:           8
        .value_kind:     global_buffer
      - .actual_access:  read_only
        .address_space:  global
        .offset:         32
        .size:           8
        .value_kind:     global_buffer
      - .actual_access:  read_only
        .address_space:  global
        .offset:         40
        .size:           8
        .value_kind:     global_buffer
      - .actual_access:  read_only
        .address_space:  global
        .offset:         48
        .size:           8
        .value_kind:     global_buffer
      - .actual_access:  read_only
        .address_space:  global
        .offset:         56
        .size:           8
        .value_kind:     global_buffer
      - .actual_access:  read_only
        .address_space:  global
        .offset:         64
        .size:           8
        .value_kind:     global_buffer
      - .offset:         72
        .size:           8
        .value_kind:     by_value
      - .address_space:  global
        .offset:         80
        .size:           8
        .value_kind:     global_buffer
      - .offset:         88
        .size:           4
        .value_kind:     by_value
      - .offset:         92
        .size:           1
        .value_kind:     by_value
    .group_segment_fixed_size: 3364
    .kernarg_segment_align: 8
    .kernarg_segment_size: 96
    .language:       OpenCL C
    .language_version:
      - 2
      - 0
    .max_flat_workgroup_size: 841
    .name:           _ZN9rocsparseL20bsrxmvn_17_32_kernelILj29Efii18rocsparse_bfloat16S1_fEEvT2_20rocsparse_direction_NS_24const_host_device_scalarIT0_EES2_PKS2_PKT1_SB_S8_PKT3_PKT4_S6_PT5_21rocsparse_index_base_b
    .private_segment_fixed_size: 0
    .sgpr_count:     26
    .sgpr_spill_count: 0
    .symbol:         _ZN9rocsparseL20bsrxmvn_17_32_kernelILj29Efii18rocsparse_bfloat16S1_fEEvT2_20rocsparse_direction_NS_24const_host_device_scalarIT0_EES2_PKS2_PKT1_SB_S8_PKT3_PKT4_S6_PT5_21rocsparse_index_base_b.kd
    .uniform_work_group_size: 1
    .uses_dynamic_stack: false
    .vgpr_count:     11
    .vgpr_spill_count: 0
    .wavefront_size: 64
  - .args:
      - .offset:         0
        .size:           4
        .value_kind:     by_value
      - .offset:         4
        .size:           4
        .value_kind:     by_value
      - .offset:         8
        .size:           8
        .value_kind:     by_value
      - .offset:         16
        .size:           4
        .value_kind:     by_value
      - .actual_access:  read_only
        .address_space:  global
        .offset:         24
        .size:           8
        .value_kind:     global_buffer
      - .actual_access:  read_only
        .address_space:  global
        .offset:         32
        .size:           8
        .value_kind:     global_buffer
      - .actual_access:  read_only
        .address_space:  global
        .offset:         40
        .size:           8
        .value_kind:     global_buffer
      - .actual_access:  read_only
        .address_space:  global
        .offset:         48
        .size:           8
        .value_kind:     global_buffer
      - .actual_access:  read_only
        .address_space:  global
        .offset:         56
        .size:           8
        .value_kind:     global_buffer
      - .actual_access:  read_only
        .address_space:  global
        .offset:         64
        .size:           8
        .value_kind:     global_buffer
      - .offset:         72
        .size:           8
        .value_kind:     by_value
      - .address_space:  global
        .offset:         80
        .size:           8
        .value_kind:     global_buffer
      - .offset:         88
        .size:           4
        .value_kind:     by_value
      - .offset:         92
        .size:           1
        .value_kind:     by_value
    .group_segment_fixed_size: 3600
    .kernarg_segment_align: 8
    .kernarg_segment_size: 96
    .language:       OpenCL C
    .language_version:
      - 2
      - 0
    .max_flat_workgroup_size: 900
    .name:           _ZN9rocsparseL20bsrxmvn_17_32_kernelILj30Efii18rocsparse_bfloat16S1_fEEvT2_20rocsparse_direction_NS_24const_host_device_scalarIT0_EES2_PKS2_PKT1_SB_S8_PKT3_PKT4_S6_PT5_21rocsparse_index_base_b
    .private_segment_fixed_size: 0
    .sgpr_count:     26
    .sgpr_spill_count: 0
    .symbol:         _ZN9rocsparseL20bsrxmvn_17_32_kernelILj30Efii18rocsparse_bfloat16S1_fEEvT2_20rocsparse_direction_NS_24const_host_device_scalarIT0_EES2_PKS2_PKT1_SB_S8_PKT3_PKT4_S6_PT5_21rocsparse_index_base_b.kd
    .uniform_work_group_size: 1
    .uses_dynamic_stack: false
    .vgpr_count:     11
    .vgpr_spill_count: 0
    .wavefront_size: 64
  - .args:
      - .offset:         0
        .size:           4
        .value_kind:     by_value
      - .offset:         4
        .size:           4
        .value_kind:     by_value
      - .offset:         8
        .size:           8
        .value_kind:     by_value
      - .offset:         16
        .size:           4
        .value_kind:     by_value
      - .actual_access:  read_only
        .address_space:  global
        .offset:         24
        .size:           8
        .value_kind:     global_buffer
      - .actual_access:  read_only
        .address_space:  global
        .offset:         32
        .size:           8
        .value_kind:     global_buffer
      - .actual_access:  read_only
        .address_space:  global
        .offset:         40
        .size:           8
        .value_kind:     global_buffer
      - .actual_access:  read_only
        .address_space:  global
        .offset:         48
        .size:           8
        .value_kind:     global_buffer
      - .actual_access:  read_only
        .address_space:  global
        .offset:         56
        .size:           8
        .value_kind:     global_buffer
      - .actual_access:  read_only
        .address_space:  global
        .offset:         64
        .size:           8
        .value_kind:     global_buffer
      - .offset:         72
        .size:           8
        .value_kind:     by_value
      - .address_space:  global
        .offset:         80
        .size:           8
        .value_kind:     global_buffer
      - .offset:         88
        .size:           4
        .value_kind:     by_value
      - .offset:         92
        .size:           1
        .value_kind:     by_value
    .group_segment_fixed_size: 3844
    .kernarg_segment_align: 8
    .kernarg_segment_size: 96
    .language:       OpenCL C
    .language_version:
      - 2
      - 0
    .max_flat_workgroup_size: 961
    .name:           _ZN9rocsparseL20bsrxmvn_17_32_kernelILj31Efii18rocsparse_bfloat16S1_fEEvT2_20rocsparse_direction_NS_24const_host_device_scalarIT0_EES2_PKS2_PKT1_SB_S8_PKT3_PKT4_S6_PT5_21rocsparse_index_base_b
    .private_segment_fixed_size: 0
    .sgpr_count:     26
    .sgpr_spill_count: 0
    .symbol:         _ZN9rocsparseL20bsrxmvn_17_32_kernelILj31Efii18rocsparse_bfloat16S1_fEEvT2_20rocsparse_direction_NS_24const_host_device_scalarIT0_EES2_PKS2_PKT1_SB_S8_PKT3_PKT4_S6_PT5_21rocsparse_index_base_b.kd
    .uniform_work_group_size: 1
    .uses_dynamic_stack: false
    .vgpr_count:     11
    .vgpr_spill_count: 0
    .wavefront_size: 64
  - .args:
      - .offset:         0
        .size:           4
        .value_kind:     by_value
      - .offset:         4
        .size:           4
        .value_kind:     by_value
      - .offset:         8
        .size:           8
        .value_kind:     by_value
      - .offset:         16
        .size:           4
        .value_kind:     by_value
      - .actual_access:  read_only
        .address_space:  global
        .offset:         24
        .size:           8
        .value_kind:     global_buffer
      - .actual_access:  read_only
        .address_space:  global
        .offset:         32
        .size:           8
        .value_kind:     global_buffer
      - .actual_access:  read_only
        .address_space:  global
        .offset:         40
        .size:           8
        .value_kind:     global_buffer
      - .actual_access:  read_only
        .address_space:  global
        .offset:         48
        .size:           8
        .value_kind:     global_buffer
      - .actual_access:  read_only
        .address_space:  global
        .offset:         56
        .size:           8
        .value_kind:     global_buffer
      - .actual_access:  read_only
        .address_space:  global
        .offset:         64
        .size:           8
        .value_kind:     global_buffer
      - .offset:         72
        .size:           8
        .value_kind:     by_value
      - .address_space:  global
        .offset:         80
        .size:           8
        .value_kind:     global_buffer
      - .offset:         88
        .size:           4
        .value_kind:     by_value
      - .offset:         92
        .size:           1
        .value_kind:     by_value
    .group_segment_fixed_size: 4096
    .kernarg_segment_align: 8
    .kernarg_segment_size: 96
    .language:       OpenCL C
    .language_version:
      - 2
      - 0
    .max_flat_workgroup_size: 1024
    .name:           _ZN9rocsparseL20bsrxmvn_17_32_kernelILj32Efii18rocsparse_bfloat16S1_fEEvT2_20rocsparse_direction_NS_24const_host_device_scalarIT0_EES2_PKS2_PKT1_SB_S8_PKT3_PKT4_S6_PT5_21rocsparse_index_base_b
    .private_segment_fixed_size: 0
    .sgpr_count:     26
    .sgpr_spill_count: 0
    .symbol:         _ZN9rocsparseL20bsrxmvn_17_32_kernelILj32Efii18rocsparse_bfloat16S1_fEEvT2_20rocsparse_direction_NS_24const_host_device_scalarIT0_EES2_PKS2_PKT1_SB_S8_PKT3_PKT4_S6_PT5_21rocsparse_index_base_b.kd
    .uniform_work_group_size: 1
    .uses_dynamic_stack: false
    .vgpr_count:     10
    .vgpr_spill_count: 0
    .wavefront_size: 64
  - .args:
      - .offset:         0
        .size:           4
        .value_kind:     by_value
      - .offset:         4
        .size:           4
        .value_kind:     by_value
      - .offset:         8
        .size:           8
        .value_kind:     by_value
      - .offset:         16
        .size:           4
        .value_kind:     by_value
      - .actual_access:  read_only
        .address_space:  global
        .offset:         24
        .size:           8
        .value_kind:     global_buffer
      - .actual_access:  read_only
        .address_space:  global
        .offset:         32
        .size:           8
        .value_kind:     global_buffer
      - .actual_access:  read_only
        .address_space:  global
        .offset:         40
        .size:           8
        .value_kind:     global_buffer
      - .actual_access:  read_only
        .address_space:  global
        .offset:         48
        .size:           8
        .value_kind:     global_buffer
      - .actual_access:  read_only
        .address_space:  global
        .offset:         56
        .size:           8
        .value_kind:     global_buffer
      - .actual_access:  read_only
        .address_space:  global
        .offset:         64
        .size:           8
        .value_kind:     global_buffer
      - .offset:         72
        .size:           8
        .value_kind:     by_value
      - .address_space:  global
        .offset:         80
        .size:           8
        .value_kind:     global_buffer
      - .offset:         88
        .size:           4
        .value_kind:     by_value
      - .offset:         92
        .size:           1
        .value_kind:     by_value
    .group_segment_fixed_size: 1156
    .kernarg_segment_align: 8
    .kernarg_segment_size: 96
    .language:       OpenCL C
    .language_version:
      - 2
      - 0
    .max_flat_workgroup_size: 289
    .name:           _ZN9rocsparseL20bsrxmvn_17_32_kernelILj17Efli18rocsparse_bfloat16S1_fEEvT2_20rocsparse_direction_NS_24const_host_device_scalarIT0_EES2_PKS2_PKT1_SB_S8_PKT3_PKT4_S6_PT5_21rocsparse_index_base_b
    .private_segment_fixed_size: 0
    .sgpr_count:     30
    .sgpr_spill_count: 0
    .symbol:         _ZN9rocsparseL20bsrxmvn_17_32_kernelILj17Efli18rocsparse_bfloat16S1_fEEvT2_20rocsparse_direction_NS_24const_host_device_scalarIT0_EES2_PKS2_PKT1_SB_S8_PKT3_PKT4_S6_PT5_21rocsparse_index_base_b.kd
    .uniform_work_group_size: 1
    .uses_dynamic_stack: false
    .vgpr_count:     13
    .vgpr_spill_count: 0
    .wavefront_size: 64
  - .args:
      - .offset:         0
        .size:           4
        .value_kind:     by_value
      - .offset:         4
        .size:           4
        .value_kind:     by_value
      - .offset:         8
        .size:           8
        .value_kind:     by_value
      - .offset:         16
        .size:           4
        .value_kind:     by_value
      - .actual_access:  read_only
        .address_space:  global
        .offset:         24
        .size:           8
        .value_kind:     global_buffer
      - .actual_access:  read_only
        .address_space:  global
        .offset:         32
        .size:           8
        .value_kind:     global_buffer
      - .actual_access:  read_only
        .address_space:  global
        .offset:         40
        .size:           8
        .value_kind:     global_buffer
      - .actual_access:  read_only
        .address_space:  global
        .offset:         48
        .size:           8
        .value_kind:     global_buffer
      - .actual_access:  read_only
        .address_space:  global
        .offset:         56
        .size:           8
        .value_kind:     global_buffer
      - .actual_access:  read_only
        .address_space:  global
        .offset:         64
        .size:           8
        .value_kind:     global_buffer
      - .offset:         72
        .size:           8
        .value_kind:     by_value
      - .address_space:  global
        .offset:         80
        .size:           8
        .value_kind:     global_buffer
      - .offset:         88
        .size:           4
        .value_kind:     by_value
      - .offset:         92
        .size:           1
        .value_kind:     by_value
    .group_segment_fixed_size: 1296
    .kernarg_segment_align: 8
    .kernarg_segment_size: 96
    .language:       OpenCL C
    .language_version:
      - 2
      - 0
    .max_flat_workgroup_size: 324
    .name:           _ZN9rocsparseL20bsrxmvn_17_32_kernelILj18Efli18rocsparse_bfloat16S1_fEEvT2_20rocsparse_direction_NS_24const_host_device_scalarIT0_EES2_PKS2_PKT1_SB_S8_PKT3_PKT4_S6_PT5_21rocsparse_index_base_b
    .private_segment_fixed_size: 0
    .sgpr_count:     30
    .sgpr_spill_count: 0
    .symbol:         _ZN9rocsparseL20bsrxmvn_17_32_kernelILj18Efli18rocsparse_bfloat16S1_fEEvT2_20rocsparse_direction_NS_24const_host_device_scalarIT0_EES2_PKS2_PKT1_SB_S8_PKT3_PKT4_S6_PT5_21rocsparse_index_base_b.kd
    .uniform_work_group_size: 1
    .uses_dynamic_stack: false
    .vgpr_count:     13
    .vgpr_spill_count: 0
    .wavefront_size: 64
  - .args:
      - .offset:         0
        .size:           4
        .value_kind:     by_value
      - .offset:         4
        .size:           4
        .value_kind:     by_value
      - .offset:         8
        .size:           8
        .value_kind:     by_value
      - .offset:         16
        .size:           4
        .value_kind:     by_value
      - .actual_access:  read_only
        .address_space:  global
        .offset:         24
        .size:           8
        .value_kind:     global_buffer
      - .actual_access:  read_only
        .address_space:  global
        .offset:         32
        .size:           8
        .value_kind:     global_buffer
      - .actual_access:  read_only
        .address_space:  global
        .offset:         40
        .size:           8
        .value_kind:     global_buffer
      - .actual_access:  read_only
        .address_space:  global
        .offset:         48
        .size:           8
        .value_kind:     global_buffer
      - .actual_access:  read_only
        .address_space:  global
        .offset:         56
        .size:           8
        .value_kind:     global_buffer
      - .actual_access:  read_only
        .address_space:  global
        .offset:         64
        .size:           8
        .value_kind:     global_buffer
      - .offset:         72
        .size:           8
        .value_kind:     by_value
      - .address_space:  global
        .offset:         80
        .size:           8
        .value_kind:     global_buffer
      - .offset:         88
        .size:           4
        .value_kind:     by_value
      - .offset:         92
        .size:           1
        .value_kind:     by_value
    .group_segment_fixed_size: 1444
    .kernarg_segment_align: 8
    .kernarg_segment_size: 96
    .language:       OpenCL C
    .language_version:
      - 2
      - 0
    .max_flat_workgroup_size: 361
    .name:           _ZN9rocsparseL20bsrxmvn_17_32_kernelILj19Efli18rocsparse_bfloat16S1_fEEvT2_20rocsparse_direction_NS_24const_host_device_scalarIT0_EES2_PKS2_PKT1_SB_S8_PKT3_PKT4_S6_PT5_21rocsparse_index_base_b
    .private_segment_fixed_size: 0
    .sgpr_count:     30
    .sgpr_spill_count: 0
    .symbol:         _ZN9rocsparseL20bsrxmvn_17_32_kernelILj19Efli18rocsparse_bfloat16S1_fEEvT2_20rocsparse_direction_NS_24const_host_device_scalarIT0_EES2_PKS2_PKT1_SB_S8_PKT3_PKT4_S6_PT5_21rocsparse_index_base_b.kd
    .uniform_work_group_size: 1
    .uses_dynamic_stack: false
    .vgpr_count:     13
    .vgpr_spill_count: 0
    .wavefront_size: 64
  - .args:
      - .offset:         0
        .size:           4
        .value_kind:     by_value
      - .offset:         4
        .size:           4
        .value_kind:     by_value
      - .offset:         8
        .size:           8
        .value_kind:     by_value
      - .offset:         16
        .size:           4
        .value_kind:     by_value
      - .actual_access:  read_only
        .address_space:  global
        .offset:         24
        .size:           8
        .value_kind:     global_buffer
      - .actual_access:  read_only
        .address_space:  global
        .offset:         32
        .size:           8
        .value_kind:     global_buffer
      - .actual_access:  read_only
        .address_space:  global
        .offset:         40
        .size:           8
        .value_kind:     global_buffer
      - .actual_access:  read_only
        .address_space:  global
        .offset:         48
        .size:           8
        .value_kind:     global_buffer
      - .actual_access:  read_only
        .address_space:  global
        .offset:         56
        .size:           8
        .value_kind:     global_buffer
      - .actual_access:  read_only
        .address_space:  global
        .offset:         64
        .size:           8
        .value_kind:     global_buffer
      - .offset:         72
        .size:           8
        .value_kind:     by_value
      - .address_space:  global
        .offset:         80
        .size:           8
        .value_kind:     global_buffer
      - .offset:         88
        .size:           4
        .value_kind:     by_value
      - .offset:         92
        .size:           1
        .value_kind:     by_value
    .group_segment_fixed_size: 1600
    .kernarg_segment_align: 8
    .kernarg_segment_size: 96
    .language:       OpenCL C
    .language_version:
      - 2
      - 0
    .max_flat_workgroup_size: 400
    .name:           _ZN9rocsparseL20bsrxmvn_17_32_kernelILj20Efli18rocsparse_bfloat16S1_fEEvT2_20rocsparse_direction_NS_24const_host_device_scalarIT0_EES2_PKS2_PKT1_SB_S8_PKT3_PKT4_S6_PT5_21rocsparse_index_base_b
    .private_segment_fixed_size: 0
    .sgpr_count:     30
    .sgpr_spill_count: 0
    .symbol:         _ZN9rocsparseL20bsrxmvn_17_32_kernelILj20Efli18rocsparse_bfloat16S1_fEEvT2_20rocsparse_direction_NS_24const_host_device_scalarIT0_EES2_PKS2_PKT1_SB_S8_PKT3_PKT4_S6_PT5_21rocsparse_index_base_b.kd
    .uniform_work_group_size: 1
    .uses_dynamic_stack: false
    .vgpr_count:     13
    .vgpr_spill_count: 0
    .wavefront_size: 64
  - .args:
      - .offset:         0
        .size:           4
        .value_kind:     by_value
      - .offset:         4
        .size:           4
        .value_kind:     by_value
      - .offset:         8
        .size:           8
        .value_kind:     by_value
      - .offset:         16
        .size:           4
        .value_kind:     by_value
      - .actual_access:  read_only
        .address_space:  global
        .offset:         24
        .size:           8
        .value_kind:     global_buffer
      - .actual_access:  read_only
        .address_space:  global
        .offset:         32
        .size:           8
        .value_kind:     global_buffer
      - .actual_access:  read_only
        .address_space:  global
        .offset:         40
        .size:           8
        .value_kind:     global_buffer
      - .actual_access:  read_only
        .address_space:  global
        .offset:         48
        .size:           8
        .value_kind:     global_buffer
      - .actual_access:  read_only
        .address_space:  global
        .offset:         56
        .size:           8
        .value_kind:     global_buffer
      - .actual_access:  read_only
        .address_space:  global
        .offset:         64
        .size:           8
        .value_kind:     global_buffer
      - .offset:         72
        .size:           8
        .value_kind:     by_value
      - .address_space:  global
        .offset:         80
        .size:           8
        .value_kind:     global_buffer
      - .offset:         88
        .size:           4
        .value_kind:     by_value
      - .offset:         92
        .size:           1
        .value_kind:     by_value
    .group_segment_fixed_size: 1764
    .kernarg_segment_align: 8
    .kernarg_segment_size: 96
    .language:       OpenCL C
    .language_version:
      - 2
      - 0
    .max_flat_workgroup_size: 441
    .name:           _ZN9rocsparseL20bsrxmvn_17_32_kernelILj21Efli18rocsparse_bfloat16S1_fEEvT2_20rocsparse_direction_NS_24const_host_device_scalarIT0_EES2_PKS2_PKT1_SB_S8_PKT3_PKT4_S6_PT5_21rocsparse_index_base_b
    .private_segment_fixed_size: 0
    .sgpr_count:     30
    .sgpr_spill_count: 0
    .symbol:         _ZN9rocsparseL20bsrxmvn_17_32_kernelILj21Efli18rocsparse_bfloat16S1_fEEvT2_20rocsparse_direction_NS_24const_host_device_scalarIT0_EES2_PKS2_PKT1_SB_S8_PKT3_PKT4_S6_PT5_21rocsparse_index_base_b.kd
    .uniform_work_group_size: 1
    .uses_dynamic_stack: false
    .vgpr_count:     13
    .vgpr_spill_count: 0
    .wavefront_size: 64
  - .args:
      - .offset:         0
        .size:           4
        .value_kind:     by_value
      - .offset:         4
        .size:           4
        .value_kind:     by_value
      - .offset:         8
        .size:           8
        .value_kind:     by_value
      - .offset:         16
        .size:           4
        .value_kind:     by_value
      - .actual_access:  read_only
        .address_space:  global
        .offset:         24
        .size:           8
        .value_kind:     global_buffer
      - .actual_access:  read_only
        .address_space:  global
        .offset:         32
        .size:           8
        .value_kind:     global_buffer
      - .actual_access:  read_only
        .address_space:  global
        .offset:         40
        .size:           8
        .value_kind:     global_buffer
      - .actual_access:  read_only
        .address_space:  global
        .offset:         48
        .size:           8
        .value_kind:     global_buffer
      - .actual_access:  read_only
        .address_space:  global
        .offset:         56
        .size:           8
        .value_kind:     global_buffer
      - .actual_access:  read_only
        .address_space:  global
        .offset:         64
        .size:           8
        .value_kind:     global_buffer
      - .offset:         72
        .size:           8
        .value_kind:     by_value
      - .address_space:  global
        .offset:         80
        .size:           8
        .value_kind:     global_buffer
      - .offset:         88
        .size:           4
        .value_kind:     by_value
      - .offset:         92
        .size:           1
        .value_kind:     by_value
    .group_segment_fixed_size: 1936
    .kernarg_segment_align: 8
    .kernarg_segment_size: 96
    .language:       OpenCL C
    .language_version:
      - 2
      - 0
    .max_flat_workgroup_size: 484
    .name:           _ZN9rocsparseL20bsrxmvn_17_32_kernelILj22Efli18rocsparse_bfloat16S1_fEEvT2_20rocsparse_direction_NS_24const_host_device_scalarIT0_EES2_PKS2_PKT1_SB_S8_PKT3_PKT4_S6_PT5_21rocsparse_index_base_b
    .private_segment_fixed_size: 0
    .sgpr_count:     30
    .sgpr_spill_count: 0
    .symbol:         _ZN9rocsparseL20bsrxmvn_17_32_kernelILj22Efli18rocsparse_bfloat16S1_fEEvT2_20rocsparse_direction_NS_24const_host_device_scalarIT0_EES2_PKS2_PKT1_SB_S8_PKT3_PKT4_S6_PT5_21rocsparse_index_base_b.kd
    .uniform_work_group_size: 1
    .uses_dynamic_stack: false
    .vgpr_count:     13
    .vgpr_spill_count: 0
    .wavefront_size: 64
  - .args:
      - .offset:         0
        .size:           4
        .value_kind:     by_value
      - .offset:         4
        .size:           4
        .value_kind:     by_value
      - .offset:         8
        .size:           8
        .value_kind:     by_value
      - .offset:         16
        .size:           4
        .value_kind:     by_value
      - .actual_access:  read_only
        .address_space:  global
        .offset:         24
        .size:           8
        .value_kind:     global_buffer
      - .actual_access:  read_only
        .address_space:  global
        .offset:         32
        .size:           8
        .value_kind:     global_buffer
      - .actual_access:  read_only
        .address_space:  global
        .offset:         40
        .size:           8
        .value_kind:     global_buffer
      - .actual_access:  read_only
        .address_space:  global
        .offset:         48
        .size:           8
        .value_kind:     global_buffer
      - .actual_access:  read_only
        .address_space:  global
        .offset:         56
        .size:           8
        .value_kind:     global_buffer
      - .actual_access:  read_only
        .address_space:  global
        .offset:         64
        .size:           8
        .value_kind:     global_buffer
      - .offset:         72
        .size:           8
        .value_kind:     by_value
      - .address_space:  global
        .offset:         80
        .size:           8
        .value_kind:     global_buffer
      - .offset:         88
        .size:           4
        .value_kind:     by_value
      - .offset:         92
        .size:           1
        .value_kind:     by_value
    .group_segment_fixed_size: 2116
    .kernarg_segment_align: 8
    .kernarg_segment_size: 96
    .language:       OpenCL C
    .language_version:
      - 2
      - 0
    .max_flat_workgroup_size: 529
    .name:           _ZN9rocsparseL20bsrxmvn_17_32_kernelILj23Efli18rocsparse_bfloat16S1_fEEvT2_20rocsparse_direction_NS_24const_host_device_scalarIT0_EES2_PKS2_PKT1_SB_S8_PKT3_PKT4_S6_PT5_21rocsparse_index_base_b
    .private_segment_fixed_size: 0
    .sgpr_count:     30
    .sgpr_spill_count: 0
    .symbol:         _ZN9rocsparseL20bsrxmvn_17_32_kernelILj23Efli18rocsparse_bfloat16S1_fEEvT2_20rocsparse_direction_NS_24const_host_device_scalarIT0_EES2_PKS2_PKT1_SB_S8_PKT3_PKT4_S6_PT5_21rocsparse_index_base_b.kd
    .uniform_work_group_size: 1
    .uses_dynamic_stack: false
    .vgpr_count:     13
    .vgpr_spill_count: 0
    .wavefront_size: 64
  - .args:
      - .offset:         0
        .size:           4
        .value_kind:     by_value
      - .offset:         4
        .size:           4
        .value_kind:     by_value
      - .offset:         8
        .size:           8
        .value_kind:     by_value
      - .offset:         16
        .size:           4
        .value_kind:     by_value
      - .actual_access:  read_only
        .address_space:  global
        .offset:         24
        .size:           8
        .value_kind:     global_buffer
      - .actual_access:  read_only
        .address_space:  global
        .offset:         32
        .size:           8
        .value_kind:     global_buffer
      - .actual_access:  read_only
        .address_space:  global
        .offset:         40
        .size:           8
        .value_kind:     global_buffer
      - .actual_access:  read_only
        .address_space:  global
        .offset:         48
        .size:           8
        .value_kind:     global_buffer
      - .actual_access:  read_only
        .address_space:  global
        .offset:         56
        .size:           8
        .value_kind:     global_buffer
      - .actual_access:  read_only
        .address_space:  global
        .offset:         64
        .size:           8
        .value_kind:     global_buffer
      - .offset:         72
        .size:           8
        .value_kind:     by_value
      - .address_space:  global
        .offset:         80
        .size:           8
        .value_kind:     global_buffer
      - .offset:         88
        .size:           4
        .value_kind:     by_value
      - .offset:         92
        .size:           1
        .value_kind:     by_value
    .group_segment_fixed_size: 2304
    .kernarg_segment_align: 8
    .kernarg_segment_size: 96
    .language:       OpenCL C
    .language_version:
      - 2
      - 0
    .max_flat_workgroup_size: 576
    .name:           _ZN9rocsparseL20bsrxmvn_17_32_kernelILj24Efli18rocsparse_bfloat16S1_fEEvT2_20rocsparse_direction_NS_24const_host_device_scalarIT0_EES2_PKS2_PKT1_SB_S8_PKT3_PKT4_S6_PT5_21rocsparse_index_base_b
    .private_segment_fixed_size: 0
    .sgpr_count:     30
    .sgpr_spill_count: 0
    .symbol:         _ZN9rocsparseL20bsrxmvn_17_32_kernelILj24Efli18rocsparse_bfloat16S1_fEEvT2_20rocsparse_direction_NS_24const_host_device_scalarIT0_EES2_PKS2_PKT1_SB_S8_PKT3_PKT4_S6_PT5_21rocsparse_index_base_b.kd
    .uniform_work_group_size: 1
    .uses_dynamic_stack: false
    .vgpr_count:     13
    .vgpr_spill_count: 0
    .wavefront_size: 64
  - .args:
      - .offset:         0
        .size:           4
        .value_kind:     by_value
      - .offset:         4
        .size:           4
        .value_kind:     by_value
      - .offset:         8
        .size:           8
        .value_kind:     by_value
      - .offset:         16
        .size:           4
        .value_kind:     by_value
      - .actual_access:  read_only
        .address_space:  global
        .offset:         24
        .size:           8
        .value_kind:     global_buffer
      - .actual_access:  read_only
        .address_space:  global
        .offset:         32
        .size:           8
        .value_kind:     global_buffer
      - .actual_access:  read_only
        .address_space:  global
        .offset:         40
        .size:           8
        .value_kind:     global_buffer
      - .actual_access:  read_only
        .address_space:  global
        .offset:         48
        .size:           8
        .value_kind:     global_buffer
      - .actual_access:  read_only
        .address_space:  global
        .offset:         56
        .size:           8
        .value_kind:     global_buffer
      - .actual_access:  read_only
        .address_space:  global
        .offset:         64
        .size:           8
        .value_kind:     global_buffer
      - .offset:         72
        .size:           8
        .value_kind:     by_value
      - .address_space:  global
        .offset:         80
        .size:           8
        .value_kind:     global_buffer
      - .offset:         88
        .size:           4
        .value_kind:     by_value
      - .offset:         92
        .size:           1
        .value_kind:     by_value
    .group_segment_fixed_size: 2500
    .kernarg_segment_align: 8
    .kernarg_segment_size: 96
    .language:       OpenCL C
    .language_version:
      - 2
      - 0
    .max_flat_workgroup_size: 625
    .name:           _ZN9rocsparseL20bsrxmvn_17_32_kernelILj25Efli18rocsparse_bfloat16S1_fEEvT2_20rocsparse_direction_NS_24const_host_device_scalarIT0_EES2_PKS2_PKT1_SB_S8_PKT3_PKT4_S6_PT5_21rocsparse_index_base_b
    .private_segment_fixed_size: 0
    .sgpr_count:     30
    .sgpr_spill_count: 0
    .symbol:         _ZN9rocsparseL20bsrxmvn_17_32_kernelILj25Efli18rocsparse_bfloat16S1_fEEvT2_20rocsparse_direction_NS_24const_host_device_scalarIT0_EES2_PKS2_PKT1_SB_S8_PKT3_PKT4_S6_PT5_21rocsparse_index_base_b.kd
    .uniform_work_group_size: 1
    .uses_dynamic_stack: false
    .vgpr_count:     15
    .vgpr_spill_count: 0
    .wavefront_size: 64
  - .args:
      - .offset:         0
        .size:           4
        .value_kind:     by_value
      - .offset:         4
        .size:           4
        .value_kind:     by_value
      - .offset:         8
        .size:           8
        .value_kind:     by_value
      - .offset:         16
        .size:           4
        .value_kind:     by_value
      - .actual_access:  read_only
        .address_space:  global
        .offset:         24
        .size:           8
        .value_kind:     global_buffer
      - .actual_access:  read_only
        .address_space:  global
        .offset:         32
        .size:           8
        .value_kind:     global_buffer
      - .actual_access:  read_only
        .address_space:  global
        .offset:         40
        .size:           8
        .value_kind:     global_buffer
      - .actual_access:  read_only
        .address_space:  global
        .offset:         48
        .size:           8
        .value_kind:     global_buffer
      - .actual_access:  read_only
        .address_space:  global
        .offset:         56
        .size:           8
        .value_kind:     global_buffer
      - .actual_access:  read_only
        .address_space:  global
        .offset:         64
        .size:           8
        .value_kind:     global_buffer
      - .offset:         72
        .size:           8
        .value_kind:     by_value
      - .address_space:  global
        .offset:         80
        .size:           8
        .value_kind:     global_buffer
      - .offset:         88
        .size:           4
        .value_kind:     by_value
      - .offset:         92
        .size:           1
        .value_kind:     by_value
    .group_segment_fixed_size: 2704
    .kernarg_segment_align: 8
    .kernarg_segment_size: 96
    .language:       OpenCL C
    .language_version:
      - 2
      - 0
    .max_flat_workgroup_size: 676
    .name:           _ZN9rocsparseL20bsrxmvn_17_32_kernelILj26Efli18rocsparse_bfloat16S1_fEEvT2_20rocsparse_direction_NS_24const_host_device_scalarIT0_EES2_PKS2_PKT1_SB_S8_PKT3_PKT4_S6_PT5_21rocsparse_index_base_b
    .private_segment_fixed_size: 0
    .sgpr_count:     30
    .sgpr_spill_count: 0
    .symbol:         _ZN9rocsparseL20bsrxmvn_17_32_kernelILj26Efli18rocsparse_bfloat16S1_fEEvT2_20rocsparse_direction_NS_24const_host_device_scalarIT0_EES2_PKS2_PKT1_SB_S8_PKT3_PKT4_S6_PT5_21rocsparse_index_base_b.kd
    .uniform_work_group_size: 1
    .uses_dynamic_stack: false
    .vgpr_count:     15
    .vgpr_spill_count: 0
    .wavefront_size: 64
  - .args:
      - .offset:         0
        .size:           4
        .value_kind:     by_value
      - .offset:         4
        .size:           4
        .value_kind:     by_value
      - .offset:         8
        .size:           8
        .value_kind:     by_value
      - .offset:         16
        .size:           4
        .value_kind:     by_value
      - .actual_access:  read_only
        .address_space:  global
        .offset:         24
        .size:           8
        .value_kind:     global_buffer
      - .actual_access:  read_only
        .address_space:  global
        .offset:         32
        .size:           8
        .value_kind:     global_buffer
      - .actual_access:  read_only
        .address_space:  global
        .offset:         40
        .size:           8
        .value_kind:     global_buffer
      - .actual_access:  read_only
        .address_space:  global
        .offset:         48
        .size:           8
        .value_kind:     global_buffer
      - .actual_access:  read_only
        .address_space:  global
        .offset:         56
        .size:           8
        .value_kind:     global_buffer
      - .actual_access:  read_only
        .address_space:  global
        .offset:         64
        .size:           8
        .value_kind:     global_buffer
      - .offset:         72
        .size:           8
        .value_kind:     by_value
      - .address_space:  global
        .offset:         80
        .size:           8
        .value_kind:     global_buffer
      - .offset:         88
        .size:           4
        .value_kind:     by_value
      - .offset:         92
        .size:           1
        .value_kind:     by_value
    .group_segment_fixed_size: 2916
    .kernarg_segment_align: 8
    .kernarg_segment_size: 96
    .language:       OpenCL C
    .language_version:
      - 2
      - 0
    .max_flat_workgroup_size: 729
    .name:           _ZN9rocsparseL20bsrxmvn_17_32_kernelILj27Efli18rocsparse_bfloat16S1_fEEvT2_20rocsparse_direction_NS_24const_host_device_scalarIT0_EES2_PKS2_PKT1_SB_S8_PKT3_PKT4_S6_PT5_21rocsparse_index_base_b
    .private_segment_fixed_size: 0
    .sgpr_count:     30
    .sgpr_spill_count: 0
    .symbol:         _ZN9rocsparseL20bsrxmvn_17_32_kernelILj27Efli18rocsparse_bfloat16S1_fEEvT2_20rocsparse_direction_NS_24const_host_device_scalarIT0_EES2_PKS2_PKT1_SB_S8_PKT3_PKT4_S6_PT5_21rocsparse_index_base_b.kd
    .uniform_work_group_size: 1
    .uses_dynamic_stack: false
    .vgpr_count:     15
    .vgpr_spill_count: 0
    .wavefront_size: 64
  - .args:
      - .offset:         0
        .size:           4
        .value_kind:     by_value
      - .offset:         4
        .size:           4
        .value_kind:     by_value
      - .offset:         8
        .size:           8
        .value_kind:     by_value
      - .offset:         16
        .size:           4
        .value_kind:     by_value
      - .actual_access:  read_only
        .address_space:  global
        .offset:         24
        .size:           8
        .value_kind:     global_buffer
      - .actual_access:  read_only
        .address_space:  global
        .offset:         32
        .size:           8
        .value_kind:     global_buffer
      - .actual_access:  read_only
        .address_space:  global
        .offset:         40
        .size:           8
        .value_kind:     global_buffer
      - .actual_access:  read_only
        .address_space:  global
        .offset:         48
        .size:           8
        .value_kind:     global_buffer
      - .actual_access:  read_only
        .address_space:  global
        .offset:         56
        .size:           8
        .value_kind:     global_buffer
      - .actual_access:  read_only
        .address_space:  global
        .offset:         64
        .size:           8
        .value_kind:     global_buffer
      - .offset:         72
        .size:           8
        .value_kind:     by_value
      - .address_space:  global
        .offset:         80
        .size:           8
        .value_kind:     global_buffer
      - .offset:         88
        .size:           4
        .value_kind:     by_value
      - .offset:         92
        .size:           1
        .value_kind:     by_value
    .group_segment_fixed_size: 3136
    .kernarg_segment_align: 8
    .kernarg_segment_size: 96
    .language:       OpenCL C
    .language_version:
      - 2
      - 0
    .max_flat_workgroup_size: 784
    .name:           _ZN9rocsparseL20bsrxmvn_17_32_kernelILj28Efli18rocsparse_bfloat16S1_fEEvT2_20rocsparse_direction_NS_24const_host_device_scalarIT0_EES2_PKS2_PKT1_SB_S8_PKT3_PKT4_S6_PT5_21rocsparse_index_base_b
    .private_segment_fixed_size: 0
    .sgpr_count:     30
    .sgpr_spill_count: 0
    .symbol:         _ZN9rocsparseL20bsrxmvn_17_32_kernelILj28Efli18rocsparse_bfloat16S1_fEEvT2_20rocsparse_direction_NS_24const_host_device_scalarIT0_EES2_PKS2_PKT1_SB_S8_PKT3_PKT4_S6_PT5_21rocsparse_index_base_b.kd
    .uniform_work_group_size: 1
    .uses_dynamic_stack: false
    .vgpr_count:     15
    .vgpr_spill_count: 0
    .wavefront_size: 64
  - .args:
      - .offset:         0
        .size:           4
        .value_kind:     by_value
      - .offset:         4
        .size:           4
        .value_kind:     by_value
      - .offset:         8
        .size:           8
        .value_kind:     by_value
      - .offset:         16
        .size:           4
        .value_kind:     by_value
      - .actual_access:  read_only
        .address_space:  global
        .offset:         24
        .size:           8
        .value_kind:     global_buffer
      - .actual_access:  read_only
        .address_space:  global
        .offset:         32
        .size:           8
        .value_kind:     global_buffer
      - .actual_access:  read_only
        .address_space:  global
        .offset:         40
        .size:           8
        .value_kind:     global_buffer
      - .actual_access:  read_only
        .address_space:  global
        .offset:         48
        .size:           8
        .value_kind:     global_buffer
      - .actual_access:  read_only
        .address_space:  global
        .offset:         56
        .size:           8
        .value_kind:     global_buffer
      - .actual_access:  read_only
        .address_space:  global
        .offset:         64
        .size:           8
        .value_kind:     global_buffer
      - .offset:         72
        .size:           8
        .value_kind:     by_value
      - .address_space:  global
        .offset:         80
        .size:           8
        .value_kind:     global_buffer
      - .offset:         88
        .size:           4
        .value_kind:     by_value
      - .offset:         92
        .size:           1
        .value_kind:     by_value
    .group_segment_fixed_size: 3364
    .kernarg_segment_align: 8
    .kernarg_segment_size: 96
    .language:       OpenCL C
    .language_version:
      - 2
      - 0
    .max_flat_workgroup_size: 841
    .name:           _ZN9rocsparseL20bsrxmvn_17_32_kernelILj29Efli18rocsparse_bfloat16S1_fEEvT2_20rocsparse_direction_NS_24const_host_device_scalarIT0_EES2_PKS2_PKT1_SB_S8_PKT3_PKT4_S6_PT5_21rocsparse_index_base_b
    .private_segment_fixed_size: 0
    .sgpr_count:     30
    .sgpr_spill_count: 0
    .symbol:         _ZN9rocsparseL20bsrxmvn_17_32_kernelILj29Efli18rocsparse_bfloat16S1_fEEvT2_20rocsparse_direction_NS_24const_host_device_scalarIT0_EES2_PKS2_PKT1_SB_S8_PKT3_PKT4_S6_PT5_21rocsparse_index_base_b.kd
    .uniform_work_group_size: 1
    .uses_dynamic_stack: false
    .vgpr_count:     15
    .vgpr_spill_count: 0
    .wavefront_size: 64
  - .args:
      - .offset:         0
        .size:           4
        .value_kind:     by_value
      - .offset:         4
        .size:           4
        .value_kind:     by_value
      - .offset:         8
        .size:           8
        .value_kind:     by_value
      - .offset:         16
        .size:           4
        .value_kind:     by_value
      - .actual_access:  read_only
        .address_space:  global
        .offset:         24
        .size:           8
        .value_kind:     global_buffer
      - .actual_access:  read_only
        .address_space:  global
        .offset:         32
        .size:           8
        .value_kind:     global_buffer
      - .actual_access:  read_only
        .address_space:  global
        .offset:         40
        .size:           8
        .value_kind:     global_buffer
      - .actual_access:  read_only
        .address_space:  global
        .offset:         48
        .size:           8
        .value_kind:     global_buffer
      - .actual_access:  read_only
        .address_space:  global
        .offset:         56
        .size:           8
        .value_kind:     global_buffer
      - .actual_access:  read_only
        .address_space:  global
        .offset:         64
        .size:           8
        .value_kind:     global_buffer
      - .offset:         72
        .size:           8
        .value_kind:     by_value
      - .address_space:  global
        .offset:         80
        .size:           8
        .value_kind:     global_buffer
      - .offset:         88
        .size:           4
        .value_kind:     by_value
      - .offset:         92
        .size:           1
        .value_kind:     by_value
    .group_segment_fixed_size: 3600
    .kernarg_segment_align: 8
    .kernarg_segment_size: 96
    .language:       OpenCL C
    .language_version:
      - 2
      - 0
    .max_flat_workgroup_size: 900
    .name:           _ZN9rocsparseL20bsrxmvn_17_32_kernelILj30Efli18rocsparse_bfloat16S1_fEEvT2_20rocsparse_direction_NS_24const_host_device_scalarIT0_EES2_PKS2_PKT1_SB_S8_PKT3_PKT4_S6_PT5_21rocsparse_index_base_b
    .private_segment_fixed_size: 0
    .sgpr_count:     30
    .sgpr_spill_count: 0
    .symbol:         _ZN9rocsparseL20bsrxmvn_17_32_kernelILj30Efli18rocsparse_bfloat16S1_fEEvT2_20rocsparse_direction_NS_24const_host_device_scalarIT0_EES2_PKS2_PKT1_SB_S8_PKT3_PKT4_S6_PT5_21rocsparse_index_base_b.kd
    .uniform_work_group_size: 1
    .uses_dynamic_stack: false
    .vgpr_count:     15
    .vgpr_spill_count: 0
    .wavefront_size: 64
  - .args:
      - .offset:         0
        .size:           4
        .value_kind:     by_value
      - .offset:         4
        .size:           4
        .value_kind:     by_value
      - .offset:         8
        .size:           8
        .value_kind:     by_value
      - .offset:         16
        .size:           4
        .value_kind:     by_value
      - .actual_access:  read_only
        .address_space:  global
        .offset:         24
        .size:           8
        .value_kind:     global_buffer
      - .actual_access:  read_only
        .address_space:  global
        .offset:         32
        .size:           8
        .value_kind:     global_buffer
      - .actual_access:  read_only
        .address_space:  global
        .offset:         40
        .size:           8
        .value_kind:     global_buffer
      - .actual_access:  read_only
        .address_space:  global
        .offset:         48
        .size:           8
        .value_kind:     global_buffer
      - .actual_access:  read_only
        .address_space:  global
        .offset:         56
        .size:           8
        .value_kind:     global_buffer
      - .actual_access:  read_only
        .address_space:  global
        .offset:         64
        .size:           8
        .value_kind:     global_buffer
      - .offset:         72
        .size:           8
        .value_kind:     by_value
      - .address_space:  global
        .offset:         80
        .size:           8
        .value_kind:     global_buffer
      - .offset:         88
        .size:           4
        .value_kind:     by_value
      - .offset:         92
        .size:           1
        .value_kind:     by_value
    .group_segment_fixed_size: 3844
    .kernarg_segment_align: 8
    .kernarg_segment_size: 96
    .language:       OpenCL C
    .language_version:
      - 2
      - 0
    .max_flat_workgroup_size: 961
    .name:           _ZN9rocsparseL20bsrxmvn_17_32_kernelILj31Efli18rocsparse_bfloat16S1_fEEvT2_20rocsparse_direction_NS_24const_host_device_scalarIT0_EES2_PKS2_PKT1_SB_S8_PKT3_PKT4_S6_PT5_21rocsparse_index_base_b
    .private_segment_fixed_size: 0
    .sgpr_count:     30
    .sgpr_spill_count: 0
    .symbol:         _ZN9rocsparseL20bsrxmvn_17_32_kernelILj31Efli18rocsparse_bfloat16S1_fEEvT2_20rocsparse_direction_NS_24const_host_device_scalarIT0_EES2_PKS2_PKT1_SB_S8_PKT3_PKT4_S6_PT5_21rocsparse_index_base_b.kd
    .uniform_work_group_size: 1
    .uses_dynamic_stack: false
    .vgpr_count:     15
    .vgpr_spill_count: 0
    .wavefront_size: 64
  - .args:
      - .offset:         0
        .size:           4
        .value_kind:     by_value
      - .offset:         4
        .size:           4
        .value_kind:     by_value
      - .offset:         8
        .size:           8
        .value_kind:     by_value
      - .offset:         16
        .size:           4
        .value_kind:     by_value
      - .actual_access:  read_only
        .address_space:  global
        .offset:         24
        .size:           8
        .value_kind:     global_buffer
      - .actual_access:  read_only
        .address_space:  global
        .offset:         32
        .size:           8
        .value_kind:     global_buffer
      - .actual_access:  read_only
        .address_space:  global
        .offset:         40
        .size:           8
        .value_kind:     global_buffer
      - .actual_access:  read_only
        .address_space:  global
        .offset:         48
        .size:           8
        .value_kind:     global_buffer
      - .actual_access:  read_only
        .address_space:  global
        .offset:         56
        .size:           8
        .value_kind:     global_buffer
      - .actual_access:  read_only
        .address_space:  global
        .offset:         64
        .size:           8
        .value_kind:     global_buffer
      - .offset:         72
        .size:           8
        .value_kind:     by_value
      - .address_space:  global
        .offset:         80
        .size:           8
        .value_kind:     global_buffer
      - .offset:         88
        .size:           4
        .value_kind:     by_value
      - .offset:         92
        .size:           1
        .value_kind:     by_value
    .group_segment_fixed_size: 4096
    .kernarg_segment_align: 8
    .kernarg_segment_size: 96
    .language:       OpenCL C
    .language_version:
      - 2
      - 0
    .max_flat_workgroup_size: 1024
    .name:           _ZN9rocsparseL20bsrxmvn_17_32_kernelILj32Efli18rocsparse_bfloat16S1_fEEvT2_20rocsparse_direction_NS_24const_host_device_scalarIT0_EES2_PKS2_PKT1_SB_S8_PKT3_PKT4_S6_PT5_21rocsparse_index_base_b
    .private_segment_fixed_size: 0
    .sgpr_count:     32
    .sgpr_spill_count: 0
    .symbol:         _ZN9rocsparseL20bsrxmvn_17_32_kernelILj32Efli18rocsparse_bfloat16S1_fEEvT2_20rocsparse_direction_NS_24const_host_device_scalarIT0_EES2_PKS2_PKT1_SB_S8_PKT3_PKT4_S6_PT5_21rocsparse_index_base_b.kd
    .uniform_work_group_size: 1
    .uses_dynamic_stack: false
    .vgpr_count:     12
    .vgpr_spill_count: 0
    .wavefront_size: 64
  - .args:
      - .offset:         0
        .size:           8
        .value_kind:     by_value
      - .offset:         8
        .size:           4
        .value_kind:     by_value
      - .offset:         16
        .size:           8
        .value_kind:     by_value
      - .offset:         24
        .size:           8
        .value_kind:     by_value
      - .actual_access:  read_only
        .address_space:  global
        .offset:         32
        .size:           8
        .value_kind:     global_buffer
      - .actual_access:  read_only
        .address_space:  global
        .offset:         40
        .size:           8
        .value_kind:     global_buffer
      - .actual_access:  read_only
        .address_space:  global
        .offset:         48
        .size:           8
        .value_kind:     global_buffer
      - .actual_access:  read_only
        .address_space:  global
        .offset:         56
        .size:           8
        .value_kind:     global_buffer
      - .actual_access:  read_only
        .address_space:  global
        .offset:         64
        .size:           8
        .value_kind:     global_buffer
      - .actual_access:  read_only
        .address_space:  global
        .offset:         72
        .size:           8
        .value_kind:     global_buffer
      - .offset:         80
        .size:           8
        .value_kind:     by_value
      - .address_space:  global
        .offset:         88
        .size:           8
        .value_kind:     global_buffer
      - .offset:         96
        .size:           4
        .value_kind:     by_value
      - .offset:         100
        .size:           1
        .value_kind:     by_value
    .group_segment_fixed_size: 1156
    .kernarg_segment_align: 8
    .kernarg_segment_size: 104
    .language:       OpenCL C
    .language_version:
      - 2
      - 0
    .max_flat_workgroup_size: 289
    .name:           _ZN9rocsparseL20bsrxmvn_17_32_kernelILj17Efll18rocsparse_bfloat16S1_fEEvT2_20rocsparse_direction_NS_24const_host_device_scalarIT0_EES2_PKS2_PKT1_SB_S8_PKT3_PKT4_S6_PT5_21rocsparse_index_base_b
    .private_segment_fixed_size: 0
    .sgpr_count:     30
    .sgpr_spill_count: 0
    .symbol:         _ZN9rocsparseL20bsrxmvn_17_32_kernelILj17Efll18rocsparse_bfloat16S1_fEEvT2_20rocsparse_direction_NS_24const_host_device_scalarIT0_EES2_PKS2_PKT1_SB_S8_PKT3_PKT4_S6_PT5_21rocsparse_index_base_b.kd
    .uniform_work_group_size: 1
    .uses_dynamic_stack: false
    .vgpr_count:     13
    .vgpr_spill_count: 0
    .wavefront_size: 64
  - .args:
      - .offset:         0
        .size:           8
        .value_kind:     by_value
      - .offset:         8
        .size:           4
        .value_kind:     by_value
      - .offset:         16
        .size:           8
        .value_kind:     by_value
      - .offset:         24
        .size:           8
        .value_kind:     by_value
      - .actual_access:  read_only
        .address_space:  global
        .offset:         32
        .size:           8
        .value_kind:     global_buffer
      - .actual_access:  read_only
        .address_space:  global
        .offset:         40
        .size:           8
        .value_kind:     global_buffer
      - .actual_access:  read_only
        .address_space:  global
        .offset:         48
        .size:           8
        .value_kind:     global_buffer
      - .actual_access:  read_only
        .address_space:  global
        .offset:         56
        .size:           8
        .value_kind:     global_buffer
      - .actual_access:  read_only
        .address_space:  global
        .offset:         64
        .size:           8
        .value_kind:     global_buffer
      - .actual_access:  read_only
        .address_space:  global
        .offset:         72
        .size:           8
        .value_kind:     global_buffer
      - .offset:         80
        .size:           8
        .value_kind:     by_value
      - .address_space:  global
        .offset:         88
        .size:           8
        .value_kind:     global_buffer
      - .offset:         96
        .size:           4
        .value_kind:     by_value
      - .offset:         100
        .size:           1
        .value_kind:     by_value
    .group_segment_fixed_size: 1296
    .kernarg_segment_align: 8
    .kernarg_segment_size: 104
    .language:       OpenCL C
    .language_version:
      - 2
      - 0
    .max_flat_workgroup_size: 324
    .name:           _ZN9rocsparseL20bsrxmvn_17_32_kernelILj18Efll18rocsparse_bfloat16S1_fEEvT2_20rocsparse_direction_NS_24const_host_device_scalarIT0_EES2_PKS2_PKT1_SB_S8_PKT3_PKT4_S6_PT5_21rocsparse_index_base_b
    .private_segment_fixed_size: 0
    .sgpr_count:     30
    .sgpr_spill_count: 0
    .symbol:         _ZN9rocsparseL20bsrxmvn_17_32_kernelILj18Efll18rocsparse_bfloat16S1_fEEvT2_20rocsparse_direction_NS_24const_host_device_scalarIT0_EES2_PKS2_PKT1_SB_S8_PKT3_PKT4_S6_PT5_21rocsparse_index_base_b.kd
    .uniform_work_group_size: 1
    .uses_dynamic_stack: false
    .vgpr_count:     13
    .vgpr_spill_count: 0
    .wavefront_size: 64
  - .args:
      - .offset:         0
        .size:           8
        .value_kind:     by_value
      - .offset:         8
        .size:           4
        .value_kind:     by_value
      - .offset:         16
        .size:           8
        .value_kind:     by_value
      - .offset:         24
        .size:           8
        .value_kind:     by_value
      - .actual_access:  read_only
        .address_space:  global
        .offset:         32
        .size:           8
        .value_kind:     global_buffer
      - .actual_access:  read_only
        .address_space:  global
        .offset:         40
        .size:           8
        .value_kind:     global_buffer
      - .actual_access:  read_only
        .address_space:  global
        .offset:         48
        .size:           8
        .value_kind:     global_buffer
      - .actual_access:  read_only
        .address_space:  global
        .offset:         56
        .size:           8
        .value_kind:     global_buffer
      - .actual_access:  read_only
        .address_space:  global
        .offset:         64
        .size:           8
        .value_kind:     global_buffer
      - .actual_access:  read_only
        .address_space:  global
        .offset:         72
        .size:           8
        .value_kind:     global_buffer
      - .offset:         80
        .size:           8
        .value_kind:     by_value
      - .address_space:  global
        .offset:         88
        .size:           8
        .value_kind:     global_buffer
      - .offset:         96
        .size:           4
        .value_kind:     by_value
      - .offset:         100
        .size:           1
        .value_kind:     by_value
    .group_segment_fixed_size: 1444
    .kernarg_segment_align: 8
    .kernarg_segment_size: 104
    .language:       OpenCL C
    .language_version:
      - 2
      - 0
    .max_flat_workgroup_size: 361
    .name:           _ZN9rocsparseL20bsrxmvn_17_32_kernelILj19Efll18rocsparse_bfloat16S1_fEEvT2_20rocsparse_direction_NS_24const_host_device_scalarIT0_EES2_PKS2_PKT1_SB_S8_PKT3_PKT4_S6_PT5_21rocsparse_index_base_b
    .private_segment_fixed_size: 0
    .sgpr_count:     30
    .sgpr_spill_count: 0
    .symbol:         _ZN9rocsparseL20bsrxmvn_17_32_kernelILj19Efll18rocsparse_bfloat16S1_fEEvT2_20rocsparse_direction_NS_24const_host_device_scalarIT0_EES2_PKS2_PKT1_SB_S8_PKT3_PKT4_S6_PT5_21rocsparse_index_base_b.kd
    .uniform_work_group_size: 1
    .uses_dynamic_stack: false
    .vgpr_count:     13
    .vgpr_spill_count: 0
    .wavefront_size: 64
  - .args:
      - .offset:         0
        .size:           8
        .value_kind:     by_value
      - .offset:         8
        .size:           4
        .value_kind:     by_value
      - .offset:         16
        .size:           8
        .value_kind:     by_value
      - .offset:         24
        .size:           8
        .value_kind:     by_value
      - .actual_access:  read_only
        .address_space:  global
        .offset:         32
        .size:           8
        .value_kind:     global_buffer
      - .actual_access:  read_only
        .address_space:  global
        .offset:         40
        .size:           8
        .value_kind:     global_buffer
      - .actual_access:  read_only
        .address_space:  global
        .offset:         48
        .size:           8
        .value_kind:     global_buffer
      - .actual_access:  read_only
        .address_space:  global
        .offset:         56
        .size:           8
        .value_kind:     global_buffer
      - .actual_access:  read_only
        .address_space:  global
        .offset:         64
        .size:           8
        .value_kind:     global_buffer
      - .actual_access:  read_only
        .address_space:  global
        .offset:         72
        .size:           8
        .value_kind:     global_buffer
      - .offset:         80
        .size:           8
        .value_kind:     by_value
      - .address_space:  global
        .offset:         88
        .size:           8
        .value_kind:     global_buffer
      - .offset:         96
        .size:           4
        .value_kind:     by_value
      - .offset:         100
        .size:           1
        .value_kind:     by_value
    .group_segment_fixed_size: 1600
    .kernarg_segment_align: 8
    .kernarg_segment_size: 104
    .language:       OpenCL C
    .language_version:
      - 2
      - 0
    .max_flat_workgroup_size: 400
    .name:           _ZN9rocsparseL20bsrxmvn_17_32_kernelILj20Efll18rocsparse_bfloat16S1_fEEvT2_20rocsparse_direction_NS_24const_host_device_scalarIT0_EES2_PKS2_PKT1_SB_S8_PKT3_PKT4_S6_PT5_21rocsparse_index_base_b
    .private_segment_fixed_size: 0
    .sgpr_count:     30
    .sgpr_spill_count: 0
    .symbol:         _ZN9rocsparseL20bsrxmvn_17_32_kernelILj20Efll18rocsparse_bfloat16S1_fEEvT2_20rocsparse_direction_NS_24const_host_device_scalarIT0_EES2_PKS2_PKT1_SB_S8_PKT3_PKT4_S6_PT5_21rocsparse_index_base_b.kd
    .uniform_work_group_size: 1
    .uses_dynamic_stack: false
    .vgpr_count:     13
    .vgpr_spill_count: 0
    .wavefront_size: 64
  - .args:
      - .offset:         0
        .size:           8
        .value_kind:     by_value
      - .offset:         8
        .size:           4
        .value_kind:     by_value
      - .offset:         16
        .size:           8
        .value_kind:     by_value
      - .offset:         24
        .size:           8
        .value_kind:     by_value
      - .actual_access:  read_only
        .address_space:  global
        .offset:         32
        .size:           8
        .value_kind:     global_buffer
      - .actual_access:  read_only
        .address_space:  global
        .offset:         40
        .size:           8
        .value_kind:     global_buffer
      - .actual_access:  read_only
        .address_space:  global
        .offset:         48
        .size:           8
        .value_kind:     global_buffer
      - .actual_access:  read_only
        .address_space:  global
        .offset:         56
        .size:           8
        .value_kind:     global_buffer
      - .actual_access:  read_only
        .address_space:  global
        .offset:         64
        .size:           8
        .value_kind:     global_buffer
      - .actual_access:  read_only
        .address_space:  global
        .offset:         72
        .size:           8
        .value_kind:     global_buffer
      - .offset:         80
        .size:           8
        .value_kind:     by_value
      - .address_space:  global
        .offset:         88
        .size:           8
        .value_kind:     global_buffer
      - .offset:         96
        .size:           4
        .value_kind:     by_value
      - .offset:         100
        .size:           1
        .value_kind:     by_value
    .group_segment_fixed_size: 1764
    .kernarg_segment_align: 8
    .kernarg_segment_size: 104
    .language:       OpenCL C
    .language_version:
      - 2
      - 0
    .max_flat_workgroup_size: 441
    .name:           _ZN9rocsparseL20bsrxmvn_17_32_kernelILj21Efll18rocsparse_bfloat16S1_fEEvT2_20rocsparse_direction_NS_24const_host_device_scalarIT0_EES2_PKS2_PKT1_SB_S8_PKT3_PKT4_S6_PT5_21rocsparse_index_base_b
    .private_segment_fixed_size: 0
    .sgpr_count:     30
    .sgpr_spill_count: 0
    .symbol:         _ZN9rocsparseL20bsrxmvn_17_32_kernelILj21Efll18rocsparse_bfloat16S1_fEEvT2_20rocsparse_direction_NS_24const_host_device_scalarIT0_EES2_PKS2_PKT1_SB_S8_PKT3_PKT4_S6_PT5_21rocsparse_index_base_b.kd
    .uniform_work_group_size: 1
    .uses_dynamic_stack: false
    .vgpr_count:     13
    .vgpr_spill_count: 0
    .wavefront_size: 64
  - .args:
      - .offset:         0
        .size:           8
        .value_kind:     by_value
      - .offset:         8
        .size:           4
        .value_kind:     by_value
      - .offset:         16
        .size:           8
        .value_kind:     by_value
      - .offset:         24
        .size:           8
        .value_kind:     by_value
      - .actual_access:  read_only
        .address_space:  global
        .offset:         32
        .size:           8
        .value_kind:     global_buffer
      - .actual_access:  read_only
        .address_space:  global
        .offset:         40
        .size:           8
        .value_kind:     global_buffer
      - .actual_access:  read_only
        .address_space:  global
        .offset:         48
        .size:           8
        .value_kind:     global_buffer
      - .actual_access:  read_only
        .address_space:  global
        .offset:         56
        .size:           8
        .value_kind:     global_buffer
      - .actual_access:  read_only
        .address_space:  global
        .offset:         64
        .size:           8
        .value_kind:     global_buffer
      - .actual_access:  read_only
        .address_space:  global
        .offset:         72
        .size:           8
        .value_kind:     global_buffer
      - .offset:         80
        .size:           8
        .value_kind:     by_value
      - .address_space:  global
        .offset:         88
        .size:           8
        .value_kind:     global_buffer
      - .offset:         96
        .size:           4
        .value_kind:     by_value
      - .offset:         100
        .size:           1
        .value_kind:     by_value
    .group_segment_fixed_size: 1936
    .kernarg_segment_align: 8
    .kernarg_segment_size: 104
    .language:       OpenCL C
    .language_version:
      - 2
      - 0
    .max_flat_workgroup_size: 484
    .name:           _ZN9rocsparseL20bsrxmvn_17_32_kernelILj22Efll18rocsparse_bfloat16S1_fEEvT2_20rocsparse_direction_NS_24const_host_device_scalarIT0_EES2_PKS2_PKT1_SB_S8_PKT3_PKT4_S6_PT5_21rocsparse_index_base_b
    .private_segment_fixed_size: 0
    .sgpr_count:     30
    .sgpr_spill_count: 0
    .symbol:         _ZN9rocsparseL20bsrxmvn_17_32_kernelILj22Efll18rocsparse_bfloat16S1_fEEvT2_20rocsparse_direction_NS_24const_host_device_scalarIT0_EES2_PKS2_PKT1_SB_S8_PKT3_PKT4_S6_PT5_21rocsparse_index_base_b.kd
    .uniform_work_group_size: 1
    .uses_dynamic_stack: false
    .vgpr_count:     13
    .vgpr_spill_count: 0
    .wavefront_size: 64
  - .args:
      - .offset:         0
        .size:           8
        .value_kind:     by_value
      - .offset:         8
        .size:           4
        .value_kind:     by_value
      - .offset:         16
        .size:           8
        .value_kind:     by_value
      - .offset:         24
        .size:           8
        .value_kind:     by_value
      - .actual_access:  read_only
        .address_space:  global
        .offset:         32
        .size:           8
        .value_kind:     global_buffer
      - .actual_access:  read_only
        .address_space:  global
        .offset:         40
        .size:           8
        .value_kind:     global_buffer
      - .actual_access:  read_only
        .address_space:  global
        .offset:         48
        .size:           8
        .value_kind:     global_buffer
      - .actual_access:  read_only
        .address_space:  global
        .offset:         56
        .size:           8
        .value_kind:     global_buffer
      - .actual_access:  read_only
        .address_space:  global
        .offset:         64
        .size:           8
        .value_kind:     global_buffer
      - .actual_access:  read_only
        .address_space:  global
        .offset:         72
        .size:           8
        .value_kind:     global_buffer
      - .offset:         80
        .size:           8
        .value_kind:     by_value
      - .address_space:  global
        .offset:         88
        .size:           8
        .value_kind:     global_buffer
      - .offset:         96
        .size:           4
        .value_kind:     by_value
      - .offset:         100
        .size:           1
        .value_kind:     by_value
    .group_segment_fixed_size: 2116
    .kernarg_segment_align: 8
    .kernarg_segment_size: 104
    .language:       OpenCL C
    .language_version:
      - 2
      - 0
    .max_flat_workgroup_size: 529
    .name:           _ZN9rocsparseL20bsrxmvn_17_32_kernelILj23Efll18rocsparse_bfloat16S1_fEEvT2_20rocsparse_direction_NS_24const_host_device_scalarIT0_EES2_PKS2_PKT1_SB_S8_PKT3_PKT4_S6_PT5_21rocsparse_index_base_b
    .private_segment_fixed_size: 0
    .sgpr_count:     30
    .sgpr_spill_count: 0
    .symbol:         _ZN9rocsparseL20bsrxmvn_17_32_kernelILj23Efll18rocsparse_bfloat16S1_fEEvT2_20rocsparse_direction_NS_24const_host_device_scalarIT0_EES2_PKS2_PKT1_SB_S8_PKT3_PKT4_S6_PT5_21rocsparse_index_base_b.kd
    .uniform_work_group_size: 1
    .uses_dynamic_stack: false
    .vgpr_count:     13
    .vgpr_spill_count: 0
    .wavefront_size: 64
  - .args:
      - .offset:         0
        .size:           8
        .value_kind:     by_value
      - .offset:         8
        .size:           4
        .value_kind:     by_value
      - .offset:         16
        .size:           8
        .value_kind:     by_value
      - .offset:         24
        .size:           8
        .value_kind:     by_value
      - .actual_access:  read_only
        .address_space:  global
        .offset:         32
        .size:           8
        .value_kind:     global_buffer
      - .actual_access:  read_only
        .address_space:  global
        .offset:         40
        .size:           8
        .value_kind:     global_buffer
      - .actual_access:  read_only
        .address_space:  global
        .offset:         48
        .size:           8
        .value_kind:     global_buffer
      - .actual_access:  read_only
        .address_space:  global
        .offset:         56
        .size:           8
        .value_kind:     global_buffer
      - .actual_access:  read_only
        .address_space:  global
        .offset:         64
        .size:           8
        .value_kind:     global_buffer
      - .actual_access:  read_only
        .address_space:  global
        .offset:         72
        .size:           8
        .value_kind:     global_buffer
      - .offset:         80
        .size:           8
        .value_kind:     by_value
      - .address_space:  global
        .offset:         88
        .size:           8
        .value_kind:     global_buffer
      - .offset:         96
        .size:           4
        .value_kind:     by_value
      - .offset:         100
        .size:           1
        .value_kind:     by_value
    .group_segment_fixed_size: 2304
    .kernarg_segment_align: 8
    .kernarg_segment_size: 104
    .language:       OpenCL C
    .language_version:
      - 2
      - 0
    .max_flat_workgroup_size: 576
    .name:           _ZN9rocsparseL20bsrxmvn_17_32_kernelILj24Efll18rocsparse_bfloat16S1_fEEvT2_20rocsparse_direction_NS_24const_host_device_scalarIT0_EES2_PKS2_PKT1_SB_S8_PKT3_PKT4_S6_PT5_21rocsparse_index_base_b
    .private_segment_fixed_size: 0
    .sgpr_count:     30
    .sgpr_spill_count: 0
    .symbol:         _ZN9rocsparseL20bsrxmvn_17_32_kernelILj24Efll18rocsparse_bfloat16S1_fEEvT2_20rocsparse_direction_NS_24const_host_device_scalarIT0_EES2_PKS2_PKT1_SB_S8_PKT3_PKT4_S6_PT5_21rocsparse_index_base_b.kd
    .uniform_work_group_size: 1
    .uses_dynamic_stack: false
    .vgpr_count:     13
    .vgpr_spill_count: 0
    .wavefront_size: 64
  - .args:
      - .offset:         0
        .size:           8
        .value_kind:     by_value
      - .offset:         8
        .size:           4
        .value_kind:     by_value
      - .offset:         16
        .size:           8
        .value_kind:     by_value
      - .offset:         24
        .size:           8
        .value_kind:     by_value
      - .actual_access:  read_only
        .address_space:  global
        .offset:         32
        .size:           8
        .value_kind:     global_buffer
      - .actual_access:  read_only
        .address_space:  global
        .offset:         40
        .size:           8
        .value_kind:     global_buffer
      - .actual_access:  read_only
        .address_space:  global
        .offset:         48
        .size:           8
        .value_kind:     global_buffer
      - .actual_access:  read_only
        .address_space:  global
        .offset:         56
        .size:           8
        .value_kind:     global_buffer
      - .actual_access:  read_only
        .address_space:  global
        .offset:         64
        .size:           8
        .value_kind:     global_buffer
      - .actual_access:  read_only
        .address_space:  global
        .offset:         72
        .size:           8
        .value_kind:     global_buffer
      - .offset:         80
        .size:           8
        .value_kind:     by_value
      - .address_space:  global
        .offset:         88
        .size:           8
        .value_kind:     global_buffer
      - .offset:         96
        .size:           4
        .value_kind:     by_value
      - .offset:         100
        .size:           1
        .value_kind:     by_value
    .group_segment_fixed_size: 2500
    .kernarg_segment_align: 8
    .kernarg_segment_size: 104
    .language:       OpenCL C
    .language_version:
      - 2
      - 0
    .max_flat_workgroup_size: 625
    .name:           _ZN9rocsparseL20bsrxmvn_17_32_kernelILj25Efll18rocsparse_bfloat16S1_fEEvT2_20rocsparse_direction_NS_24const_host_device_scalarIT0_EES2_PKS2_PKT1_SB_S8_PKT3_PKT4_S6_PT5_21rocsparse_index_base_b
    .private_segment_fixed_size: 0
    .sgpr_count:     30
    .sgpr_spill_count: 0
    .symbol:         _ZN9rocsparseL20bsrxmvn_17_32_kernelILj25Efll18rocsparse_bfloat16S1_fEEvT2_20rocsparse_direction_NS_24const_host_device_scalarIT0_EES2_PKS2_PKT1_SB_S8_PKT3_PKT4_S6_PT5_21rocsparse_index_base_b.kd
    .uniform_work_group_size: 1
    .uses_dynamic_stack: false
    .vgpr_count:     15
    .vgpr_spill_count: 0
    .wavefront_size: 64
  - .args:
      - .offset:         0
        .size:           8
        .value_kind:     by_value
      - .offset:         8
        .size:           4
        .value_kind:     by_value
      - .offset:         16
        .size:           8
        .value_kind:     by_value
      - .offset:         24
        .size:           8
        .value_kind:     by_value
      - .actual_access:  read_only
        .address_space:  global
        .offset:         32
        .size:           8
        .value_kind:     global_buffer
      - .actual_access:  read_only
        .address_space:  global
        .offset:         40
        .size:           8
        .value_kind:     global_buffer
      - .actual_access:  read_only
        .address_space:  global
        .offset:         48
        .size:           8
        .value_kind:     global_buffer
      - .actual_access:  read_only
        .address_space:  global
        .offset:         56
        .size:           8
        .value_kind:     global_buffer
      - .actual_access:  read_only
        .address_space:  global
        .offset:         64
        .size:           8
        .value_kind:     global_buffer
      - .actual_access:  read_only
        .address_space:  global
        .offset:         72
        .size:           8
        .value_kind:     global_buffer
      - .offset:         80
        .size:           8
        .value_kind:     by_value
      - .address_space:  global
        .offset:         88
        .size:           8
        .value_kind:     global_buffer
      - .offset:         96
        .size:           4
        .value_kind:     by_value
      - .offset:         100
        .size:           1
        .value_kind:     by_value
    .group_segment_fixed_size: 2704
    .kernarg_segment_align: 8
    .kernarg_segment_size: 104
    .language:       OpenCL C
    .language_version:
      - 2
      - 0
    .max_flat_workgroup_size: 676
    .name:           _ZN9rocsparseL20bsrxmvn_17_32_kernelILj26Efll18rocsparse_bfloat16S1_fEEvT2_20rocsparse_direction_NS_24const_host_device_scalarIT0_EES2_PKS2_PKT1_SB_S8_PKT3_PKT4_S6_PT5_21rocsparse_index_base_b
    .private_segment_fixed_size: 0
    .sgpr_count:     30
    .sgpr_spill_count: 0
    .symbol:         _ZN9rocsparseL20bsrxmvn_17_32_kernelILj26Efll18rocsparse_bfloat16S1_fEEvT2_20rocsparse_direction_NS_24const_host_device_scalarIT0_EES2_PKS2_PKT1_SB_S8_PKT3_PKT4_S6_PT5_21rocsparse_index_base_b.kd
    .uniform_work_group_size: 1
    .uses_dynamic_stack: false
    .vgpr_count:     15
    .vgpr_spill_count: 0
    .wavefront_size: 64
  - .args:
      - .offset:         0
        .size:           8
        .value_kind:     by_value
      - .offset:         8
        .size:           4
        .value_kind:     by_value
      - .offset:         16
        .size:           8
        .value_kind:     by_value
      - .offset:         24
        .size:           8
        .value_kind:     by_value
      - .actual_access:  read_only
        .address_space:  global
        .offset:         32
        .size:           8
        .value_kind:     global_buffer
      - .actual_access:  read_only
        .address_space:  global
        .offset:         40
        .size:           8
        .value_kind:     global_buffer
      - .actual_access:  read_only
        .address_space:  global
        .offset:         48
        .size:           8
        .value_kind:     global_buffer
      - .actual_access:  read_only
        .address_space:  global
        .offset:         56
        .size:           8
        .value_kind:     global_buffer
      - .actual_access:  read_only
        .address_space:  global
        .offset:         64
        .size:           8
        .value_kind:     global_buffer
      - .actual_access:  read_only
        .address_space:  global
        .offset:         72
        .size:           8
        .value_kind:     global_buffer
      - .offset:         80
        .size:           8
        .value_kind:     by_value
      - .address_space:  global
        .offset:         88
        .size:           8
        .value_kind:     global_buffer
      - .offset:         96
        .size:           4
        .value_kind:     by_value
      - .offset:         100
        .size:           1
        .value_kind:     by_value
    .group_segment_fixed_size: 2916
    .kernarg_segment_align: 8
    .kernarg_segment_size: 104
    .language:       OpenCL C
    .language_version:
      - 2
      - 0
    .max_flat_workgroup_size: 729
    .name:           _ZN9rocsparseL20bsrxmvn_17_32_kernelILj27Efll18rocsparse_bfloat16S1_fEEvT2_20rocsparse_direction_NS_24const_host_device_scalarIT0_EES2_PKS2_PKT1_SB_S8_PKT3_PKT4_S6_PT5_21rocsparse_index_base_b
    .private_segment_fixed_size: 0
    .sgpr_count:     30
    .sgpr_spill_count: 0
    .symbol:         _ZN9rocsparseL20bsrxmvn_17_32_kernelILj27Efll18rocsparse_bfloat16S1_fEEvT2_20rocsparse_direction_NS_24const_host_device_scalarIT0_EES2_PKS2_PKT1_SB_S8_PKT3_PKT4_S6_PT5_21rocsparse_index_base_b.kd
    .uniform_work_group_size: 1
    .uses_dynamic_stack: false
    .vgpr_count:     15
    .vgpr_spill_count: 0
    .wavefront_size: 64
  - .args:
      - .offset:         0
        .size:           8
        .value_kind:     by_value
      - .offset:         8
        .size:           4
        .value_kind:     by_value
      - .offset:         16
        .size:           8
        .value_kind:     by_value
      - .offset:         24
        .size:           8
        .value_kind:     by_value
      - .actual_access:  read_only
        .address_space:  global
        .offset:         32
        .size:           8
        .value_kind:     global_buffer
      - .actual_access:  read_only
        .address_space:  global
        .offset:         40
        .size:           8
        .value_kind:     global_buffer
      - .actual_access:  read_only
        .address_space:  global
        .offset:         48
        .size:           8
        .value_kind:     global_buffer
      - .actual_access:  read_only
        .address_space:  global
        .offset:         56
        .size:           8
        .value_kind:     global_buffer
      - .actual_access:  read_only
        .address_space:  global
        .offset:         64
        .size:           8
        .value_kind:     global_buffer
      - .actual_access:  read_only
        .address_space:  global
        .offset:         72
        .size:           8
        .value_kind:     global_buffer
      - .offset:         80
        .size:           8
        .value_kind:     by_value
      - .address_space:  global
        .offset:         88
        .size:           8
        .value_kind:     global_buffer
      - .offset:         96
        .size:           4
        .value_kind:     by_value
      - .offset:         100
        .size:           1
        .value_kind:     by_value
    .group_segment_fixed_size: 3136
    .kernarg_segment_align: 8
    .kernarg_segment_size: 104
    .language:       OpenCL C
    .language_version:
      - 2
      - 0
    .max_flat_workgroup_size: 784
    .name:           _ZN9rocsparseL20bsrxmvn_17_32_kernelILj28Efll18rocsparse_bfloat16S1_fEEvT2_20rocsparse_direction_NS_24const_host_device_scalarIT0_EES2_PKS2_PKT1_SB_S8_PKT3_PKT4_S6_PT5_21rocsparse_index_base_b
    .private_segment_fixed_size: 0
    .sgpr_count:     30
    .sgpr_spill_count: 0
    .symbol:         _ZN9rocsparseL20bsrxmvn_17_32_kernelILj28Efll18rocsparse_bfloat16S1_fEEvT2_20rocsparse_direction_NS_24const_host_device_scalarIT0_EES2_PKS2_PKT1_SB_S8_PKT3_PKT4_S6_PT5_21rocsparse_index_base_b.kd
    .uniform_work_group_size: 1
    .uses_dynamic_stack: false
    .vgpr_count:     15
    .vgpr_spill_count: 0
    .wavefront_size: 64
  - .args:
      - .offset:         0
        .size:           8
        .value_kind:     by_value
      - .offset:         8
        .size:           4
        .value_kind:     by_value
      - .offset:         16
        .size:           8
        .value_kind:     by_value
      - .offset:         24
        .size:           8
        .value_kind:     by_value
      - .actual_access:  read_only
        .address_space:  global
        .offset:         32
        .size:           8
        .value_kind:     global_buffer
      - .actual_access:  read_only
        .address_space:  global
        .offset:         40
        .size:           8
        .value_kind:     global_buffer
      - .actual_access:  read_only
        .address_space:  global
        .offset:         48
        .size:           8
        .value_kind:     global_buffer
      - .actual_access:  read_only
        .address_space:  global
        .offset:         56
        .size:           8
        .value_kind:     global_buffer
      - .actual_access:  read_only
        .address_space:  global
        .offset:         64
        .size:           8
        .value_kind:     global_buffer
      - .actual_access:  read_only
        .address_space:  global
        .offset:         72
        .size:           8
        .value_kind:     global_buffer
      - .offset:         80
        .size:           8
        .value_kind:     by_value
      - .address_space:  global
        .offset:         88
        .size:           8
        .value_kind:     global_buffer
      - .offset:         96
        .size:           4
        .value_kind:     by_value
      - .offset:         100
        .size:           1
        .value_kind:     by_value
    .group_segment_fixed_size: 3364
    .kernarg_segment_align: 8
    .kernarg_segment_size: 104
    .language:       OpenCL C
    .language_version:
      - 2
      - 0
    .max_flat_workgroup_size: 841
    .name:           _ZN9rocsparseL20bsrxmvn_17_32_kernelILj29Efll18rocsparse_bfloat16S1_fEEvT2_20rocsparse_direction_NS_24const_host_device_scalarIT0_EES2_PKS2_PKT1_SB_S8_PKT3_PKT4_S6_PT5_21rocsparse_index_base_b
    .private_segment_fixed_size: 0
    .sgpr_count:     30
    .sgpr_spill_count: 0
    .symbol:         _ZN9rocsparseL20bsrxmvn_17_32_kernelILj29Efll18rocsparse_bfloat16S1_fEEvT2_20rocsparse_direction_NS_24const_host_device_scalarIT0_EES2_PKS2_PKT1_SB_S8_PKT3_PKT4_S6_PT5_21rocsparse_index_base_b.kd
    .uniform_work_group_size: 1
    .uses_dynamic_stack: false
    .vgpr_count:     15
    .vgpr_spill_count: 0
    .wavefront_size: 64
  - .args:
      - .offset:         0
        .size:           8
        .value_kind:     by_value
      - .offset:         8
        .size:           4
        .value_kind:     by_value
      - .offset:         16
        .size:           8
        .value_kind:     by_value
      - .offset:         24
        .size:           8
        .value_kind:     by_value
      - .actual_access:  read_only
        .address_space:  global
        .offset:         32
        .size:           8
        .value_kind:     global_buffer
      - .actual_access:  read_only
        .address_space:  global
        .offset:         40
        .size:           8
        .value_kind:     global_buffer
      - .actual_access:  read_only
        .address_space:  global
        .offset:         48
        .size:           8
        .value_kind:     global_buffer
      - .actual_access:  read_only
        .address_space:  global
        .offset:         56
        .size:           8
        .value_kind:     global_buffer
      - .actual_access:  read_only
        .address_space:  global
        .offset:         64
        .size:           8
        .value_kind:     global_buffer
      - .actual_access:  read_only
        .address_space:  global
        .offset:         72
        .size:           8
        .value_kind:     global_buffer
      - .offset:         80
        .size:           8
        .value_kind:     by_value
      - .address_space:  global
        .offset:         88
        .size:           8
        .value_kind:     global_buffer
      - .offset:         96
        .size:           4
        .value_kind:     by_value
      - .offset:         100
        .size:           1
        .value_kind:     by_value
    .group_segment_fixed_size: 3600
    .kernarg_segment_align: 8
    .kernarg_segment_size: 104
    .language:       OpenCL C
    .language_version:
      - 2
      - 0
    .max_flat_workgroup_size: 900
    .name:           _ZN9rocsparseL20bsrxmvn_17_32_kernelILj30Efll18rocsparse_bfloat16S1_fEEvT2_20rocsparse_direction_NS_24const_host_device_scalarIT0_EES2_PKS2_PKT1_SB_S8_PKT3_PKT4_S6_PT5_21rocsparse_index_base_b
    .private_segment_fixed_size: 0
    .sgpr_count:     30
    .sgpr_spill_count: 0
    .symbol:         _ZN9rocsparseL20bsrxmvn_17_32_kernelILj30Efll18rocsparse_bfloat16S1_fEEvT2_20rocsparse_direction_NS_24const_host_device_scalarIT0_EES2_PKS2_PKT1_SB_S8_PKT3_PKT4_S6_PT5_21rocsparse_index_base_b.kd
    .uniform_work_group_size: 1
    .uses_dynamic_stack: false
    .vgpr_count:     15
    .vgpr_spill_count: 0
    .wavefront_size: 64
  - .args:
      - .offset:         0
        .size:           8
        .value_kind:     by_value
      - .offset:         8
        .size:           4
        .value_kind:     by_value
      - .offset:         16
        .size:           8
        .value_kind:     by_value
      - .offset:         24
        .size:           8
        .value_kind:     by_value
      - .actual_access:  read_only
        .address_space:  global
        .offset:         32
        .size:           8
        .value_kind:     global_buffer
      - .actual_access:  read_only
        .address_space:  global
        .offset:         40
        .size:           8
        .value_kind:     global_buffer
      - .actual_access:  read_only
        .address_space:  global
        .offset:         48
        .size:           8
        .value_kind:     global_buffer
      - .actual_access:  read_only
        .address_space:  global
        .offset:         56
        .size:           8
        .value_kind:     global_buffer
      - .actual_access:  read_only
        .address_space:  global
        .offset:         64
        .size:           8
        .value_kind:     global_buffer
      - .actual_access:  read_only
        .address_space:  global
        .offset:         72
        .size:           8
        .value_kind:     global_buffer
      - .offset:         80
        .size:           8
        .value_kind:     by_value
      - .address_space:  global
        .offset:         88
        .size:           8
        .value_kind:     global_buffer
      - .offset:         96
        .size:           4
        .value_kind:     by_value
      - .offset:         100
        .size:           1
        .value_kind:     by_value
    .group_segment_fixed_size: 3844
    .kernarg_segment_align: 8
    .kernarg_segment_size: 104
    .language:       OpenCL C
    .language_version:
      - 2
      - 0
    .max_flat_workgroup_size: 961
    .name:           _ZN9rocsparseL20bsrxmvn_17_32_kernelILj31Efll18rocsparse_bfloat16S1_fEEvT2_20rocsparse_direction_NS_24const_host_device_scalarIT0_EES2_PKS2_PKT1_SB_S8_PKT3_PKT4_S6_PT5_21rocsparse_index_base_b
    .private_segment_fixed_size: 0
    .sgpr_count:     30
    .sgpr_spill_count: 0
    .symbol:         _ZN9rocsparseL20bsrxmvn_17_32_kernelILj31Efll18rocsparse_bfloat16S1_fEEvT2_20rocsparse_direction_NS_24const_host_device_scalarIT0_EES2_PKS2_PKT1_SB_S8_PKT3_PKT4_S6_PT5_21rocsparse_index_base_b.kd
    .uniform_work_group_size: 1
    .uses_dynamic_stack: false
    .vgpr_count:     15
    .vgpr_spill_count: 0
    .wavefront_size: 64
  - .args:
      - .offset:         0
        .size:           8
        .value_kind:     by_value
      - .offset:         8
        .size:           4
        .value_kind:     by_value
      - .offset:         16
        .size:           8
        .value_kind:     by_value
      - .offset:         24
        .size:           8
        .value_kind:     by_value
      - .actual_access:  read_only
        .address_space:  global
        .offset:         32
        .size:           8
        .value_kind:     global_buffer
      - .actual_access:  read_only
        .address_space:  global
        .offset:         40
        .size:           8
        .value_kind:     global_buffer
      - .actual_access:  read_only
        .address_space:  global
        .offset:         48
        .size:           8
        .value_kind:     global_buffer
      - .actual_access:  read_only
        .address_space:  global
        .offset:         56
        .size:           8
        .value_kind:     global_buffer
      - .actual_access:  read_only
        .address_space:  global
        .offset:         64
        .size:           8
        .value_kind:     global_buffer
      - .actual_access:  read_only
        .address_space:  global
        .offset:         72
        .size:           8
        .value_kind:     global_buffer
      - .offset:         80
        .size:           8
        .value_kind:     by_value
      - .address_space:  global
        .offset:         88
        .size:           8
        .value_kind:     global_buffer
      - .offset:         96
        .size:           4
        .value_kind:     by_value
      - .offset:         100
        .size:           1
        .value_kind:     by_value
    .group_segment_fixed_size: 4096
    .kernarg_segment_align: 8
    .kernarg_segment_size: 104
    .language:       OpenCL C
    .language_version:
      - 2
      - 0
    .max_flat_workgroup_size: 1024
    .name:           _ZN9rocsparseL20bsrxmvn_17_32_kernelILj32Efll18rocsparse_bfloat16S1_fEEvT2_20rocsparse_direction_NS_24const_host_device_scalarIT0_EES2_PKS2_PKT1_SB_S8_PKT3_PKT4_S6_PT5_21rocsparse_index_base_b
    .private_segment_fixed_size: 0
    .sgpr_count:     30
    .sgpr_spill_count: 0
    .symbol:         _ZN9rocsparseL20bsrxmvn_17_32_kernelILj32Efll18rocsparse_bfloat16S1_fEEvT2_20rocsparse_direction_NS_24const_host_device_scalarIT0_EES2_PKS2_PKT1_SB_S8_PKT3_PKT4_S6_PT5_21rocsparse_index_base_b.kd
    .uniform_work_group_size: 1
    .uses_dynamic_stack: false
    .vgpr_count:     12
    .vgpr_spill_count: 0
    .wavefront_size: 64
  - .args:
      - .offset:         0
        .size:           4
        .value_kind:     by_value
      - .offset:         4
        .size:           4
        .value_kind:     by_value
      - .offset:         8
        .size:           8
        .value_kind:     by_value
      - .offset:         16
        .size:           4
        .value_kind:     by_value
      - .actual_access:  read_only
        .address_space:  global
        .offset:         24
        .size:           8
        .value_kind:     global_buffer
      - .actual_access:  read_only
        .address_space:  global
        .offset:         32
        .size:           8
        .value_kind:     global_buffer
      - .actual_access:  read_only
        .address_space:  global
        .offset:         40
        .size:           8
        .value_kind:     global_buffer
      - .actual_access:  read_only
        .address_space:  global
        .offset:         48
        .size:           8
        .value_kind:     global_buffer
      - .actual_access:  read_only
        .address_space:  global
        .offset:         56
        .size:           8
        .value_kind:     global_buffer
      - .actual_access:  read_only
        .address_space:  global
        .offset:         64
        .size:           8
        .value_kind:     global_buffer
      - .offset:         72
        .size:           8
        .value_kind:     by_value
      - .address_space:  global
        .offset:         80
        .size:           8
        .value_kind:     global_buffer
      - .offset:         88
        .size:           4
        .value_kind:     by_value
      - .offset:         92
        .size:           1
        .value_kind:     by_value
    .group_segment_fixed_size: 2312
    .kernarg_segment_align: 8
    .kernarg_segment_size: 96
    .language:       OpenCL C
    .language_version:
      - 2
      - 0
    .max_flat_workgroup_size: 289
    .name:           _ZN9rocsparseL20bsrxmvn_17_32_kernelILj17E21rocsparse_complex_numIfEiifS2_S2_EEvT2_20rocsparse_direction_NS_24const_host_device_scalarIT0_EES3_PKS3_PKT1_SC_S9_PKT3_PKT4_S7_PT5_21rocsparse_index_base_b
    .private_segment_fixed_size: 0
    .sgpr_count:     22
    .sgpr_spill_count: 0
    .symbol:         _ZN9rocsparseL20bsrxmvn_17_32_kernelILj17E21rocsparse_complex_numIfEiifS2_S2_EEvT2_20rocsparse_direction_NS_24const_host_device_scalarIT0_EES3_PKS3_PKT1_SC_S9_PKT3_PKT4_S7_PT5_21rocsparse_index_base_b.kd
    .uniform_work_group_size: 1
    .uses_dynamic_stack: false
    .vgpr_count:     16
    .vgpr_spill_count: 0
    .wavefront_size: 64
  - .args:
      - .offset:         0
        .size:           4
        .value_kind:     by_value
      - .offset:         4
        .size:           4
        .value_kind:     by_value
      - .offset:         8
        .size:           8
        .value_kind:     by_value
      - .offset:         16
        .size:           4
        .value_kind:     by_value
      - .actual_access:  read_only
        .address_space:  global
        .offset:         24
        .size:           8
        .value_kind:     global_buffer
      - .actual_access:  read_only
        .address_space:  global
        .offset:         32
        .size:           8
        .value_kind:     global_buffer
      - .actual_access:  read_only
        .address_space:  global
        .offset:         40
        .size:           8
        .value_kind:     global_buffer
      - .actual_access:  read_only
        .address_space:  global
        .offset:         48
        .size:           8
        .value_kind:     global_buffer
      - .actual_access:  read_only
        .address_space:  global
        .offset:         56
        .size:           8
        .value_kind:     global_buffer
      - .actual_access:  read_only
        .address_space:  global
        .offset:         64
        .size:           8
        .value_kind:     global_buffer
      - .offset:         72
        .size:           8
        .value_kind:     by_value
      - .address_space:  global
        .offset:         80
        .size:           8
        .value_kind:     global_buffer
      - .offset:         88
        .size:           4
        .value_kind:     by_value
      - .offset:         92
        .size:           1
        .value_kind:     by_value
    .group_segment_fixed_size: 2592
    .kernarg_segment_align: 8
    .kernarg_segment_size: 96
    .language:       OpenCL C
    .language_version:
      - 2
      - 0
    .max_flat_workgroup_size: 324
    .name:           _ZN9rocsparseL20bsrxmvn_17_32_kernelILj18E21rocsparse_complex_numIfEiifS2_S2_EEvT2_20rocsparse_direction_NS_24const_host_device_scalarIT0_EES3_PKS3_PKT1_SC_S9_PKT3_PKT4_S7_PT5_21rocsparse_index_base_b
    .private_segment_fixed_size: 0
    .sgpr_count:     22
    .sgpr_spill_count: 0
    .symbol:         _ZN9rocsparseL20bsrxmvn_17_32_kernelILj18E21rocsparse_complex_numIfEiifS2_S2_EEvT2_20rocsparse_direction_NS_24const_host_device_scalarIT0_EES3_PKS3_PKT1_SC_S9_PKT3_PKT4_S7_PT5_21rocsparse_index_base_b.kd
    .uniform_work_group_size: 1
    .uses_dynamic_stack: false
    .vgpr_count:     16
    .vgpr_spill_count: 0
    .wavefront_size: 64
  - .args:
      - .offset:         0
        .size:           4
        .value_kind:     by_value
      - .offset:         4
        .size:           4
        .value_kind:     by_value
      - .offset:         8
        .size:           8
        .value_kind:     by_value
      - .offset:         16
        .size:           4
        .value_kind:     by_value
      - .actual_access:  read_only
        .address_space:  global
        .offset:         24
        .size:           8
        .value_kind:     global_buffer
      - .actual_access:  read_only
        .address_space:  global
        .offset:         32
        .size:           8
        .value_kind:     global_buffer
      - .actual_access:  read_only
        .address_space:  global
        .offset:         40
        .size:           8
        .value_kind:     global_buffer
      - .actual_access:  read_only
        .address_space:  global
        .offset:         48
        .size:           8
        .value_kind:     global_buffer
      - .actual_access:  read_only
        .address_space:  global
        .offset:         56
        .size:           8
        .value_kind:     global_buffer
      - .actual_access:  read_only
        .address_space:  global
        .offset:         64
        .size:           8
        .value_kind:     global_buffer
      - .offset:         72
        .size:           8
        .value_kind:     by_value
      - .address_space:  global
        .offset:         80
        .size:           8
        .value_kind:     global_buffer
      - .offset:         88
        .size:           4
        .value_kind:     by_value
      - .offset:         92
        .size:           1
        .value_kind:     by_value
    .group_segment_fixed_size: 2888
    .kernarg_segment_align: 8
    .kernarg_segment_size: 96
    .language:       OpenCL C
    .language_version:
      - 2
      - 0
    .max_flat_workgroup_size: 361
    .name:           _ZN9rocsparseL20bsrxmvn_17_32_kernelILj19E21rocsparse_complex_numIfEiifS2_S2_EEvT2_20rocsparse_direction_NS_24const_host_device_scalarIT0_EES3_PKS3_PKT1_SC_S9_PKT3_PKT4_S7_PT5_21rocsparse_index_base_b
    .private_segment_fixed_size: 0
    .sgpr_count:     22
    .sgpr_spill_count: 0
    .symbol:         _ZN9rocsparseL20bsrxmvn_17_32_kernelILj19E21rocsparse_complex_numIfEiifS2_S2_EEvT2_20rocsparse_direction_NS_24const_host_device_scalarIT0_EES3_PKS3_PKT1_SC_S9_PKT3_PKT4_S7_PT5_21rocsparse_index_base_b.kd
    .uniform_work_group_size: 1
    .uses_dynamic_stack: false
    .vgpr_count:     16
    .vgpr_spill_count: 0
    .wavefront_size: 64
  - .args:
      - .offset:         0
        .size:           4
        .value_kind:     by_value
      - .offset:         4
        .size:           4
        .value_kind:     by_value
      - .offset:         8
        .size:           8
        .value_kind:     by_value
      - .offset:         16
        .size:           4
        .value_kind:     by_value
      - .actual_access:  read_only
        .address_space:  global
        .offset:         24
        .size:           8
        .value_kind:     global_buffer
      - .actual_access:  read_only
        .address_space:  global
        .offset:         32
        .size:           8
        .value_kind:     global_buffer
      - .actual_access:  read_only
        .address_space:  global
        .offset:         40
        .size:           8
        .value_kind:     global_buffer
      - .actual_access:  read_only
        .address_space:  global
        .offset:         48
        .size:           8
        .value_kind:     global_buffer
      - .actual_access:  read_only
        .address_space:  global
        .offset:         56
        .size:           8
        .value_kind:     global_buffer
      - .actual_access:  read_only
        .address_space:  global
        .offset:         64
        .size:           8
        .value_kind:     global_buffer
      - .offset:         72
        .size:           8
        .value_kind:     by_value
      - .address_space:  global
        .offset:         80
        .size:           8
        .value_kind:     global_buffer
      - .offset:         88
        .size:           4
        .value_kind:     by_value
      - .offset:         92
        .size:           1
        .value_kind:     by_value
    .group_segment_fixed_size: 3200
    .kernarg_segment_align: 8
    .kernarg_segment_size: 96
    .language:       OpenCL C
    .language_version:
      - 2
      - 0
    .max_flat_workgroup_size: 400
    .name:           _ZN9rocsparseL20bsrxmvn_17_32_kernelILj20E21rocsparse_complex_numIfEiifS2_S2_EEvT2_20rocsparse_direction_NS_24const_host_device_scalarIT0_EES3_PKS3_PKT1_SC_S9_PKT3_PKT4_S7_PT5_21rocsparse_index_base_b
    .private_segment_fixed_size: 0
    .sgpr_count:     22
    .sgpr_spill_count: 0
    .symbol:         _ZN9rocsparseL20bsrxmvn_17_32_kernelILj20E21rocsparse_complex_numIfEiifS2_S2_EEvT2_20rocsparse_direction_NS_24const_host_device_scalarIT0_EES3_PKS3_PKT1_SC_S9_PKT3_PKT4_S7_PT5_21rocsparse_index_base_b.kd
    .uniform_work_group_size: 1
    .uses_dynamic_stack: false
    .vgpr_count:     16
    .vgpr_spill_count: 0
    .wavefront_size: 64
  - .args:
      - .offset:         0
        .size:           4
        .value_kind:     by_value
      - .offset:         4
        .size:           4
        .value_kind:     by_value
      - .offset:         8
        .size:           8
        .value_kind:     by_value
      - .offset:         16
        .size:           4
        .value_kind:     by_value
      - .actual_access:  read_only
        .address_space:  global
        .offset:         24
        .size:           8
        .value_kind:     global_buffer
      - .actual_access:  read_only
        .address_space:  global
        .offset:         32
        .size:           8
        .value_kind:     global_buffer
      - .actual_access:  read_only
        .address_space:  global
        .offset:         40
        .size:           8
        .value_kind:     global_buffer
      - .actual_access:  read_only
        .address_space:  global
        .offset:         48
        .size:           8
        .value_kind:     global_buffer
      - .actual_access:  read_only
        .address_space:  global
        .offset:         56
        .size:           8
        .value_kind:     global_buffer
      - .actual_access:  read_only
        .address_space:  global
        .offset:         64
        .size:           8
        .value_kind:     global_buffer
      - .offset:         72
        .size:           8
        .value_kind:     by_value
      - .address_space:  global
        .offset:         80
        .size:           8
        .value_kind:     global_buffer
      - .offset:         88
        .size:           4
        .value_kind:     by_value
      - .offset:         92
        .size:           1
        .value_kind:     by_value
    .group_segment_fixed_size: 3528
    .kernarg_segment_align: 8
    .kernarg_segment_size: 96
    .language:       OpenCL C
    .language_version:
      - 2
      - 0
    .max_flat_workgroup_size: 441
    .name:           _ZN9rocsparseL20bsrxmvn_17_32_kernelILj21E21rocsparse_complex_numIfEiifS2_S2_EEvT2_20rocsparse_direction_NS_24const_host_device_scalarIT0_EES3_PKS3_PKT1_SC_S9_PKT3_PKT4_S7_PT5_21rocsparse_index_base_b
    .private_segment_fixed_size: 0
    .sgpr_count:     22
    .sgpr_spill_count: 0
    .symbol:         _ZN9rocsparseL20bsrxmvn_17_32_kernelILj21E21rocsparse_complex_numIfEiifS2_S2_EEvT2_20rocsparse_direction_NS_24const_host_device_scalarIT0_EES3_PKS3_PKT1_SC_S9_PKT3_PKT4_S7_PT5_21rocsparse_index_base_b.kd
    .uniform_work_group_size: 1
    .uses_dynamic_stack: false
    .vgpr_count:     16
    .vgpr_spill_count: 0
    .wavefront_size: 64
  - .args:
      - .offset:         0
        .size:           4
        .value_kind:     by_value
      - .offset:         4
        .size:           4
        .value_kind:     by_value
      - .offset:         8
        .size:           8
        .value_kind:     by_value
      - .offset:         16
        .size:           4
        .value_kind:     by_value
      - .actual_access:  read_only
        .address_space:  global
        .offset:         24
        .size:           8
        .value_kind:     global_buffer
      - .actual_access:  read_only
        .address_space:  global
        .offset:         32
        .size:           8
        .value_kind:     global_buffer
      - .actual_access:  read_only
        .address_space:  global
        .offset:         40
        .size:           8
        .value_kind:     global_buffer
      - .actual_access:  read_only
        .address_space:  global
        .offset:         48
        .size:           8
        .value_kind:     global_buffer
      - .actual_access:  read_only
        .address_space:  global
        .offset:         56
        .size:           8
        .value_kind:     global_buffer
      - .actual_access:  read_only
        .address_space:  global
        .offset:         64
        .size:           8
        .value_kind:     global_buffer
      - .offset:         72
        .size:           8
        .value_kind:     by_value
      - .address_space:  global
        .offset:         80
        .size:           8
        .value_kind:     global_buffer
      - .offset:         88
        .size:           4
        .value_kind:     by_value
      - .offset:         92
        .size:           1
        .value_kind:     by_value
    .group_segment_fixed_size: 3872
    .kernarg_segment_align: 8
    .kernarg_segment_size: 96
    .language:       OpenCL C
    .language_version:
      - 2
      - 0
    .max_flat_workgroup_size: 484
    .name:           _ZN9rocsparseL20bsrxmvn_17_32_kernelILj22E21rocsparse_complex_numIfEiifS2_S2_EEvT2_20rocsparse_direction_NS_24const_host_device_scalarIT0_EES3_PKS3_PKT1_SC_S9_PKT3_PKT4_S7_PT5_21rocsparse_index_base_b
    .private_segment_fixed_size: 0
    .sgpr_count:     22
    .sgpr_spill_count: 0
    .symbol:         _ZN9rocsparseL20bsrxmvn_17_32_kernelILj22E21rocsparse_complex_numIfEiifS2_S2_EEvT2_20rocsparse_direction_NS_24const_host_device_scalarIT0_EES3_PKS3_PKT1_SC_S9_PKT3_PKT4_S7_PT5_21rocsparse_index_base_b.kd
    .uniform_work_group_size: 1
    .uses_dynamic_stack: false
    .vgpr_count:     16
    .vgpr_spill_count: 0
    .wavefront_size: 64
  - .args:
      - .offset:         0
        .size:           4
        .value_kind:     by_value
      - .offset:         4
        .size:           4
        .value_kind:     by_value
      - .offset:         8
        .size:           8
        .value_kind:     by_value
      - .offset:         16
        .size:           4
        .value_kind:     by_value
      - .actual_access:  read_only
        .address_space:  global
        .offset:         24
        .size:           8
        .value_kind:     global_buffer
      - .actual_access:  read_only
        .address_space:  global
        .offset:         32
        .size:           8
        .value_kind:     global_buffer
      - .actual_access:  read_only
        .address_space:  global
        .offset:         40
        .size:           8
        .value_kind:     global_buffer
      - .actual_access:  read_only
        .address_space:  global
        .offset:         48
        .size:           8
        .value_kind:     global_buffer
      - .actual_access:  read_only
        .address_space:  global
        .offset:         56
        .size:           8
        .value_kind:     global_buffer
      - .actual_access:  read_only
        .address_space:  global
        .offset:         64
        .size:           8
        .value_kind:     global_buffer
      - .offset:         72
        .size:           8
        .value_kind:     by_value
      - .address_space:  global
        .offset:         80
        .size:           8
        .value_kind:     global_buffer
      - .offset:         88
        .size:           4
        .value_kind:     by_value
      - .offset:         92
        .size:           1
        .value_kind:     by_value
    .group_segment_fixed_size: 4232
    .kernarg_segment_align: 8
    .kernarg_segment_size: 96
    .language:       OpenCL C
    .language_version:
      - 2
      - 0
    .max_flat_workgroup_size: 529
    .name:           _ZN9rocsparseL20bsrxmvn_17_32_kernelILj23E21rocsparse_complex_numIfEiifS2_S2_EEvT2_20rocsparse_direction_NS_24const_host_device_scalarIT0_EES3_PKS3_PKT1_SC_S9_PKT3_PKT4_S7_PT5_21rocsparse_index_base_b
    .private_segment_fixed_size: 0
    .sgpr_count:     22
    .sgpr_spill_count: 0
    .symbol:         _ZN9rocsparseL20bsrxmvn_17_32_kernelILj23E21rocsparse_complex_numIfEiifS2_S2_EEvT2_20rocsparse_direction_NS_24const_host_device_scalarIT0_EES3_PKS3_PKT1_SC_S9_PKT3_PKT4_S7_PT5_21rocsparse_index_base_b.kd
    .uniform_work_group_size: 1
    .uses_dynamic_stack: false
    .vgpr_count:     16
    .vgpr_spill_count: 0
    .wavefront_size: 64
  - .args:
      - .offset:         0
        .size:           4
        .value_kind:     by_value
      - .offset:         4
        .size:           4
        .value_kind:     by_value
      - .offset:         8
        .size:           8
        .value_kind:     by_value
      - .offset:         16
        .size:           4
        .value_kind:     by_value
      - .actual_access:  read_only
        .address_space:  global
        .offset:         24
        .size:           8
        .value_kind:     global_buffer
      - .actual_access:  read_only
        .address_space:  global
        .offset:         32
        .size:           8
        .value_kind:     global_buffer
      - .actual_access:  read_only
        .address_space:  global
        .offset:         40
        .size:           8
        .value_kind:     global_buffer
      - .actual_access:  read_only
        .address_space:  global
        .offset:         48
        .size:           8
        .value_kind:     global_buffer
      - .actual_access:  read_only
        .address_space:  global
        .offset:         56
        .size:           8
        .value_kind:     global_buffer
      - .actual_access:  read_only
        .address_space:  global
        .offset:         64
        .size:           8
        .value_kind:     global_buffer
      - .offset:         72
        .size:           8
        .value_kind:     by_value
      - .address_space:  global
        .offset:         80
        .size:           8
        .value_kind:     global_buffer
      - .offset:         88
        .size:           4
        .value_kind:     by_value
      - .offset:         92
        .size:           1
        .value_kind:     by_value
    .group_segment_fixed_size: 4608
    .kernarg_segment_align: 8
    .kernarg_segment_size: 96
    .language:       OpenCL C
    .language_version:
      - 2
      - 0
    .max_flat_workgroup_size: 576
    .name:           _ZN9rocsparseL20bsrxmvn_17_32_kernelILj24E21rocsparse_complex_numIfEiifS2_S2_EEvT2_20rocsparse_direction_NS_24const_host_device_scalarIT0_EES3_PKS3_PKT1_SC_S9_PKT3_PKT4_S7_PT5_21rocsparse_index_base_b
    .private_segment_fixed_size: 0
    .sgpr_count:     22
    .sgpr_spill_count: 0
    .symbol:         _ZN9rocsparseL20bsrxmvn_17_32_kernelILj24E21rocsparse_complex_numIfEiifS2_S2_EEvT2_20rocsparse_direction_NS_24const_host_device_scalarIT0_EES3_PKS3_PKT1_SC_S9_PKT3_PKT4_S7_PT5_21rocsparse_index_base_b.kd
    .uniform_work_group_size: 1
    .uses_dynamic_stack: false
    .vgpr_count:     16
    .vgpr_spill_count: 0
    .wavefront_size: 64
  - .args:
      - .offset:         0
        .size:           4
        .value_kind:     by_value
      - .offset:         4
        .size:           4
        .value_kind:     by_value
      - .offset:         8
        .size:           8
        .value_kind:     by_value
      - .offset:         16
        .size:           4
        .value_kind:     by_value
      - .actual_access:  read_only
        .address_space:  global
        .offset:         24
        .size:           8
        .value_kind:     global_buffer
      - .actual_access:  read_only
        .address_space:  global
        .offset:         32
        .size:           8
        .value_kind:     global_buffer
      - .actual_access:  read_only
        .address_space:  global
        .offset:         40
        .size:           8
        .value_kind:     global_buffer
      - .actual_access:  read_only
        .address_space:  global
        .offset:         48
        .size:           8
        .value_kind:     global_buffer
      - .actual_access:  read_only
        .address_space:  global
        .offset:         56
        .size:           8
        .value_kind:     global_buffer
      - .actual_access:  read_only
        .address_space:  global
        .offset:         64
        .size:           8
        .value_kind:     global_buffer
      - .offset:         72
        .size:           8
        .value_kind:     by_value
      - .address_space:  global
        .offset:         80
        .size:           8
        .value_kind:     global_buffer
      - .offset:         88
        .size:           4
        .value_kind:     by_value
      - .offset:         92
        .size:           1
        .value_kind:     by_value
    .group_segment_fixed_size: 5000
    .kernarg_segment_align: 8
    .kernarg_segment_size: 96
    .language:       OpenCL C
    .language_version:
      - 2
      - 0
    .max_flat_workgroup_size: 625
    .name:           _ZN9rocsparseL20bsrxmvn_17_32_kernelILj25E21rocsparse_complex_numIfEiifS2_S2_EEvT2_20rocsparse_direction_NS_24const_host_device_scalarIT0_EES3_PKS3_PKT1_SC_S9_PKT3_PKT4_S7_PT5_21rocsparse_index_base_b
    .private_segment_fixed_size: 0
    .sgpr_count:     22
    .sgpr_spill_count: 0
    .symbol:         _ZN9rocsparseL20bsrxmvn_17_32_kernelILj25E21rocsparse_complex_numIfEiifS2_S2_EEvT2_20rocsparse_direction_NS_24const_host_device_scalarIT0_EES3_PKS3_PKT1_SC_S9_PKT3_PKT4_S7_PT5_21rocsparse_index_base_b.kd
    .uniform_work_group_size: 1
    .uses_dynamic_stack: false
    .vgpr_count:     16
    .vgpr_spill_count: 0
    .wavefront_size: 64
  - .args:
      - .offset:         0
        .size:           4
        .value_kind:     by_value
      - .offset:         4
        .size:           4
        .value_kind:     by_value
      - .offset:         8
        .size:           8
        .value_kind:     by_value
      - .offset:         16
        .size:           4
        .value_kind:     by_value
      - .actual_access:  read_only
        .address_space:  global
        .offset:         24
        .size:           8
        .value_kind:     global_buffer
      - .actual_access:  read_only
        .address_space:  global
        .offset:         32
        .size:           8
        .value_kind:     global_buffer
      - .actual_access:  read_only
        .address_space:  global
        .offset:         40
        .size:           8
        .value_kind:     global_buffer
      - .actual_access:  read_only
        .address_space:  global
        .offset:         48
        .size:           8
        .value_kind:     global_buffer
      - .actual_access:  read_only
        .address_space:  global
        .offset:         56
        .size:           8
        .value_kind:     global_buffer
      - .actual_access:  read_only
        .address_space:  global
        .offset:         64
        .size:           8
        .value_kind:     global_buffer
      - .offset:         72
        .size:           8
        .value_kind:     by_value
      - .address_space:  global
        .offset:         80
        .size:           8
        .value_kind:     global_buffer
      - .offset:         88
        .size:           4
        .value_kind:     by_value
      - .offset:         92
        .size:           1
        .value_kind:     by_value
    .group_segment_fixed_size: 5408
    .kernarg_segment_align: 8
    .kernarg_segment_size: 96
    .language:       OpenCL C
    .language_version:
      - 2
      - 0
    .max_flat_workgroup_size: 676
    .name:           _ZN9rocsparseL20bsrxmvn_17_32_kernelILj26E21rocsparse_complex_numIfEiifS2_S2_EEvT2_20rocsparse_direction_NS_24const_host_device_scalarIT0_EES3_PKS3_PKT1_SC_S9_PKT3_PKT4_S7_PT5_21rocsparse_index_base_b
    .private_segment_fixed_size: 0
    .sgpr_count:     22
    .sgpr_spill_count: 0
    .symbol:         _ZN9rocsparseL20bsrxmvn_17_32_kernelILj26E21rocsparse_complex_numIfEiifS2_S2_EEvT2_20rocsparse_direction_NS_24const_host_device_scalarIT0_EES3_PKS3_PKT1_SC_S9_PKT3_PKT4_S7_PT5_21rocsparse_index_base_b.kd
    .uniform_work_group_size: 1
    .uses_dynamic_stack: false
    .vgpr_count:     16
    .vgpr_spill_count: 0
    .wavefront_size: 64
  - .args:
      - .offset:         0
        .size:           4
        .value_kind:     by_value
      - .offset:         4
        .size:           4
        .value_kind:     by_value
      - .offset:         8
        .size:           8
        .value_kind:     by_value
      - .offset:         16
        .size:           4
        .value_kind:     by_value
      - .actual_access:  read_only
        .address_space:  global
        .offset:         24
        .size:           8
        .value_kind:     global_buffer
      - .actual_access:  read_only
        .address_space:  global
        .offset:         32
        .size:           8
        .value_kind:     global_buffer
      - .actual_access:  read_only
        .address_space:  global
        .offset:         40
        .size:           8
        .value_kind:     global_buffer
      - .actual_access:  read_only
        .address_space:  global
        .offset:         48
        .size:           8
        .value_kind:     global_buffer
      - .actual_access:  read_only
        .address_space:  global
        .offset:         56
        .size:           8
        .value_kind:     global_buffer
      - .actual_access:  read_only
        .address_space:  global
        .offset:         64
        .size:           8
        .value_kind:     global_buffer
      - .offset:         72
        .size:           8
        .value_kind:     by_value
      - .address_space:  global
        .offset:         80
        .size:           8
        .value_kind:     global_buffer
      - .offset:         88
        .size:           4
        .value_kind:     by_value
      - .offset:         92
        .size:           1
        .value_kind:     by_value
    .group_segment_fixed_size: 5832
    .kernarg_segment_align: 8
    .kernarg_segment_size: 96
    .language:       OpenCL C
    .language_version:
      - 2
      - 0
    .max_flat_workgroup_size: 729
    .name:           _ZN9rocsparseL20bsrxmvn_17_32_kernelILj27E21rocsparse_complex_numIfEiifS2_S2_EEvT2_20rocsparse_direction_NS_24const_host_device_scalarIT0_EES3_PKS3_PKT1_SC_S9_PKT3_PKT4_S7_PT5_21rocsparse_index_base_b
    .private_segment_fixed_size: 0
    .sgpr_count:     22
    .sgpr_spill_count: 0
    .symbol:         _ZN9rocsparseL20bsrxmvn_17_32_kernelILj27E21rocsparse_complex_numIfEiifS2_S2_EEvT2_20rocsparse_direction_NS_24const_host_device_scalarIT0_EES3_PKS3_PKT1_SC_S9_PKT3_PKT4_S7_PT5_21rocsparse_index_base_b.kd
    .uniform_work_group_size: 1
    .uses_dynamic_stack: false
    .vgpr_count:     16
    .vgpr_spill_count: 0
    .wavefront_size: 64
  - .args:
      - .offset:         0
        .size:           4
        .value_kind:     by_value
      - .offset:         4
        .size:           4
        .value_kind:     by_value
      - .offset:         8
        .size:           8
        .value_kind:     by_value
      - .offset:         16
        .size:           4
        .value_kind:     by_value
      - .actual_access:  read_only
        .address_space:  global
        .offset:         24
        .size:           8
        .value_kind:     global_buffer
      - .actual_access:  read_only
        .address_space:  global
        .offset:         32
        .size:           8
        .value_kind:     global_buffer
      - .actual_access:  read_only
        .address_space:  global
        .offset:         40
        .size:           8
        .value_kind:     global_buffer
      - .actual_access:  read_only
        .address_space:  global
        .offset:         48
        .size:           8
        .value_kind:     global_buffer
      - .actual_access:  read_only
        .address_space:  global
        .offset:         56
        .size:           8
        .value_kind:     global_buffer
      - .actual_access:  read_only
        .address_space:  global
        .offset:         64
        .size:           8
        .value_kind:     global_buffer
      - .offset:         72
        .size:           8
        .value_kind:     by_value
      - .address_space:  global
        .offset:         80
        .size:           8
        .value_kind:     global_buffer
      - .offset:         88
        .size:           4
        .value_kind:     by_value
      - .offset:         92
        .size:           1
        .value_kind:     by_value
    .group_segment_fixed_size: 6272
    .kernarg_segment_align: 8
    .kernarg_segment_size: 96
    .language:       OpenCL C
    .language_version:
      - 2
      - 0
    .max_flat_workgroup_size: 784
    .name:           _ZN9rocsparseL20bsrxmvn_17_32_kernelILj28E21rocsparse_complex_numIfEiifS2_S2_EEvT2_20rocsparse_direction_NS_24const_host_device_scalarIT0_EES3_PKS3_PKT1_SC_S9_PKT3_PKT4_S7_PT5_21rocsparse_index_base_b
    .private_segment_fixed_size: 0
    .sgpr_count:     22
    .sgpr_spill_count: 0
    .symbol:         _ZN9rocsparseL20bsrxmvn_17_32_kernelILj28E21rocsparse_complex_numIfEiifS2_S2_EEvT2_20rocsparse_direction_NS_24const_host_device_scalarIT0_EES3_PKS3_PKT1_SC_S9_PKT3_PKT4_S7_PT5_21rocsparse_index_base_b.kd
    .uniform_work_group_size: 1
    .uses_dynamic_stack: false
    .vgpr_count:     16
    .vgpr_spill_count: 0
    .wavefront_size: 64
  - .args:
      - .offset:         0
        .size:           4
        .value_kind:     by_value
      - .offset:         4
        .size:           4
        .value_kind:     by_value
      - .offset:         8
        .size:           8
        .value_kind:     by_value
      - .offset:         16
        .size:           4
        .value_kind:     by_value
      - .actual_access:  read_only
        .address_space:  global
        .offset:         24
        .size:           8
        .value_kind:     global_buffer
      - .actual_access:  read_only
        .address_space:  global
        .offset:         32
        .size:           8
        .value_kind:     global_buffer
      - .actual_access:  read_only
        .address_space:  global
        .offset:         40
        .size:           8
        .value_kind:     global_buffer
      - .actual_access:  read_only
        .address_space:  global
        .offset:         48
        .size:           8
        .value_kind:     global_buffer
      - .actual_access:  read_only
        .address_space:  global
        .offset:         56
        .size:           8
        .value_kind:     global_buffer
      - .actual_access:  read_only
        .address_space:  global
        .offset:         64
        .size:           8
        .value_kind:     global_buffer
      - .offset:         72
        .size:           8
        .value_kind:     by_value
      - .address_space:  global
        .offset:         80
        .size:           8
        .value_kind:     global_buffer
      - .offset:         88
        .size:           4
        .value_kind:     by_value
      - .offset:         92
        .size:           1
        .value_kind:     by_value
    .group_segment_fixed_size: 6728
    .kernarg_segment_align: 8
    .kernarg_segment_size: 96
    .language:       OpenCL C
    .language_version:
      - 2
      - 0
    .max_flat_workgroup_size: 841
    .name:           _ZN9rocsparseL20bsrxmvn_17_32_kernelILj29E21rocsparse_complex_numIfEiifS2_S2_EEvT2_20rocsparse_direction_NS_24const_host_device_scalarIT0_EES3_PKS3_PKT1_SC_S9_PKT3_PKT4_S7_PT5_21rocsparse_index_base_b
    .private_segment_fixed_size: 0
    .sgpr_count:     22
    .sgpr_spill_count: 0
    .symbol:         _ZN9rocsparseL20bsrxmvn_17_32_kernelILj29E21rocsparse_complex_numIfEiifS2_S2_EEvT2_20rocsparse_direction_NS_24const_host_device_scalarIT0_EES3_PKS3_PKT1_SC_S9_PKT3_PKT4_S7_PT5_21rocsparse_index_base_b.kd
    .uniform_work_group_size: 1
    .uses_dynamic_stack: false
    .vgpr_count:     16
    .vgpr_spill_count: 0
    .wavefront_size: 64
  - .args:
      - .offset:         0
        .size:           4
        .value_kind:     by_value
      - .offset:         4
        .size:           4
        .value_kind:     by_value
      - .offset:         8
        .size:           8
        .value_kind:     by_value
      - .offset:         16
        .size:           4
        .value_kind:     by_value
      - .actual_access:  read_only
        .address_space:  global
        .offset:         24
        .size:           8
        .value_kind:     global_buffer
      - .actual_access:  read_only
        .address_space:  global
        .offset:         32
        .size:           8
        .value_kind:     global_buffer
      - .actual_access:  read_only
        .address_space:  global
        .offset:         40
        .size:           8
        .value_kind:     global_buffer
      - .actual_access:  read_only
        .address_space:  global
        .offset:         48
        .size:           8
        .value_kind:     global_buffer
      - .actual_access:  read_only
        .address_space:  global
        .offset:         56
        .size:           8
        .value_kind:     global_buffer
      - .actual_access:  read_only
        .address_space:  global
        .offset:         64
        .size:           8
        .value_kind:     global_buffer
      - .offset:         72
        .size:           8
        .value_kind:     by_value
      - .address_space:  global
        .offset:         80
        .size:           8
        .value_kind:     global_buffer
      - .offset:         88
        .size:           4
        .value_kind:     by_value
      - .offset:         92
        .size:           1
        .value_kind:     by_value
    .group_segment_fixed_size: 7200
    .kernarg_segment_align: 8
    .kernarg_segment_size: 96
    .language:       OpenCL C
    .language_version:
      - 2
      - 0
    .max_flat_workgroup_size: 900
    .name:           _ZN9rocsparseL20bsrxmvn_17_32_kernelILj30E21rocsparse_complex_numIfEiifS2_S2_EEvT2_20rocsparse_direction_NS_24const_host_device_scalarIT0_EES3_PKS3_PKT1_SC_S9_PKT3_PKT4_S7_PT5_21rocsparse_index_base_b
    .private_segment_fixed_size: 0
    .sgpr_count:     22
    .sgpr_spill_count: 0
    .symbol:         _ZN9rocsparseL20bsrxmvn_17_32_kernelILj30E21rocsparse_complex_numIfEiifS2_S2_EEvT2_20rocsparse_direction_NS_24const_host_device_scalarIT0_EES3_PKS3_PKT1_SC_S9_PKT3_PKT4_S7_PT5_21rocsparse_index_base_b.kd
    .uniform_work_group_size: 1
    .uses_dynamic_stack: false
    .vgpr_count:     16
    .vgpr_spill_count: 0
    .wavefront_size: 64
  - .args:
      - .offset:         0
        .size:           4
        .value_kind:     by_value
      - .offset:         4
        .size:           4
        .value_kind:     by_value
      - .offset:         8
        .size:           8
        .value_kind:     by_value
      - .offset:         16
        .size:           4
        .value_kind:     by_value
      - .actual_access:  read_only
        .address_space:  global
        .offset:         24
        .size:           8
        .value_kind:     global_buffer
      - .actual_access:  read_only
        .address_space:  global
        .offset:         32
        .size:           8
        .value_kind:     global_buffer
      - .actual_access:  read_only
        .address_space:  global
        .offset:         40
        .size:           8
        .value_kind:     global_buffer
      - .actual_access:  read_only
        .address_space:  global
        .offset:         48
        .size:           8
        .value_kind:     global_buffer
      - .actual_access:  read_only
        .address_space:  global
        .offset:         56
        .size:           8
        .value_kind:     global_buffer
      - .actual_access:  read_only
        .address_space:  global
        .offset:         64
        .size:           8
        .value_kind:     global_buffer
      - .offset:         72
        .size:           8
        .value_kind:     by_value
      - .address_space:  global
        .offset:         80
        .size:           8
        .value_kind:     global_buffer
      - .offset:         88
        .size:           4
        .value_kind:     by_value
      - .offset:         92
        .size:           1
        .value_kind:     by_value
    .group_segment_fixed_size: 7688
    .kernarg_segment_align: 8
    .kernarg_segment_size: 96
    .language:       OpenCL C
    .language_version:
      - 2
      - 0
    .max_flat_workgroup_size: 961
    .name:           _ZN9rocsparseL20bsrxmvn_17_32_kernelILj31E21rocsparse_complex_numIfEiifS2_S2_EEvT2_20rocsparse_direction_NS_24const_host_device_scalarIT0_EES3_PKS3_PKT1_SC_S9_PKT3_PKT4_S7_PT5_21rocsparse_index_base_b
    .private_segment_fixed_size: 0
    .sgpr_count:     22
    .sgpr_spill_count: 0
    .symbol:         _ZN9rocsparseL20bsrxmvn_17_32_kernelILj31E21rocsparse_complex_numIfEiifS2_S2_EEvT2_20rocsparse_direction_NS_24const_host_device_scalarIT0_EES3_PKS3_PKT1_SC_S9_PKT3_PKT4_S7_PT5_21rocsparse_index_base_b.kd
    .uniform_work_group_size: 1
    .uses_dynamic_stack: false
    .vgpr_count:     16
    .vgpr_spill_count: 0
    .wavefront_size: 64
  - .args:
      - .offset:         0
        .size:           4
        .value_kind:     by_value
      - .offset:         4
        .size:           4
        .value_kind:     by_value
      - .offset:         8
        .size:           8
        .value_kind:     by_value
      - .offset:         16
        .size:           4
        .value_kind:     by_value
      - .actual_access:  read_only
        .address_space:  global
        .offset:         24
        .size:           8
        .value_kind:     global_buffer
      - .actual_access:  read_only
        .address_space:  global
        .offset:         32
        .size:           8
        .value_kind:     global_buffer
      - .actual_access:  read_only
        .address_space:  global
        .offset:         40
        .size:           8
        .value_kind:     global_buffer
      - .actual_access:  read_only
        .address_space:  global
        .offset:         48
        .size:           8
        .value_kind:     global_buffer
      - .actual_access:  read_only
        .address_space:  global
        .offset:         56
        .size:           8
        .value_kind:     global_buffer
      - .actual_access:  read_only
        .address_space:  global
        .offset:         64
        .size:           8
        .value_kind:     global_buffer
      - .offset:         72
        .size:           8
        .value_kind:     by_value
      - .address_space:  global
        .offset:         80
        .size:           8
        .value_kind:     global_buffer
      - .offset:         88
        .size:           4
        .value_kind:     by_value
      - .offset:         92
        .size:           1
        .value_kind:     by_value
    .group_segment_fixed_size: 8192
    .kernarg_segment_align: 8
    .kernarg_segment_size: 96
    .language:       OpenCL C
    .language_version:
      - 2
      - 0
    .max_flat_workgroup_size: 1024
    .name:           _ZN9rocsparseL20bsrxmvn_17_32_kernelILj32E21rocsparse_complex_numIfEiifS2_S2_EEvT2_20rocsparse_direction_NS_24const_host_device_scalarIT0_EES3_PKS3_PKT1_SC_S9_PKT3_PKT4_S7_PT5_21rocsparse_index_base_b
    .private_segment_fixed_size: 0
    .sgpr_count:     22
    .sgpr_spill_count: 0
    .symbol:         _ZN9rocsparseL20bsrxmvn_17_32_kernelILj32E21rocsparse_complex_numIfEiifS2_S2_EEvT2_20rocsparse_direction_NS_24const_host_device_scalarIT0_EES3_PKS3_PKT1_SC_S9_PKT3_PKT4_S7_PT5_21rocsparse_index_base_b.kd
    .uniform_work_group_size: 1
    .uses_dynamic_stack: false
    .vgpr_count:     15
    .vgpr_spill_count: 0
    .wavefront_size: 64
  - .args:
      - .offset:         0
        .size:           4
        .value_kind:     by_value
      - .offset:         4
        .size:           4
        .value_kind:     by_value
      - .offset:         8
        .size:           8
        .value_kind:     by_value
      - .offset:         16
        .size:           4
        .value_kind:     by_value
      - .actual_access:  read_only
        .address_space:  global
        .offset:         24
        .size:           8
        .value_kind:     global_buffer
      - .actual_access:  read_only
        .address_space:  global
        .offset:         32
        .size:           8
        .value_kind:     global_buffer
      - .actual_access:  read_only
        .address_space:  global
        .offset:         40
        .size:           8
        .value_kind:     global_buffer
      - .actual_access:  read_only
        .address_space:  global
        .offset:         48
        .size:           8
        .value_kind:     global_buffer
      - .actual_access:  read_only
        .address_space:  global
        .offset:         56
        .size:           8
        .value_kind:     global_buffer
      - .actual_access:  read_only
        .address_space:  global
        .offset:         64
        .size:           8
        .value_kind:     global_buffer
      - .offset:         72
        .size:           8
        .value_kind:     by_value
      - .address_space:  global
        .offset:         80
        .size:           8
        .value_kind:     global_buffer
      - .offset:         88
        .size:           4
        .value_kind:     by_value
      - .offset:         92
        .size:           1
        .value_kind:     by_value
    .group_segment_fixed_size: 2312
    .kernarg_segment_align: 8
    .kernarg_segment_size: 96
    .language:       OpenCL C
    .language_version:
      - 2
      - 0
    .max_flat_workgroup_size: 289
    .name:           _ZN9rocsparseL20bsrxmvn_17_32_kernelILj17E21rocsparse_complex_numIfElifS2_S2_EEvT2_20rocsparse_direction_NS_24const_host_device_scalarIT0_EES3_PKS3_PKT1_SC_S9_PKT3_PKT4_S7_PT5_21rocsparse_index_base_b
    .private_segment_fixed_size: 0
    .sgpr_count:     26
    .sgpr_spill_count: 0
    .symbol:         _ZN9rocsparseL20bsrxmvn_17_32_kernelILj17E21rocsparse_complex_numIfElifS2_S2_EEvT2_20rocsparse_direction_NS_24const_host_device_scalarIT0_EES3_PKS3_PKT1_SC_S9_PKT3_PKT4_S7_PT5_21rocsparse_index_base_b.kd
    .uniform_work_group_size: 1
    .uses_dynamic_stack: false
    .vgpr_count:     18
    .vgpr_spill_count: 0
    .wavefront_size: 64
  - .args:
      - .offset:         0
        .size:           4
        .value_kind:     by_value
      - .offset:         4
        .size:           4
        .value_kind:     by_value
      - .offset:         8
        .size:           8
        .value_kind:     by_value
      - .offset:         16
        .size:           4
        .value_kind:     by_value
      - .actual_access:  read_only
        .address_space:  global
        .offset:         24
        .size:           8
        .value_kind:     global_buffer
      - .actual_access:  read_only
        .address_space:  global
        .offset:         32
        .size:           8
        .value_kind:     global_buffer
      - .actual_access:  read_only
        .address_space:  global
        .offset:         40
        .size:           8
        .value_kind:     global_buffer
      - .actual_access:  read_only
        .address_space:  global
        .offset:         48
        .size:           8
        .value_kind:     global_buffer
      - .actual_access:  read_only
        .address_space:  global
        .offset:         56
        .size:           8
        .value_kind:     global_buffer
      - .actual_access:  read_only
        .address_space:  global
        .offset:         64
        .size:           8
        .value_kind:     global_buffer
      - .offset:         72
        .size:           8
        .value_kind:     by_value
      - .address_space:  global
        .offset:         80
        .size:           8
        .value_kind:     global_buffer
      - .offset:         88
        .size:           4
        .value_kind:     by_value
      - .offset:         92
        .size:           1
        .value_kind:     by_value
    .group_segment_fixed_size: 2592
    .kernarg_segment_align: 8
    .kernarg_segment_size: 96
    .language:       OpenCL C
    .language_version:
      - 2
      - 0
    .max_flat_workgroup_size: 324
    .name:           _ZN9rocsparseL20bsrxmvn_17_32_kernelILj18E21rocsparse_complex_numIfElifS2_S2_EEvT2_20rocsparse_direction_NS_24const_host_device_scalarIT0_EES3_PKS3_PKT1_SC_S9_PKT3_PKT4_S7_PT5_21rocsparse_index_base_b
    .private_segment_fixed_size: 0
    .sgpr_count:     26
    .sgpr_spill_count: 0
    .symbol:         _ZN9rocsparseL20bsrxmvn_17_32_kernelILj18E21rocsparse_complex_numIfElifS2_S2_EEvT2_20rocsparse_direction_NS_24const_host_device_scalarIT0_EES3_PKS3_PKT1_SC_S9_PKT3_PKT4_S7_PT5_21rocsparse_index_base_b.kd
    .uniform_work_group_size: 1
    .uses_dynamic_stack: false
    .vgpr_count:     18
    .vgpr_spill_count: 0
    .wavefront_size: 64
  - .args:
      - .offset:         0
        .size:           4
        .value_kind:     by_value
      - .offset:         4
        .size:           4
        .value_kind:     by_value
      - .offset:         8
        .size:           8
        .value_kind:     by_value
      - .offset:         16
        .size:           4
        .value_kind:     by_value
      - .actual_access:  read_only
        .address_space:  global
        .offset:         24
        .size:           8
        .value_kind:     global_buffer
      - .actual_access:  read_only
        .address_space:  global
        .offset:         32
        .size:           8
        .value_kind:     global_buffer
      - .actual_access:  read_only
        .address_space:  global
        .offset:         40
        .size:           8
        .value_kind:     global_buffer
      - .actual_access:  read_only
        .address_space:  global
        .offset:         48
        .size:           8
        .value_kind:     global_buffer
      - .actual_access:  read_only
        .address_space:  global
        .offset:         56
        .size:           8
        .value_kind:     global_buffer
      - .actual_access:  read_only
        .address_space:  global
        .offset:         64
        .size:           8
        .value_kind:     global_buffer
      - .offset:         72
        .size:           8
        .value_kind:     by_value
      - .address_space:  global
        .offset:         80
        .size:           8
        .value_kind:     global_buffer
      - .offset:         88
        .size:           4
        .value_kind:     by_value
      - .offset:         92
        .size:           1
        .value_kind:     by_value
    .group_segment_fixed_size: 2888
    .kernarg_segment_align: 8
    .kernarg_segment_size: 96
    .language:       OpenCL C
    .language_version:
      - 2
      - 0
    .max_flat_workgroup_size: 361
    .name:           _ZN9rocsparseL20bsrxmvn_17_32_kernelILj19E21rocsparse_complex_numIfElifS2_S2_EEvT2_20rocsparse_direction_NS_24const_host_device_scalarIT0_EES3_PKS3_PKT1_SC_S9_PKT3_PKT4_S7_PT5_21rocsparse_index_base_b
    .private_segment_fixed_size: 0
    .sgpr_count:     26
    .sgpr_spill_count: 0
    .symbol:         _ZN9rocsparseL20bsrxmvn_17_32_kernelILj19E21rocsparse_complex_numIfElifS2_S2_EEvT2_20rocsparse_direction_NS_24const_host_device_scalarIT0_EES3_PKS3_PKT1_SC_S9_PKT3_PKT4_S7_PT5_21rocsparse_index_base_b.kd
    .uniform_work_group_size: 1
    .uses_dynamic_stack: false
    .vgpr_count:     20
    .vgpr_spill_count: 0
    .wavefront_size: 64
  - .args:
      - .offset:         0
        .size:           4
        .value_kind:     by_value
      - .offset:         4
        .size:           4
        .value_kind:     by_value
      - .offset:         8
        .size:           8
        .value_kind:     by_value
      - .offset:         16
        .size:           4
        .value_kind:     by_value
      - .actual_access:  read_only
        .address_space:  global
        .offset:         24
        .size:           8
        .value_kind:     global_buffer
      - .actual_access:  read_only
        .address_space:  global
        .offset:         32
        .size:           8
        .value_kind:     global_buffer
      - .actual_access:  read_only
        .address_space:  global
        .offset:         40
        .size:           8
        .value_kind:     global_buffer
      - .actual_access:  read_only
        .address_space:  global
        .offset:         48
        .size:           8
        .value_kind:     global_buffer
      - .actual_access:  read_only
        .address_space:  global
        .offset:         56
        .size:           8
        .value_kind:     global_buffer
      - .actual_access:  read_only
        .address_space:  global
        .offset:         64
        .size:           8
        .value_kind:     global_buffer
      - .offset:         72
        .size:           8
        .value_kind:     by_value
      - .address_space:  global
        .offset:         80
        .size:           8
        .value_kind:     global_buffer
      - .offset:         88
        .size:           4
        .value_kind:     by_value
      - .offset:         92
        .size:           1
        .value_kind:     by_value
    .group_segment_fixed_size: 3200
    .kernarg_segment_align: 8
    .kernarg_segment_size: 96
    .language:       OpenCL C
    .language_version:
      - 2
      - 0
    .max_flat_workgroup_size: 400
    .name:           _ZN9rocsparseL20bsrxmvn_17_32_kernelILj20E21rocsparse_complex_numIfElifS2_S2_EEvT2_20rocsparse_direction_NS_24const_host_device_scalarIT0_EES3_PKS3_PKT1_SC_S9_PKT3_PKT4_S7_PT5_21rocsparse_index_base_b
    .private_segment_fixed_size: 0
    .sgpr_count:     26
    .sgpr_spill_count: 0
    .symbol:         _ZN9rocsparseL20bsrxmvn_17_32_kernelILj20E21rocsparse_complex_numIfElifS2_S2_EEvT2_20rocsparse_direction_NS_24const_host_device_scalarIT0_EES3_PKS3_PKT1_SC_S9_PKT3_PKT4_S7_PT5_21rocsparse_index_base_b.kd
    .uniform_work_group_size: 1
    .uses_dynamic_stack: false
    .vgpr_count:     20
    .vgpr_spill_count: 0
    .wavefront_size: 64
  - .args:
      - .offset:         0
        .size:           4
        .value_kind:     by_value
      - .offset:         4
        .size:           4
        .value_kind:     by_value
      - .offset:         8
        .size:           8
        .value_kind:     by_value
      - .offset:         16
        .size:           4
        .value_kind:     by_value
      - .actual_access:  read_only
        .address_space:  global
        .offset:         24
        .size:           8
        .value_kind:     global_buffer
      - .actual_access:  read_only
        .address_space:  global
        .offset:         32
        .size:           8
        .value_kind:     global_buffer
      - .actual_access:  read_only
        .address_space:  global
        .offset:         40
        .size:           8
        .value_kind:     global_buffer
      - .actual_access:  read_only
        .address_space:  global
        .offset:         48
        .size:           8
        .value_kind:     global_buffer
      - .actual_access:  read_only
        .address_space:  global
        .offset:         56
        .size:           8
        .value_kind:     global_buffer
      - .actual_access:  read_only
        .address_space:  global
        .offset:         64
        .size:           8
        .value_kind:     global_buffer
      - .offset:         72
        .size:           8
        .value_kind:     by_value
      - .address_space:  global
        .offset:         80
        .size:           8
        .value_kind:     global_buffer
      - .offset:         88
        .size:           4
        .value_kind:     by_value
      - .offset:         92
        .size:           1
        .value_kind:     by_value
    .group_segment_fixed_size: 3528
    .kernarg_segment_align: 8
    .kernarg_segment_size: 96
    .language:       OpenCL C
    .language_version:
      - 2
      - 0
    .max_flat_workgroup_size: 441
    .name:           _ZN9rocsparseL20bsrxmvn_17_32_kernelILj21E21rocsparse_complex_numIfElifS2_S2_EEvT2_20rocsparse_direction_NS_24const_host_device_scalarIT0_EES3_PKS3_PKT1_SC_S9_PKT3_PKT4_S7_PT5_21rocsparse_index_base_b
    .private_segment_fixed_size: 0
    .sgpr_count:     26
    .sgpr_spill_count: 0
    .symbol:         _ZN9rocsparseL20bsrxmvn_17_32_kernelILj21E21rocsparse_complex_numIfElifS2_S2_EEvT2_20rocsparse_direction_NS_24const_host_device_scalarIT0_EES3_PKS3_PKT1_SC_S9_PKT3_PKT4_S7_PT5_21rocsparse_index_base_b.kd
    .uniform_work_group_size: 1
    .uses_dynamic_stack: false
    .vgpr_count:     20
    .vgpr_spill_count: 0
    .wavefront_size: 64
  - .args:
      - .offset:         0
        .size:           4
        .value_kind:     by_value
      - .offset:         4
        .size:           4
        .value_kind:     by_value
      - .offset:         8
        .size:           8
        .value_kind:     by_value
      - .offset:         16
        .size:           4
        .value_kind:     by_value
      - .actual_access:  read_only
        .address_space:  global
        .offset:         24
        .size:           8
        .value_kind:     global_buffer
      - .actual_access:  read_only
        .address_space:  global
        .offset:         32
        .size:           8
        .value_kind:     global_buffer
      - .actual_access:  read_only
        .address_space:  global
        .offset:         40
        .size:           8
        .value_kind:     global_buffer
      - .actual_access:  read_only
        .address_space:  global
        .offset:         48
        .size:           8
        .value_kind:     global_buffer
      - .actual_access:  read_only
        .address_space:  global
        .offset:         56
        .size:           8
        .value_kind:     global_buffer
      - .actual_access:  read_only
        .address_space:  global
        .offset:         64
        .size:           8
        .value_kind:     global_buffer
      - .offset:         72
        .size:           8
        .value_kind:     by_value
      - .address_space:  global
        .offset:         80
        .size:           8
        .value_kind:     global_buffer
      - .offset:         88
        .size:           4
        .value_kind:     by_value
      - .offset:         92
        .size:           1
        .value_kind:     by_value
    .group_segment_fixed_size: 3872
    .kernarg_segment_align: 8
    .kernarg_segment_size: 96
    .language:       OpenCL C
    .language_version:
      - 2
      - 0
    .max_flat_workgroup_size: 484
    .name:           _ZN9rocsparseL20bsrxmvn_17_32_kernelILj22E21rocsparse_complex_numIfElifS2_S2_EEvT2_20rocsparse_direction_NS_24const_host_device_scalarIT0_EES3_PKS3_PKT1_SC_S9_PKT3_PKT4_S7_PT5_21rocsparse_index_base_b
    .private_segment_fixed_size: 0
    .sgpr_count:     26
    .sgpr_spill_count: 0
    .symbol:         _ZN9rocsparseL20bsrxmvn_17_32_kernelILj22E21rocsparse_complex_numIfElifS2_S2_EEvT2_20rocsparse_direction_NS_24const_host_device_scalarIT0_EES3_PKS3_PKT1_SC_S9_PKT3_PKT4_S7_PT5_21rocsparse_index_base_b.kd
    .uniform_work_group_size: 1
    .uses_dynamic_stack: false
    .vgpr_count:     20
    .vgpr_spill_count: 0
    .wavefront_size: 64
  - .args:
      - .offset:         0
        .size:           4
        .value_kind:     by_value
      - .offset:         4
        .size:           4
        .value_kind:     by_value
      - .offset:         8
        .size:           8
        .value_kind:     by_value
      - .offset:         16
        .size:           4
        .value_kind:     by_value
      - .actual_access:  read_only
        .address_space:  global
        .offset:         24
        .size:           8
        .value_kind:     global_buffer
      - .actual_access:  read_only
        .address_space:  global
        .offset:         32
        .size:           8
        .value_kind:     global_buffer
      - .actual_access:  read_only
        .address_space:  global
        .offset:         40
        .size:           8
        .value_kind:     global_buffer
      - .actual_access:  read_only
        .address_space:  global
        .offset:         48
        .size:           8
        .value_kind:     global_buffer
      - .actual_access:  read_only
        .address_space:  global
        .offset:         56
        .size:           8
        .value_kind:     global_buffer
      - .actual_access:  read_only
        .address_space:  global
        .offset:         64
        .size:           8
        .value_kind:     global_buffer
      - .offset:         72
        .size:           8
        .value_kind:     by_value
      - .address_space:  global
        .offset:         80
        .size:           8
        .value_kind:     global_buffer
      - .offset:         88
        .size:           4
        .value_kind:     by_value
      - .offset:         92
        .size:           1
        .value_kind:     by_value
    .group_segment_fixed_size: 4232
    .kernarg_segment_align: 8
    .kernarg_segment_size: 96
    .language:       OpenCL C
    .language_version:
      - 2
      - 0
    .max_flat_workgroup_size: 529
    .name:           _ZN9rocsparseL20bsrxmvn_17_32_kernelILj23E21rocsparse_complex_numIfElifS2_S2_EEvT2_20rocsparse_direction_NS_24const_host_device_scalarIT0_EES3_PKS3_PKT1_SC_S9_PKT3_PKT4_S7_PT5_21rocsparse_index_base_b
    .private_segment_fixed_size: 0
    .sgpr_count:     26
    .sgpr_spill_count: 0
    .symbol:         _ZN9rocsparseL20bsrxmvn_17_32_kernelILj23E21rocsparse_complex_numIfElifS2_S2_EEvT2_20rocsparse_direction_NS_24const_host_device_scalarIT0_EES3_PKS3_PKT1_SC_S9_PKT3_PKT4_S7_PT5_21rocsparse_index_base_b.kd
    .uniform_work_group_size: 1
    .uses_dynamic_stack: false
    .vgpr_count:     20
    .vgpr_spill_count: 0
    .wavefront_size: 64
  - .args:
      - .offset:         0
        .size:           4
        .value_kind:     by_value
      - .offset:         4
        .size:           4
        .value_kind:     by_value
      - .offset:         8
        .size:           8
        .value_kind:     by_value
      - .offset:         16
        .size:           4
        .value_kind:     by_value
      - .actual_access:  read_only
        .address_space:  global
        .offset:         24
        .size:           8
        .value_kind:     global_buffer
      - .actual_access:  read_only
        .address_space:  global
        .offset:         32
        .size:           8
        .value_kind:     global_buffer
      - .actual_access:  read_only
        .address_space:  global
        .offset:         40
        .size:           8
        .value_kind:     global_buffer
      - .actual_access:  read_only
        .address_space:  global
        .offset:         48
        .size:           8
        .value_kind:     global_buffer
      - .actual_access:  read_only
        .address_space:  global
        .offset:         56
        .size:           8
        .value_kind:     global_buffer
      - .actual_access:  read_only
        .address_space:  global
        .offset:         64
        .size:           8
        .value_kind:     global_buffer
      - .offset:         72
        .size:           8
        .value_kind:     by_value
      - .address_space:  global
        .offset:         80
        .size:           8
        .value_kind:     global_buffer
      - .offset:         88
        .size:           4
        .value_kind:     by_value
      - .offset:         92
        .size:           1
        .value_kind:     by_value
    .group_segment_fixed_size: 4608
    .kernarg_segment_align: 8
    .kernarg_segment_size: 96
    .language:       OpenCL C
    .language_version:
      - 2
      - 0
    .max_flat_workgroup_size: 576
    .name:           _ZN9rocsparseL20bsrxmvn_17_32_kernelILj24E21rocsparse_complex_numIfElifS2_S2_EEvT2_20rocsparse_direction_NS_24const_host_device_scalarIT0_EES3_PKS3_PKT1_SC_S9_PKT3_PKT4_S7_PT5_21rocsparse_index_base_b
    .private_segment_fixed_size: 0
    .sgpr_count:     26
    .sgpr_spill_count: 0
    .symbol:         _ZN9rocsparseL20bsrxmvn_17_32_kernelILj24E21rocsparse_complex_numIfElifS2_S2_EEvT2_20rocsparse_direction_NS_24const_host_device_scalarIT0_EES3_PKS3_PKT1_SC_S9_PKT3_PKT4_S7_PT5_21rocsparse_index_base_b.kd
    .uniform_work_group_size: 1
    .uses_dynamic_stack: false
    .vgpr_count:     20
    .vgpr_spill_count: 0
    .wavefront_size: 64
  - .args:
      - .offset:         0
        .size:           4
        .value_kind:     by_value
      - .offset:         4
        .size:           4
        .value_kind:     by_value
      - .offset:         8
        .size:           8
        .value_kind:     by_value
      - .offset:         16
        .size:           4
        .value_kind:     by_value
      - .actual_access:  read_only
        .address_space:  global
        .offset:         24
        .size:           8
        .value_kind:     global_buffer
      - .actual_access:  read_only
        .address_space:  global
        .offset:         32
        .size:           8
        .value_kind:     global_buffer
      - .actual_access:  read_only
        .address_space:  global
        .offset:         40
        .size:           8
        .value_kind:     global_buffer
      - .actual_access:  read_only
        .address_space:  global
        .offset:         48
        .size:           8
        .value_kind:     global_buffer
      - .actual_access:  read_only
        .address_space:  global
        .offset:         56
        .size:           8
        .value_kind:     global_buffer
      - .actual_access:  read_only
        .address_space:  global
        .offset:         64
        .size:           8
        .value_kind:     global_buffer
      - .offset:         72
        .size:           8
        .value_kind:     by_value
      - .address_space:  global
        .offset:         80
        .size:           8
        .value_kind:     global_buffer
      - .offset:         88
        .size:           4
        .value_kind:     by_value
      - .offset:         92
        .size:           1
        .value_kind:     by_value
    .group_segment_fixed_size: 5000
    .kernarg_segment_align: 8
    .kernarg_segment_size: 96
    .language:       OpenCL C
    .language_version:
      - 2
      - 0
    .max_flat_workgroup_size: 625
    .name:           _ZN9rocsparseL20bsrxmvn_17_32_kernelILj25E21rocsparse_complex_numIfElifS2_S2_EEvT2_20rocsparse_direction_NS_24const_host_device_scalarIT0_EES3_PKS3_PKT1_SC_S9_PKT3_PKT4_S7_PT5_21rocsparse_index_base_b
    .private_segment_fixed_size: 0
    .sgpr_count:     26
    .sgpr_spill_count: 0
    .symbol:         _ZN9rocsparseL20bsrxmvn_17_32_kernelILj25E21rocsparse_complex_numIfElifS2_S2_EEvT2_20rocsparse_direction_NS_24const_host_device_scalarIT0_EES3_PKS3_PKT1_SC_S9_PKT3_PKT4_S7_PT5_21rocsparse_index_base_b.kd
    .uniform_work_group_size: 1
    .uses_dynamic_stack: false
    .vgpr_count:     20
    .vgpr_spill_count: 0
    .wavefront_size: 64
  - .args:
      - .offset:         0
        .size:           4
        .value_kind:     by_value
      - .offset:         4
        .size:           4
        .value_kind:     by_value
      - .offset:         8
        .size:           8
        .value_kind:     by_value
      - .offset:         16
        .size:           4
        .value_kind:     by_value
      - .actual_access:  read_only
        .address_space:  global
        .offset:         24
        .size:           8
        .value_kind:     global_buffer
      - .actual_access:  read_only
        .address_space:  global
        .offset:         32
        .size:           8
        .value_kind:     global_buffer
      - .actual_access:  read_only
        .address_space:  global
        .offset:         40
        .size:           8
        .value_kind:     global_buffer
      - .actual_access:  read_only
        .address_space:  global
        .offset:         48
        .size:           8
        .value_kind:     global_buffer
      - .actual_access:  read_only
        .address_space:  global
        .offset:         56
        .size:           8
        .value_kind:     global_buffer
      - .actual_access:  read_only
        .address_space:  global
        .offset:         64
        .size:           8
        .value_kind:     global_buffer
      - .offset:         72
        .size:           8
        .value_kind:     by_value
      - .address_space:  global
        .offset:         80
        .size:           8
        .value_kind:     global_buffer
      - .offset:         88
        .size:           4
        .value_kind:     by_value
      - .offset:         92
        .size:           1
        .value_kind:     by_value
    .group_segment_fixed_size: 5408
    .kernarg_segment_align: 8
    .kernarg_segment_size: 96
    .language:       OpenCL C
    .language_version:
      - 2
      - 0
    .max_flat_workgroup_size: 676
    .name:           _ZN9rocsparseL20bsrxmvn_17_32_kernelILj26E21rocsparse_complex_numIfElifS2_S2_EEvT2_20rocsparse_direction_NS_24const_host_device_scalarIT0_EES3_PKS3_PKT1_SC_S9_PKT3_PKT4_S7_PT5_21rocsparse_index_base_b
    .private_segment_fixed_size: 0
    .sgpr_count:     26
    .sgpr_spill_count: 0
    .symbol:         _ZN9rocsparseL20bsrxmvn_17_32_kernelILj26E21rocsparse_complex_numIfElifS2_S2_EEvT2_20rocsparse_direction_NS_24const_host_device_scalarIT0_EES3_PKS3_PKT1_SC_S9_PKT3_PKT4_S7_PT5_21rocsparse_index_base_b.kd
    .uniform_work_group_size: 1
    .uses_dynamic_stack: false
    .vgpr_count:     20
    .vgpr_spill_count: 0
    .wavefront_size: 64
  - .args:
      - .offset:         0
        .size:           4
        .value_kind:     by_value
      - .offset:         4
        .size:           4
        .value_kind:     by_value
      - .offset:         8
        .size:           8
        .value_kind:     by_value
      - .offset:         16
        .size:           4
        .value_kind:     by_value
      - .actual_access:  read_only
        .address_space:  global
        .offset:         24
        .size:           8
        .value_kind:     global_buffer
      - .actual_access:  read_only
        .address_space:  global
        .offset:         32
        .size:           8
        .value_kind:     global_buffer
      - .actual_access:  read_only
        .address_space:  global
        .offset:         40
        .size:           8
        .value_kind:     global_buffer
      - .actual_access:  read_only
        .address_space:  global
        .offset:         48
        .size:           8
        .value_kind:     global_buffer
      - .actual_access:  read_only
        .address_space:  global
        .offset:         56
        .size:           8
        .value_kind:     global_buffer
      - .actual_access:  read_only
        .address_space:  global
        .offset:         64
        .size:           8
        .value_kind:     global_buffer
      - .offset:         72
        .size:           8
        .value_kind:     by_value
      - .address_space:  global
        .offset:         80
        .size:           8
        .value_kind:     global_buffer
      - .offset:         88
        .size:           4
        .value_kind:     by_value
      - .offset:         92
        .size:           1
        .value_kind:     by_value
    .group_segment_fixed_size: 5832
    .kernarg_segment_align: 8
    .kernarg_segment_size: 96
    .language:       OpenCL C
    .language_version:
      - 2
      - 0
    .max_flat_workgroup_size: 729
    .name:           _ZN9rocsparseL20bsrxmvn_17_32_kernelILj27E21rocsparse_complex_numIfElifS2_S2_EEvT2_20rocsparse_direction_NS_24const_host_device_scalarIT0_EES3_PKS3_PKT1_SC_S9_PKT3_PKT4_S7_PT5_21rocsparse_index_base_b
    .private_segment_fixed_size: 0
    .sgpr_count:     26
    .sgpr_spill_count: 0
    .symbol:         _ZN9rocsparseL20bsrxmvn_17_32_kernelILj27E21rocsparse_complex_numIfElifS2_S2_EEvT2_20rocsparse_direction_NS_24const_host_device_scalarIT0_EES3_PKS3_PKT1_SC_S9_PKT3_PKT4_S7_PT5_21rocsparse_index_base_b.kd
    .uniform_work_group_size: 1
    .uses_dynamic_stack: false
    .vgpr_count:     20
    .vgpr_spill_count: 0
    .wavefront_size: 64
  - .args:
      - .offset:         0
        .size:           4
        .value_kind:     by_value
      - .offset:         4
        .size:           4
        .value_kind:     by_value
      - .offset:         8
        .size:           8
        .value_kind:     by_value
      - .offset:         16
        .size:           4
        .value_kind:     by_value
      - .actual_access:  read_only
        .address_space:  global
        .offset:         24
        .size:           8
        .value_kind:     global_buffer
      - .actual_access:  read_only
        .address_space:  global
        .offset:         32
        .size:           8
        .value_kind:     global_buffer
      - .actual_access:  read_only
        .address_space:  global
        .offset:         40
        .size:           8
        .value_kind:     global_buffer
      - .actual_access:  read_only
        .address_space:  global
        .offset:         48
        .size:           8
        .value_kind:     global_buffer
      - .actual_access:  read_only
        .address_space:  global
        .offset:         56
        .size:           8
        .value_kind:     global_buffer
      - .actual_access:  read_only
        .address_space:  global
        .offset:         64
        .size:           8
        .value_kind:     global_buffer
      - .offset:         72
        .size:           8
        .value_kind:     by_value
      - .address_space:  global
        .offset:         80
        .size:           8
        .value_kind:     global_buffer
      - .offset:         88
        .size:           4
        .value_kind:     by_value
      - .offset:         92
        .size:           1
        .value_kind:     by_value
    .group_segment_fixed_size: 6272
    .kernarg_segment_align: 8
    .kernarg_segment_size: 96
    .language:       OpenCL C
    .language_version:
      - 2
      - 0
    .max_flat_workgroup_size: 784
    .name:           _ZN9rocsparseL20bsrxmvn_17_32_kernelILj28E21rocsparse_complex_numIfElifS2_S2_EEvT2_20rocsparse_direction_NS_24const_host_device_scalarIT0_EES3_PKS3_PKT1_SC_S9_PKT3_PKT4_S7_PT5_21rocsparse_index_base_b
    .private_segment_fixed_size: 0
    .sgpr_count:     26
    .sgpr_spill_count: 0
    .symbol:         _ZN9rocsparseL20bsrxmvn_17_32_kernelILj28E21rocsparse_complex_numIfElifS2_S2_EEvT2_20rocsparse_direction_NS_24const_host_device_scalarIT0_EES3_PKS3_PKT1_SC_S9_PKT3_PKT4_S7_PT5_21rocsparse_index_base_b.kd
    .uniform_work_group_size: 1
    .uses_dynamic_stack: false
    .vgpr_count:     20
    .vgpr_spill_count: 0
    .wavefront_size: 64
  - .args:
      - .offset:         0
        .size:           4
        .value_kind:     by_value
      - .offset:         4
        .size:           4
        .value_kind:     by_value
      - .offset:         8
        .size:           8
        .value_kind:     by_value
      - .offset:         16
        .size:           4
        .value_kind:     by_value
      - .actual_access:  read_only
        .address_space:  global
        .offset:         24
        .size:           8
        .value_kind:     global_buffer
      - .actual_access:  read_only
        .address_space:  global
        .offset:         32
        .size:           8
        .value_kind:     global_buffer
      - .actual_access:  read_only
        .address_space:  global
        .offset:         40
        .size:           8
        .value_kind:     global_buffer
      - .actual_access:  read_only
        .address_space:  global
        .offset:         48
        .size:           8
        .value_kind:     global_buffer
      - .actual_access:  read_only
        .address_space:  global
        .offset:         56
        .size:           8
        .value_kind:     global_buffer
      - .actual_access:  read_only
        .address_space:  global
        .offset:         64
        .size:           8
        .value_kind:     global_buffer
      - .offset:         72
        .size:           8
        .value_kind:     by_value
      - .address_space:  global
        .offset:         80
        .size:           8
        .value_kind:     global_buffer
      - .offset:         88
        .size:           4
        .value_kind:     by_value
      - .offset:         92
        .size:           1
        .value_kind:     by_value
    .group_segment_fixed_size: 6728
    .kernarg_segment_align: 8
    .kernarg_segment_size: 96
    .language:       OpenCL C
    .language_version:
      - 2
      - 0
    .max_flat_workgroup_size: 841
    .name:           _ZN9rocsparseL20bsrxmvn_17_32_kernelILj29E21rocsparse_complex_numIfElifS2_S2_EEvT2_20rocsparse_direction_NS_24const_host_device_scalarIT0_EES3_PKS3_PKT1_SC_S9_PKT3_PKT4_S7_PT5_21rocsparse_index_base_b
    .private_segment_fixed_size: 0
    .sgpr_count:     26
    .sgpr_spill_count: 0
    .symbol:         _ZN9rocsparseL20bsrxmvn_17_32_kernelILj29E21rocsparse_complex_numIfElifS2_S2_EEvT2_20rocsparse_direction_NS_24const_host_device_scalarIT0_EES3_PKS3_PKT1_SC_S9_PKT3_PKT4_S7_PT5_21rocsparse_index_base_b.kd
    .uniform_work_group_size: 1
    .uses_dynamic_stack: false
    .vgpr_count:     20
    .vgpr_spill_count: 0
    .wavefront_size: 64
  - .args:
      - .offset:         0
        .size:           4
        .value_kind:     by_value
      - .offset:         4
        .size:           4
        .value_kind:     by_value
      - .offset:         8
        .size:           8
        .value_kind:     by_value
      - .offset:         16
        .size:           4
        .value_kind:     by_value
      - .actual_access:  read_only
        .address_space:  global
        .offset:         24
        .size:           8
        .value_kind:     global_buffer
      - .actual_access:  read_only
        .address_space:  global
        .offset:         32
        .size:           8
        .value_kind:     global_buffer
      - .actual_access:  read_only
        .address_space:  global
        .offset:         40
        .size:           8
        .value_kind:     global_buffer
      - .actual_access:  read_only
        .address_space:  global
        .offset:         48
        .size:           8
        .value_kind:     global_buffer
      - .actual_access:  read_only
        .address_space:  global
        .offset:         56
        .size:           8
        .value_kind:     global_buffer
      - .actual_access:  read_only
        .address_space:  global
        .offset:         64
        .size:           8
        .value_kind:     global_buffer
      - .offset:         72
        .size:           8
        .value_kind:     by_value
      - .address_space:  global
        .offset:         80
        .size:           8
        .value_kind:     global_buffer
      - .offset:         88
        .size:           4
        .value_kind:     by_value
      - .offset:         92
        .size:           1
        .value_kind:     by_value
    .group_segment_fixed_size: 7200
    .kernarg_segment_align: 8
    .kernarg_segment_size: 96
    .language:       OpenCL C
    .language_version:
      - 2
      - 0
    .max_flat_workgroup_size: 900
    .name:           _ZN9rocsparseL20bsrxmvn_17_32_kernelILj30E21rocsparse_complex_numIfElifS2_S2_EEvT2_20rocsparse_direction_NS_24const_host_device_scalarIT0_EES3_PKS3_PKT1_SC_S9_PKT3_PKT4_S7_PT5_21rocsparse_index_base_b
    .private_segment_fixed_size: 0
    .sgpr_count:     26
    .sgpr_spill_count: 0
    .symbol:         _ZN9rocsparseL20bsrxmvn_17_32_kernelILj30E21rocsparse_complex_numIfElifS2_S2_EEvT2_20rocsparse_direction_NS_24const_host_device_scalarIT0_EES3_PKS3_PKT1_SC_S9_PKT3_PKT4_S7_PT5_21rocsparse_index_base_b.kd
    .uniform_work_group_size: 1
    .uses_dynamic_stack: false
    .vgpr_count:     20
    .vgpr_spill_count: 0
    .wavefront_size: 64
  - .args:
      - .offset:         0
        .size:           4
        .value_kind:     by_value
      - .offset:         4
        .size:           4
        .value_kind:     by_value
      - .offset:         8
        .size:           8
        .value_kind:     by_value
      - .offset:         16
        .size:           4
        .value_kind:     by_value
      - .actual_access:  read_only
        .address_space:  global
        .offset:         24
        .size:           8
        .value_kind:     global_buffer
      - .actual_access:  read_only
        .address_space:  global
        .offset:         32
        .size:           8
        .value_kind:     global_buffer
      - .actual_access:  read_only
        .address_space:  global
        .offset:         40
        .size:           8
        .value_kind:     global_buffer
      - .actual_access:  read_only
        .address_space:  global
        .offset:         48
        .size:           8
        .value_kind:     global_buffer
      - .actual_access:  read_only
        .address_space:  global
        .offset:         56
        .size:           8
        .value_kind:     global_buffer
      - .actual_access:  read_only
        .address_space:  global
        .offset:         64
        .size:           8
        .value_kind:     global_buffer
      - .offset:         72
        .size:           8
        .value_kind:     by_value
      - .address_space:  global
        .offset:         80
        .size:           8
        .value_kind:     global_buffer
      - .offset:         88
        .size:           4
        .value_kind:     by_value
      - .offset:         92
        .size:           1
        .value_kind:     by_value
    .group_segment_fixed_size: 7688
    .kernarg_segment_align: 8
    .kernarg_segment_size: 96
    .language:       OpenCL C
    .language_version:
      - 2
      - 0
    .max_flat_workgroup_size: 961
    .name:           _ZN9rocsparseL20bsrxmvn_17_32_kernelILj31E21rocsparse_complex_numIfElifS2_S2_EEvT2_20rocsparse_direction_NS_24const_host_device_scalarIT0_EES3_PKS3_PKT1_SC_S9_PKT3_PKT4_S7_PT5_21rocsparse_index_base_b
    .private_segment_fixed_size: 0
    .sgpr_count:     26
    .sgpr_spill_count: 0
    .symbol:         _ZN9rocsparseL20bsrxmvn_17_32_kernelILj31E21rocsparse_complex_numIfElifS2_S2_EEvT2_20rocsparse_direction_NS_24const_host_device_scalarIT0_EES3_PKS3_PKT1_SC_S9_PKT3_PKT4_S7_PT5_21rocsparse_index_base_b.kd
    .uniform_work_group_size: 1
    .uses_dynamic_stack: false
    .vgpr_count:     20
    .vgpr_spill_count: 0
    .wavefront_size: 64
  - .args:
      - .offset:         0
        .size:           4
        .value_kind:     by_value
      - .offset:         4
        .size:           4
        .value_kind:     by_value
      - .offset:         8
        .size:           8
        .value_kind:     by_value
      - .offset:         16
        .size:           4
        .value_kind:     by_value
      - .actual_access:  read_only
        .address_space:  global
        .offset:         24
        .size:           8
        .value_kind:     global_buffer
      - .actual_access:  read_only
        .address_space:  global
        .offset:         32
        .size:           8
        .value_kind:     global_buffer
      - .actual_access:  read_only
        .address_space:  global
        .offset:         40
        .size:           8
        .value_kind:     global_buffer
      - .actual_access:  read_only
        .address_space:  global
        .offset:         48
        .size:           8
        .value_kind:     global_buffer
      - .actual_access:  read_only
        .address_space:  global
        .offset:         56
        .size:           8
        .value_kind:     global_buffer
      - .actual_access:  read_only
        .address_space:  global
        .offset:         64
        .size:           8
        .value_kind:     global_buffer
      - .offset:         72
        .size:           8
        .value_kind:     by_value
      - .address_space:  global
        .offset:         80
        .size:           8
        .value_kind:     global_buffer
      - .offset:         88
        .size:           4
        .value_kind:     by_value
      - .offset:         92
        .size:           1
        .value_kind:     by_value
    .group_segment_fixed_size: 8192
    .kernarg_segment_align: 8
    .kernarg_segment_size: 96
    .language:       OpenCL C
    .language_version:
      - 2
      - 0
    .max_flat_workgroup_size: 1024
    .name:           _ZN9rocsparseL20bsrxmvn_17_32_kernelILj32E21rocsparse_complex_numIfElifS2_S2_EEvT2_20rocsparse_direction_NS_24const_host_device_scalarIT0_EES3_PKS3_PKT1_SC_S9_PKT3_PKT4_S7_PT5_21rocsparse_index_base_b
    .private_segment_fixed_size: 0
    .sgpr_count:     28
    .sgpr_spill_count: 0
    .symbol:         _ZN9rocsparseL20bsrxmvn_17_32_kernelILj32E21rocsparse_complex_numIfElifS2_S2_EEvT2_20rocsparse_direction_NS_24const_host_device_scalarIT0_EES3_PKS3_PKT1_SC_S9_PKT3_PKT4_S7_PT5_21rocsparse_index_base_b.kd
    .uniform_work_group_size: 1
    .uses_dynamic_stack: false
    .vgpr_count:     17
    .vgpr_spill_count: 0
    .wavefront_size: 64
  - .args:
      - .offset:         0
        .size:           8
        .value_kind:     by_value
      - .offset:         8
        .size:           4
        .value_kind:     by_value
      - .offset:         16
        .size:           8
        .value_kind:     by_value
      - .offset:         24
        .size:           8
        .value_kind:     by_value
      - .actual_access:  read_only
        .address_space:  global
        .offset:         32
        .size:           8
        .value_kind:     global_buffer
      - .actual_access:  read_only
        .address_space:  global
        .offset:         40
        .size:           8
        .value_kind:     global_buffer
      - .actual_access:  read_only
        .address_space:  global
        .offset:         48
        .size:           8
        .value_kind:     global_buffer
      - .actual_access:  read_only
        .address_space:  global
        .offset:         56
        .size:           8
        .value_kind:     global_buffer
      - .actual_access:  read_only
        .address_space:  global
        .offset:         64
        .size:           8
        .value_kind:     global_buffer
      - .actual_access:  read_only
        .address_space:  global
        .offset:         72
        .size:           8
        .value_kind:     global_buffer
      - .offset:         80
        .size:           8
        .value_kind:     by_value
      - .address_space:  global
        .offset:         88
        .size:           8
        .value_kind:     global_buffer
      - .offset:         96
        .size:           4
        .value_kind:     by_value
      - .offset:         100
        .size:           1
        .value_kind:     by_value
    .group_segment_fixed_size: 2312
    .kernarg_segment_align: 8
    .kernarg_segment_size: 104
    .language:       OpenCL C
    .language_version:
      - 2
      - 0
    .max_flat_workgroup_size: 289
    .name:           _ZN9rocsparseL20bsrxmvn_17_32_kernelILj17E21rocsparse_complex_numIfEllfS2_S2_EEvT2_20rocsparse_direction_NS_24const_host_device_scalarIT0_EES3_PKS3_PKT1_SC_S9_PKT3_PKT4_S7_PT5_21rocsparse_index_base_b
    .private_segment_fixed_size: 0
    .sgpr_count:     26
    .sgpr_spill_count: 0
    .symbol:         _ZN9rocsparseL20bsrxmvn_17_32_kernelILj17E21rocsparse_complex_numIfEllfS2_S2_EEvT2_20rocsparse_direction_NS_24const_host_device_scalarIT0_EES3_PKS3_PKT1_SC_S9_PKT3_PKT4_S7_PT5_21rocsparse_index_base_b.kd
    .uniform_work_group_size: 1
    .uses_dynamic_stack: false
    .vgpr_count:     18
    .vgpr_spill_count: 0
    .wavefront_size: 64
  - .args:
      - .offset:         0
        .size:           8
        .value_kind:     by_value
      - .offset:         8
        .size:           4
        .value_kind:     by_value
      - .offset:         16
        .size:           8
        .value_kind:     by_value
      - .offset:         24
        .size:           8
        .value_kind:     by_value
      - .actual_access:  read_only
        .address_space:  global
        .offset:         32
        .size:           8
        .value_kind:     global_buffer
      - .actual_access:  read_only
        .address_space:  global
        .offset:         40
        .size:           8
        .value_kind:     global_buffer
      - .actual_access:  read_only
        .address_space:  global
        .offset:         48
        .size:           8
        .value_kind:     global_buffer
      - .actual_access:  read_only
        .address_space:  global
        .offset:         56
        .size:           8
        .value_kind:     global_buffer
      - .actual_access:  read_only
        .address_space:  global
        .offset:         64
        .size:           8
        .value_kind:     global_buffer
      - .actual_access:  read_only
        .address_space:  global
        .offset:         72
        .size:           8
        .value_kind:     global_buffer
      - .offset:         80
        .size:           8
        .value_kind:     by_value
      - .address_space:  global
        .offset:         88
        .size:           8
        .value_kind:     global_buffer
      - .offset:         96
        .size:           4
        .value_kind:     by_value
      - .offset:         100
        .size:           1
        .value_kind:     by_value
    .group_segment_fixed_size: 2592
    .kernarg_segment_align: 8
    .kernarg_segment_size: 104
    .language:       OpenCL C
    .language_version:
      - 2
      - 0
    .max_flat_workgroup_size: 324
    .name:           _ZN9rocsparseL20bsrxmvn_17_32_kernelILj18E21rocsparse_complex_numIfEllfS2_S2_EEvT2_20rocsparse_direction_NS_24const_host_device_scalarIT0_EES3_PKS3_PKT1_SC_S9_PKT3_PKT4_S7_PT5_21rocsparse_index_base_b
    .private_segment_fixed_size: 0
    .sgpr_count:     26
    .sgpr_spill_count: 0
    .symbol:         _ZN9rocsparseL20bsrxmvn_17_32_kernelILj18E21rocsparse_complex_numIfEllfS2_S2_EEvT2_20rocsparse_direction_NS_24const_host_device_scalarIT0_EES3_PKS3_PKT1_SC_S9_PKT3_PKT4_S7_PT5_21rocsparse_index_base_b.kd
    .uniform_work_group_size: 1
    .uses_dynamic_stack: false
    .vgpr_count:     18
    .vgpr_spill_count: 0
    .wavefront_size: 64
  - .args:
      - .offset:         0
        .size:           8
        .value_kind:     by_value
      - .offset:         8
        .size:           4
        .value_kind:     by_value
      - .offset:         16
        .size:           8
        .value_kind:     by_value
      - .offset:         24
        .size:           8
        .value_kind:     by_value
      - .actual_access:  read_only
        .address_space:  global
        .offset:         32
        .size:           8
        .value_kind:     global_buffer
      - .actual_access:  read_only
        .address_space:  global
        .offset:         40
        .size:           8
        .value_kind:     global_buffer
      - .actual_access:  read_only
        .address_space:  global
        .offset:         48
        .size:           8
        .value_kind:     global_buffer
      - .actual_access:  read_only
        .address_space:  global
        .offset:         56
        .size:           8
        .value_kind:     global_buffer
      - .actual_access:  read_only
        .address_space:  global
        .offset:         64
        .size:           8
        .value_kind:     global_buffer
      - .actual_access:  read_only
        .address_space:  global
        .offset:         72
        .size:           8
        .value_kind:     global_buffer
      - .offset:         80
        .size:           8
        .value_kind:     by_value
      - .address_space:  global
        .offset:         88
        .size:           8
        .value_kind:     global_buffer
      - .offset:         96
        .size:           4
        .value_kind:     by_value
      - .offset:         100
        .size:           1
        .value_kind:     by_value
    .group_segment_fixed_size: 2888
    .kernarg_segment_align: 8
    .kernarg_segment_size: 104
    .language:       OpenCL C
    .language_version:
      - 2
      - 0
    .max_flat_workgroup_size: 361
    .name:           _ZN9rocsparseL20bsrxmvn_17_32_kernelILj19E21rocsparse_complex_numIfEllfS2_S2_EEvT2_20rocsparse_direction_NS_24const_host_device_scalarIT0_EES3_PKS3_PKT1_SC_S9_PKT3_PKT4_S7_PT5_21rocsparse_index_base_b
    .private_segment_fixed_size: 0
    .sgpr_count:     26
    .sgpr_spill_count: 0
    .symbol:         _ZN9rocsparseL20bsrxmvn_17_32_kernelILj19E21rocsparse_complex_numIfEllfS2_S2_EEvT2_20rocsparse_direction_NS_24const_host_device_scalarIT0_EES3_PKS3_PKT1_SC_S9_PKT3_PKT4_S7_PT5_21rocsparse_index_base_b.kd
    .uniform_work_group_size: 1
    .uses_dynamic_stack: false
    .vgpr_count:     20
    .vgpr_spill_count: 0
    .wavefront_size: 64
  - .args:
      - .offset:         0
        .size:           8
        .value_kind:     by_value
      - .offset:         8
        .size:           4
        .value_kind:     by_value
      - .offset:         16
        .size:           8
        .value_kind:     by_value
      - .offset:         24
        .size:           8
        .value_kind:     by_value
      - .actual_access:  read_only
        .address_space:  global
        .offset:         32
        .size:           8
        .value_kind:     global_buffer
      - .actual_access:  read_only
        .address_space:  global
        .offset:         40
        .size:           8
        .value_kind:     global_buffer
      - .actual_access:  read_only
        .address_space:  global
        .offset:         48
        .size:           8
        .value_kind:     global_buffer
      - .actual_access:  read_only
        .address_space:  global
        .offset:         56
        .size:           8
        .value_kind:     global_buffer
      - .actual_access:  read_only
        .address_space:  global
        .offset:         64
        .size:           8
        .value_kind:     global_buffer
      - .actual_access:  read_only
        .address_space:  global
        .offset:         72
        .size:           8
        .value_kind:     global_buffer
      - .offset:         80
        .size:           8
        .value_kind:     by_value
      - .address_space:  global
        .offset:         88
        .size:           8
        .value_kind:     global_buffer
      - .offset:         96
        .size:           4
        .value_kind:     by_value
      - .offset:         100
        .size:           1
        .value_kind:     by_value
    .group_segment_fixed_size: 3200
    .kernarg_segment_align: 8
    .kernarg_segment_size: 104
    .language:       OpenCL C
    .language_version:
      - 2
      - 0
    .max_flat_workgroup_size: 400
    .name:           _ZN9rocsparseL20bsrxmvn_17_32_kernelILj20E21rocsparse_complex_numIfEllfS2_S2_EEvT2_20rocsparse_direction_NS_24const_host_device_scalarIT0_EES3_PKS3_PKT1_SC_S9_PKT3_PKT4_S7_PT5_21rocsparse_index_base_b
    .private_segment_fixed_size: 0
    .sgpr_count:     26
    .sgpr_spill_count: 0
    .symbol:         _ZN9rocsparseL20bsrxmvn_17_32_kernelILj20E21rocsparse_complex_numIfEllfS2_S2_EEvT2_20rocsparse_direction_NS_24const_host_device_scalarIT0_EES3_PKS3_PKT1_SC_S9_PKT3_PKT4_S7_PT5_21rocsparse_index_base_b.kd
    .uniform_work_group_size: 1
    .uses_dynamic_stack: false
    .vgpr_count:     20
    .vgpr_spill_count: 0
    .wavefront_size: 64
  - .args:
      - .offset:         0
        .size:           8
        .value_kind:     by_value
      - .offset:         8
        .size:           4
        .value_kind:     by_value
      - .offset:         16
        .size:           8
        .value_kind:     by_value
      - .offset:         24
        .size:           8
        .value_kind:     by_value
      - .actual_access:  read_only
        .address_space:  global
        .offset:         32
        .size:           8
        .value_kind:     global_buffer
      - .actual_access:  read_only
        .address_space:  global
        .offset:         40
        .size:           8
        .value_kind:     global_buffer
      - .actual_access:  read_only
        .address_space:  global
        .offset:         48
        .size:           8
        .value_kind:     global_buffer
      - .actual_access:  read_only
        .address_space:  global
        .offset:         56
        .size:           8
        .value_kind:     global_buffer
      - .actual_access:  read_only
        .address_space:  global
        .offset:         64
        .size:           8
        .value_kind:     global_buffer
      - .actual_access:  read_only
        .address_space:  global
        .offset:         72
        .size:           8
        .value_kind:     global_buffer
      - .offset:         80
        .size:           8
        .value_kind:     by_value
      - .address_space:  global
        .offset:         88
        .size:           8
        .value_kind:     global_buffer
      - .offset:         96
        .size:           4
        .value_kind:     by_value
      - .offset:         100
        .size:           1
        .value_kind:     by_value
    .group_segment_fixed_size: 3528
    .kernarg_segment_align: 8
    .kernarg_segment_size: 104
    .language:       OpenCL C
    .language_version:
      - 2
      - 0
    .max_flat_workgroup_size: 441
    .name:           _ZN9rocsparseL20bsrxmvn_17_32_kernelILj21E21rocsparse_complex_numIfEllfS2_S2_EEvT2_20rocsparse_direction_NS_24const_host_device_scalarIT0_EES3_PKS3_PKT1_SC_S9_PKT3_PKT4_S7_PT5_21rocsparse_index_base_b
    .private_segment_fixed_size: 0
    .sgpr_count:     26
    .sgpr_spill_count: 0
    .symbol:         _ZN9rocsparseL20bsrxmvn_17_32_kernelILj21E21rocsparse_complex_numIfEllfS2_S2_EEvT2_20rocsparse_direction_NS_24const_host_device_scalarIT0_EES3_PKS3_PKT1_SC_S9_PKT3_PKT4_S7_PT5_21rocsparse_index_base_b.kd
    .uniform_work_group_size: 1
    .uses_dynamic_stack: false
    .vgpr_count:     20
    .vgpr_spill_count: 0
    .wavefront_size: 64
  - .args:
      - .offset:         0
        .size:           8
        .value_kind:     by_value
      - .offset:         8
        .size:           4
        .value_kind:     by_value
      - .offset:         16
        .size:           8
        .value_kind:     by_value
      - .offset:         24
        .size:           8
        .value_kind:     by_value
      - .actual_access:  read_only
        .address_space:  global
        .offset:         32
        .size:           8
        .value_kind:     global_buffer
      - .actual_access:  read_only
        .address_space:  global
        .offset:         40
        .size:           8
        .value_kind:     global_buffer
      - .actual_access:  read_only
        .address_space:  global
        .offset:         48
        .size:           8
        .value_kind:     global_buffer
      - .actual_access:  read_only
        .address_space:  global
        .offset:         56
        .size:           8
        .value_kind:     global_buffer
      - .actual_access:  read_only
        .address_space:  global
        .offset:         64
        .size:           8
        .value_kind:     global_buffer
      - .actual_access:  read_only
        .address_space:  global
        .offset:         72
        .size:           8
        .value_kind:     global_buffer
      - .offset:         80
        .size:           8
        .value_kind:     by_value
      - .address_space:  global
        .offset:         88
        .size:           8
        .value_kind:     global_buffer
      - .offset:         96
        .size:           4
        .value_kind:     by_value
      - .offset:         100
        .size:           1
        .value_kind:     by_value
    .group_segment_fixed_size: 3872
    .kernarg_segment_align: 8
    .kernarg_segment_size: 104
    .language:       OpenCL C
    .language_version:
      - 2
      - 0
    .max_flat_workgroup_size: 484
    .name:           _ZN9rocsparseL20bsrxmvn_17_32_kernelILj22E21rocsparse_complex_numIfEllfS2_S2_EEvT2_20rocsparse_direction_NS_24const_host_device_scalarIT0_EES3_PKS3_PKT1_SC_S9_PKT3_PKT4_S7_PT5_21rocsparse_index_base_b
    .private_segment_fixed_size: 0
    .sgpr_count:     26
    .sgpr_spill_count: 0
    .symbol:         _ZN9rocsparseL20bsrxmvn_17_32_kernelILj22E21rocsparse_complex_numIfEllfS2_S2_EEvT2_20rocsparse_direction_NS_24const_host_device_scalarIT0_EES3_PKS3_PKT1_SC_S9_PKT3_PKT4_S7_PT5_21rocsparse_index_base_b.kd
    .uniform_work_group_size: 1
    .uses_dynamic_stack: false
    .vgpr_count:     20
    .vgpr_spill_count: 0
    .wavefront_size: 64
  - .args:
      - .offset:         0
        .size:           8
        .value_kind:     by_value
      - .offset:         8
        .size:           4
        .value_kind:     by_value
      - .offset:         16
        .size:           8
        .value_kind:     by_value
      - .offset:         24
        .size:           8
        .value_kind:     by_value
      - .actual_access:  read_only
        .address_space:  global
        .offset:         32
        .size:           8
        .value_kind:     global_buffer
      - .actual_access:  read_only
        .address_space:  global
        .offset:         40
        .size:           8
        .value_kind:     global_buffer
      - .actual_access:  read_only
        .address_space:  global
        .offset:         48
        .size:           8
        .value_kind:     global_buffer
      - .actual_access:  read_only
        .address_space:  global
        .offset:         56
        .size:           8
        .value_kind:     global_buffer
      - .actual_access:  read_only
        .address_space:  global
        .offset:         64
        .size:           8
        .value_kind:     global_buffer
      - .actual_access:  read_only
        .address_space:  global
        .offset:         72
        .size:           8
        .value_kind:     global_buffer
      - .offset:         80
        .size:           8
        .value_kind:     by_value
      - .address_space:  global
        .offset:         88
        .size:           8
        .value_kind:     global_buffer
      - .offset:         96
        .size:           4
        .value_kind:     by_value
      - .offset:         100
        .size:           1
        .value_kind:     by_value
    .group_segment_fixed_size: 4232
    .kernarg_segment_align: 8
    .kernarg_segment_size: 104
    .language:       OpenCL C
    .language_version:
      - 2
      - 0
    .max_flat_workgroup_size: 529
    .name:           _ZN9rocsparseL20bsrxmvn_17_32_kernelILj23E21rocsparse_complex_numIfEllfS2_S2_EEvT2_20rocsparse_direction_NS_24const_host_device_scalarIT0_EES3_PKS3_PKT1_SC_S9_PKT3_PKT4_S7_PT5_21rocsparse_index_base_b
    .private_segment_fixed_size: 0
    .sgpr_count:     26
    .sgpr_spill_count: 0
    .symbol:         _ZN9rocsparseL20bsrxmvn_17_32_kernelILj23E21rocsparse_complex_numIfEllfS2_S2_EEvT2_20rocsparse_direction_NS_24const_host_device_scalarIT0_EES3_PKS3_PKT1_SC_S9_PKT3_PKT4_S7_PT5_21rocsparse_index_base_b.kd
    .uniform_work_group_size: 1
    .uses_dynamic_stack: false
    .vgpr_count:     20
    .vgpr_spill_count: 0
    .wavefront_size: 64
  - .args:
      - .offset:         0
        .size:           8
        .value_kind:     by_value
      - .offset:         8
        .size:           4
        .value_kind:     by_value
      - .offset:         16
        .size:           8
        .value_kind:     by_value
      - .offset:         24
        .size:           8
        .value_kind:     by_value
      - .actual_access:  read_only
        .address_space:  global
        .offset:         32
        .size:           8
        .value_kind:     global_buffer
      - .actual_access:  read_only
        .address_space:  global
        .offset:         40
        .size:           8
        .value_kind:     global_buffer
      - .actual_access:  read_only
        .address_space:  global
        .offset:         48
        .size:           8
        .value_kind:     global_buffer
      - .actual_access:  read_only
        .address_space:  global
        .offset:         56
        .size:           8
        .value_kind:     global_buffer
      - .actual_access:  read_only
        .address_space:  global
        .offset:         64
        .size:           8
        .value_kind:     global_buffer
      - .actual_access:  read_only
        .address_space:  global
        .offset:         72
        .size:           8
        .value_kind:     global_buffer
      - .offset:         80
        .size:           8
        .value_kind:     by_value
      - .address_space:  global
        .offset:         88
        .size:           8
        .value_kind:     global_buffer
      - .offset:         96
        .size:           4
        .value_kind:     by_value
      - .offset:         100
        .size:           1
        .value_kind:     by_value
    .group_segment_fixed_size: 4608
    .kernarg_segment_align: 8
    .kernarg_segment_size: 104
    .language:       OpenCL C
    .language_version:
      - 2
      - 0
    .max_flat_workgroup_size: 576
    .name:           _ZN9rocsparseL20bsrxmvn_17_32_kernelILj24E21rocsparse_complex_numIfEllfS2_S2_EEvT2_20rocsparse_direction_NS_24const_host_device_scalarIT0_EES3_PKS3_PKT1_SC_S9_PKT3_PKT4_S7_PT5_21rocsparse_index_base_b
    .private_segment_fixed_size: 0
    .sgpr_count:     26
    .sgpr_spill_count: 0
    .symbol:         _ZN9rocsparseL20bsrxmvn_17_32_kernelILj24E21rocsparse_complex_numIfEllfS2_S2_EEvT2_20rocsparse_direction_NS_24const_host_device_scalarIT0_EES3_PKS3_PKT1_SC_S9_PKT3_PKT4_S7_PT5_21rocsparse_index_base_b.kd
    .uniform_work_group_size: 1
    .uses_dynamic_stack: false
    .vgpr_count:     20
    .vgpr_spill_count: 0
    .wavefront_size: 64
  - .args:
      - .offset:         0
        .size:           8
        .value_kind:     by_value
      - .offset:         8
        .size:           4
        .value_kind:     by_value
      - .offset:         16
        .size:           8
        .value_kind:     by_value
      - .offset:         24
        .size:           8
        .value_kind:     by_value
      - .actual_access:  read_only
        .address_space:  global
        .offset:         32
        .size:           8
        .value_kind:     global_buffer
      - .actual_access:  read_only
        .address_space:  global
        .offset:         40
        .size:           8
        .value_kind:     global_buffer
      - .actual_access:  read_only
        .address_space:  global
        .offset:         48
        .size:           8
        .value_kind:     global_buffer
      - .actual_access:  read_only
        .address_space:  global
        .offset:         56
        .size:           8
        .value_kind:     global_buffer
      - .actual_access:  read_only
        .address_space:  global
        .offset:         64
        .size:           8
        .value_kind:     global_buffer
      - .actual_access:  read_only
        .address_space:  global
        .offset:         72
        .size:           8
        .value_kind:     global_buffer
      - .offset:         80
        .size:           8
        .value_kind:     by_value
      - .address_space:  global
        .offset:         88
        .size:           8
        .value_kind:     global_buffer
      - .offset:         96
        .size:           4
        .value_kind:     by_value
      - .offset:         100
        .size:           1
        .value_kind:     by_value
    .group_segment_fixed_size: 5000
    .kernarg_segment_align: 8
    .kernarg_segment_size: 104
    .language:       OpenCL C
    .language_version:
      - 2
      - 0
    .max_flat_workgroup_size: 625
    .name:           _ZN9rocsparseL20bsrxmvn_17_32_kernelILj25E21rocsparse_complex_numIfEllfS2_S2_EEvT2_20rocsparse_direction_NS_24const_host_device_scalarIT0_EES3_PKS3_PKT1_SC_S9_PKT3_PKT4_S7_PT5_21rocsparse_index_base_b
    .private_segment_fixed_size: 0
    .sgpr_count:     26
    .sgpr_spill_count: 0
    .symbol:         _ZN9rocsparseL20bsrxmvn_17_32_kernelILj25E21rocsparse_complex_numIfEllfS2_S2_EEvT2_20rocsparse_direction_NS_24const_host_device_scalarIT0_EES3_PKS3_PKT1_SC_S9_PKT3_PKT4_S7_PT5_21rocsparse_index_base_b.kd
    .uniform_work_group_size: 1
    .uses_dynamic_stack: false
    .vgpr_count:     20
    .vgpr_spill_count: 0
    .wavefront_size: 64
  - .args:
      - .offset:         0
        .size:           8
        .value_kind:     by_value
      - .offset:         8
        .size:           4
        .value_kind:     by_value
      - .offset:         16
        .size:           8
        .value_kind:     by_value
      - .offset:         24
        .size:           8
        .value_kind:     by_value
      - .actual_access:  read_only
        .address_space:  global
        .offset:         32
        .size:           8
        .value_kind:     global_buffer
      - .actual_access:  read_only
        .address_space:  global
        .offset:         40
        .size:           8
        .value_kind:     global_buffer
      - .actual_access:  read_only
        .address_space:  global
        .offset:         48
        .size:           8
        .value_kind:     global_buffer
      - .actual_access:  read_only
        .address_space:  global
        .offset:         56
        .size:           8
        .value_kind:     global_buffer
      - .actual_access:  read_only
        .address_space:  global
        .offset:         64
        .size:           8
        .value_kind:     global_buffer
      - .actual_access:  read_only
        .address_space:  global
        .offset:         72
        .size:           8
        .value_kind:     global_buffer
      - .offset:         80
        .size:           8
        .value_kind:     by_value
      - .address_space:  global
        .offset:         88
        .size:           8
        .value_kind:     global_buffer
      - .offset:         96
        .size:           4
        .value_kind:     by_value
      - .offset:         100
        .size:           1
        .value_kind:     by_value
    .group_segment_fixed_size: 5408
    .kernarg_segment_align: 8
    .kernarg_segment_size: 104
    .language:       OpenCL C
    .language_version:
      - 2
      - 0
    .max_flat_workgroup_size: 676
    .name:           _ZN9rocsparseL20bsrxmvn_17_32_kernelILj26E21rocsparse_complex_numIfEllfS2_S2_EEvT2_20rocsparse_direction_NS_24const_host_device_scalarIT0_EES3_PKS3_PKT1_SC_S9_PKT3_PKT4_S7_PT5_21rocsparse_index_base_b
    .private_segment_fixed_size: 0
    .sgpr_count:     26
    .sgpr_spill_count: 0
    .symbol:         _ZN9rocsparseL20bsrxmvn_17_32_kernelILj26E21rocsparse_complex_numIfEllfS2_S2_EEvT2_20rocsparse_direction_NS_24const_host_device_scalarIT0_EES3_PKS3_PKT1_SC_S9_PKT3_PKT4_S7_PT5_21rocsparse_index_base_b.kd
    .uniform_work_group_size: 1
    .uses_dynamic_stack: false
    .vgpr_count:     20
    .vgpr_spill_count: 0
    .wavefront_size: 64
  - .args:
      - .offset:         0
        .size:           8
        .value_kind:     by_value
      - .offset:         8
        .size:           4
        .value_kind:     by_value
      - .offset:         16
        .size:           8
        .value_kind:     by_value
      - .offset:         24
        .size:           8
        .value_kind:     by_value
      - .actual_access:  read_only
        .address_space:  global
        .offset:         32
        .size:           8
        .value_kind:     global_buffer
      - .actual_access:  read_only
        .address_space:  global
        .offset:         40
        .size:           8
        .value_kind:     global_buffer
      - .actual_access:  read_only
        .address_space:  global
        .offset:         48
        .size:           8
        .value_kind:     global_buffer
      - .actual_access:  read_only
        .address_space:  global
        .offset:         56
        .size:           8
        .value_kind:     global_buffer
      - .actual_access:  read_only
        .address_space:  global
        .offset:         64
        .size:           8
        .value_kind:     global_buffer
      - .actual_access:  read_only
        .address_space:  global
        .offset:         72
        .size:           8
        .value_kind:     global_buffer
      - .offset:         80
        .size:           8
        .value_kind:     by_value
      - .address_space:  global
        .offset:         88
        .size:           8
        .value_kind:     global_buffer
      - .offset:         96
        .size:           4
        .value_kind:     by_value
      - .offset:         100
        .size:           1
        .value_kind:     by_value
    .group_segment_fixed_size: 5832
    .kernarg_segment_align: 8
    .kernarg_segment_size: 104
    .language:       OpenCL C
    .language_version:
      - 2
      - 0
    .max_flat_workgroup_size: 729
    .name:           _ZN9rocsparseL20bsrxmvn_17_32_kernelILj27E21rocsparse_complex_numIfEllfS2_S2_EEvT2_20rocsparse_direction_NS_24const_host_device_scalarIT0_EES3_PKS3_PKT1_SC_S9_PKT3_PKT4_S7_PT5_21rocsparse_index_base_b
    .private_segment_fixed_size: 0
    .sgpr_count:     26
    .sgpr_spill_count: 0
    .symbol:         _ZN9rocsparseL20bsrxmvn_17_32_kernelILj27E21rocsparse_complex_numIfEllfS2_S2_EEvT2_20rocsparse_direction_NS_24const_host_device_scalarIT0_EES3_PKS3_PKT1_SC_S9_PKT3_PKT4_S7_PT5_21rocsparse_index_base_b.kd
    .uniform_work_group_size: 1
    .uses_dynamic_stack: false
    .vgpr_count:     20
    .vgpr_spill_count: 0
    .wavefront_size: 64
  - .args:
      - .offset:         0
        .size:           8
        .value_kind:     by_value
      - .offset:         8
        .size:           4
        .value_kind:     by_value
      - .offset:         16
        .size:           8
        .value_kind:     by_value
      - .offset:         24
        .size:           8
        .value_kind:     by_value
      - .actual_access:  read_only
        .address_space:  global
        .offset:         32
        .size:           8
        .value_kind:     global_buffer
      - .actual_access:  read_only
        .address_space:  global
        .offset:         40
        .size:           8
        .value_kind:     global_buffer
      - .actual_access:  read_only
        .address_space:  global
        .offset:         48
        .size:           8
        .value_kind:     global_buffer
      - .actual_access:  read_only
        .address_space:  global
        .offset:         56
        .size:           8
        .value_kind:     global_buffer
      - .actual_access:  read_only
        .address_space:  global
        .offset:         64
        .size:           8
        .value_kind:     global_buffer
      - .actual_access:  read_only
        .address_space:  global
        .offset:         72
        .size:           8
        .value_kind:     global_buffer
      - .offset:         80
        .size:           8
        .value_kind:     by_value
      - .address_space:  global
        .offset:         88
        .size:           8
        .value_kind:     global_buffer
      - .offset:         96
        .size:           4
        .value_kind:     by_value
      - .offset:         100
        .size:           1
        .value_kind:     by_value
    .group_segment_fixed_size: 6272
    .kernarg_segment_align: 8
    .kernarg_segment_size: 104
    .language:       OpenCL C
    .language_version:
      - 2
      - 0
    .max_flat_workgroup_size: 784
    .name:           _ZN9rocsparseL20bsrxmvn_17_32_kernelILj28E21rocsparse_complex_numIfEllfS2_S2_EEvT2_20rocsparse_direction_NS_24const_host_device_scalarIT0_EES3_PKS3_PKT1_SC_S9_PKT3_PKT4_S7_PT5_21rocsparse_index_base_b
    .private_segment_fixed_size: 0
    .sgpr_count:     26
    .sgpr_spill_count: 0
    .symbol:         _ZN9rocsparseL20bsrxmvn_17_32_kernelILj28E21rocsparse_complex_numIfEllfS2_S2_EEvT2_20rocsparse_direction_NS_24const_host_device_scalarIT0_EES3_PKS3_PKT1_SC_S9_PKT3_PKT4_S7_PT5_21rocsparse_index_base_b.kd
    .uniform_work_group_size: 1
    .uses_dynamic_stack: false
    .vgpr_count:     20
    .vgpr_spill_count: 0
    .wavefront_size: 64
  - .args:
      - .offset:         0
        .size:           8
        .value_kind:     by_value
      - .offset:         8
        .size:           4
        .value_kind:     by_value
      - .offset:         16
        .size:           8
        .value_kind:     by_value
      - .offset:         24
        .size:           8
        .value_kind:     by_value
      - .actual_access:  read_only
        .address_space:  global
        .offset:         32
        .size:           8
        .value_kind:     global_buffer
      - .actual_access:  read_only
        .address_space:  global
        .offset:         40
        .size:           8
        .value_kind:     global_buffer
      - .actual_access:  read_only
        .address_space:  global
        .offset:         48
        .size:           8
        .value_kind:     global_buffer
      - .actual_access:  read_only
        .address_space:  global
        .offset:         56
        .size:           8
        .value_kind:     global_buffer
      - .actual_access:  read_only
        .address_space:  global
        .offset:         64
        .size:           8
        .value_kind:     global_buffer
      - .actual_access:  read_only
        .address_space:  global
        .offset:         72
        .size:           8
        .value_kind:     global_buffer
      - .offset:         80
        .size:           8
        .value_kind:     by_value
      - .address_space:  global
        .offset:         88
        .size:           8
        .value_kind:     global_buffer
      - .offset:         96
        .size:           4
        .value_kind:     by_value
      - .offset:         100
        .size:           1
        .value_kind:     by_value
    .group_segment_fixed_size: 6728
    .kernarg_segment_align: 8
    .kernarg_segment_size: 104
    .language:       OpenCL C
    .language_version:
      - 2
      - 0
    .max_flat_workgroup_size: 841
    .name:           _ZN9rocsparseL20bsrxmvn_17_32_kernelILj29E21rocsparse_complex_numIfEllfS2_S2_EEvT2_20rocsparse_direction_NS_24const_host_device_scalarIT0_EES3_PKS3_PKT1_SC_S9_PKT3_PKT4_S7_PT5_21rocsparse_index_base_b
    .private_segment_fixed_size: 0
    .sgpr_count:     26
    .sgpr_spill_count: 0
    .symbol:         _ZN9rocsparseL20bsrxmvn_17_32_kernelILj29E21rocsparse_complex_numIfEllfS2_S2_EEvT2_20rocsparse_direction_NS_24const_host_device_scalarIT0_EES3_PKS3_PKT1_SC_S9_PKT3_PKT4_S7_PT5_21rocsparse_index_base_b.kd
    .uniform_work_group_size: 1
    .uses_dynamic_stack: false
    .vgpr_count:     20
    .vgpr_spill_count: 0
    .wavefront_size: 64
  - .args:
      - .offset:         0
        .size:           8
        .value_kind:     by_value
      - .offset:         8
        .size:           4
        .value_kind:     by_value
      - .offset:         16
        .size:           8
        .value_kind:     by_value
      - .offset:         24
        .size:           8
        .value_kind:     by_value
      - .actual_access:  read_only
        .address_space:  global
        .offset:         32
        .size:           8
        .value_kind:     global_buffer
      - .actual_access:  read_only
        .address_space:  global
        .offset:         40
        .size:           8
        .value_kind:     global_buffer
      - .actual_access:  read_only
        .address_space:  global
        .offset:         48
        .size:           8
        .value_kind:     global_buffer
      - .actual_access:  read_only
        .address_space:  global
        .offset:         56
        .size:           8
        .value_kind:     global_buffer
      - .actual_access:  read_only
        .address_space:  global
        .offset:         64
        .size:           8
        .value_kind:     global_buffer
      - .actual_access:  read_only
        .address_space:  global
        .offset:         72
        .size:           8
        .value_kind:     global_buffer
      - .offset:         80
        .size:           8
        .value_kind:     by_value
      - .address_space:  global
        .offset:         88
        .size:           8
        .value_kind:     global_buffer
      - .offset:         96
        .size:           4
        .value_kind:     by_value
      - .offset:         100
        .size:           1
        .value_kind:     by_value
    .group_segment_fixed_size: 7200
    .kernarg_segment_align: 8
    .kernarg_segment_size: 104
    .language:       OpenCL C
    .language_version:
      - 2
      - 0
    .max_flat_workgroup_size: 900
    .name:           _ZN9rocsparseL20bsrxmvn_17_32_kernelILj30E21rocsparse_complex_numIfEllfS2_S2_EEvT2_20rocsparse_direction_NS_24const_host_device_scalarIT0_EES3_PKS3_PKT1_SC_S9_PKT3_PKT4_S7_PT5_21rocsparse_index_base_b
    .private_segment_fixed_size: 0
    .sgpr_count:     26
    .sgpr_spill_count: 0
    .symbol:         _ZN9rocsparseL20bsrxmvn_17_32_kernelILj30E21rocsparse_complex_numIfEllfS2_S2_EEvT2_20rocsparse_direction_NS_24const_host_device_scalarIT0_EES3_PKS3_PKT1_SC_S9_PKT3_PKT4_S7_PT5_21rocsparse_index_base_b.kd
    .uniform_work_group_size: 1
    .uses_dynamic_stack: false
    .vgpr_count:     20
    .vgpr_spill_count: 0
    .wavefront_size: 64
  - .args:
      - .offset:         0
        .size:           8
        .value_kind:     by_value
      - .offset:         8
        .size:           4
        .value_kind:     by_value
      - .offset:         16
        .size:           8
        .value_kind:     by_value
      - .offset:         24
        .size:           8
        .value_kind:     by_value
      - .actual_access:  read_only
        .address_space:  global
        .offset:         32
        .size:           8
        .value_kind:     global_buffer
      - .actual_access:  read_only
        .address_space:  global
        .offset:         40
        .size:           8
        .value_kind:     global_buffer
      - .actual_access:  read_only
        .address_space:  global
        .offset:         48
        .size:           8
        .value_kind:     global_buffer
      - .actual_access:  read_only
        .address_space:  global
        .offset:         56
        .size:           8
        .value_kind:     global_buffer
      - .actual_access:  read_only
        .address_space:  global
        .offset:         64
        .size:           8
        .value_kind:     global_buffer
      - .actual_access:  read_only
        .address_space:  global
        .offset:         72
        .size:           8
        .value_kind:     global_buffer
      - .offset:         80
        .size:           8
        .value_kind:     by_value
      - .address_space:  global
        .offset:         88
        .size:           8
        .value_kind:     global_buffer
      - .offset:         96
        .size:           4
        .value_kind:     by_value
      - .offset:         100
        .size:           1
        .value_kind:     by_value
    .group_segment_fixed_size: 7688
    .kernarg_segment_align: 8
    .kernarg_segment_size: 104
    .language:       OpenCL C
    .language_version:
      - 2
      - 0
    .max_flat_workgroup_size: 961
    .name:           _ZN9rocsparseL20bsrxmvn_17_32_kernelILj31E21rocsparse_complex_numIfEllfS2_S2_EEvT2_20rocsparse_direction_NS_24const_host_device_scalarIT0_EES3_PKS3_PKT1_SC_S9_PKT3_PKT4_S7_PT5_21rocsparse_index_base_b
    .private_segment_fixed_size: 0
    .sgpr_count:     26
    .sgpr_spill_count: 0
    .symbol:         _ZN9rocsparseL20bsrxmvn_17_32_kernelILj31E21rocsparse_complex_numIfEllfS2_S2_EEvT2_20rocsparse_direction_NS_24const_host_device_scalarIT0_EES3_PKS3_PKT1_SC_S9_PKT3_PKT4_S7_PT5_21rocsparse_index_base_b.kd
    .uniform_work_group_size: 1
    .uses_dynamic_stack: false
    .vgpr_count:     20
    .vgpr_spill_count: 0
    .wavefront_size: 64
  - .args:
      - .offset:         0
        .size:           8
        .value_kind:     by_value
      - .offset:         8
        .size:           4
        .value_kind:     by_value
      - .offset:         16
        .size:           8
        .value_kind:     by_value
      - .offset:         24
        .size:           8
        .value_kind:     by_value
      - .actual_access:  read_only
        .address_space:  global
        .offset:         32
        .size:           8
        .value_kind:     global_buffer
      - .actual_access:  read_only
        .address_space:  global
        .offset:         40
        .size:           8
        .value_kind:     global_buffer
      - .actual_access:  read_only
        .address_space:  global
        .offset:         48
        .size:           8
        .value_kind:     global_buffer
      - .actual_access:  read_only
        .address_space:  global
        .offset:         56
        .size:           8
        .value_kind:     global_buffer
      - .actual_access:  read_only
        .address_space:  global
        .offset:         64
        .size:           8
        .value_kind:     global_buffer
      - .actual_access:  read_only
        .address_space:  global
        .offset:         72
        .size:           8
        .value_kind:     global_buffer
      - .offset:         80
        .size:           8
        .value_kind:     by_value
      - .address_space:  global
        .offset:         88
        .size:           8
        .value_kind:     global_buffer
      - .offset:         96
        .size:           4
        .value_kind:     by_value
      - .offset:         100
        .size:           1
        .value_kind:     by_value
    .group_segment_fixed_size: 8192
    .kernarg_segment_align: 8
    .kernarg_segment_size: 104
    .language:       OpenCL C
    .language_version:
      - 2
      - 0
    .max_flat_workgroup_size: 1024
    .name:           _ZN9rocsparseL20bsrxmvn_17_32_kernelILj32E21rocsparse_complex_numIfEllfS2_S2_EEvT2_20rocsparse_direction_NS_24const_host_device_scalarIT0_EES3_PKS3_PKT1_SC_S9_PKT3_PKT4_S7_PT5_21rocsparse_index_base_b
    .private_segment_fixed_size: 0
    .sgpr_count:     26
    .sgpr_spill_count: 0
    .symbol:         _ZN9rocsparseL20bsrxmvn_17_32_kernelILj32E21rocsparse_complex_numIfEllfS2_S2_EEvT2_20rocsparse_direction_NS_24const_host_device_scalarIT0_EES3_PKS3_PKT1_SC_S9_PKT3_PKT4_S7_PT5_21rocsparse_index_base_b.kd
    .uniform_work_group_size: 1
    .uses_dynamic_stack: false
    .vgpr_count:     17
    .vgpr_spill_count: 0
    .wavefront_size: 64
  - .args:
      - .offset:         0
        .size:           4
        .value_kind:     by_value
      - .offset:         4
        .size:           4
        .value_kind:     by_value
      - .offset:         8
        .size:           16
        .value_kind:     by_value
      - .offset:         24
        .size:           4
        .value_kind:     by_value
      - .actual_access:  read_only
        .address_space:  global
        .offset:         32
        .size:           8
        .value_kind:     global_buffer
      - .actual_access:  read_only
        .address_space:  global
        .offset:         40
        .size:           8
        .value_kind:     global_buffer
      - .actual_access:  read_only
        .address_space:  global
        .offset:         48
        .size:           8
        .value_kind:     global_buffer
      - .actual_access:  read_only
        .address_space:  global
        .offset:         56
        .size:           8
        .value_kind:     global_buffer
      - .actual_access:  read_only
        .address_space:  global
        .offset:         64
        .size:           8
        .value_kind:     global_buffer
      - .actual_access:  read_only
        .address_space:  global
        .offset:         72
        .size:           8
        .value_kind:     global_buffer
      - .offset:         80
        .size:           16
        .value_kind:     by_value
      - .address_space:  global
        .offset:         96
        .size:           8
        .value_kind:     global_buffer
      - .offset:         104
        .size:           4
        .value_kind:     by_value
      - .offset:         108
        .size:           1
        .value_kind:     by_value
    .group_segment_fixed_size: 4624
    .kernarg_segment_align: 8
    .kernarg_segment_size: 112
    .language:       OpenCL C
    .language_version:
      - 2
      - 0
    .max_flat_workgroup_size: 289
    .name:           _ZN9rocsparseL20bsrxmvn_17_32_kernelILj17E21rocsparse_complex_numIdEiidS2_S2_EEvT2_20rocsparse_direction_NS_24const_host_device_scalarIT0_EES3_PKS3_PKT1_SC_S9_PKT3_PKT4_S7_PT5_21rocsparse_index_base_b
    .private_segment_fixed_size: 0
    .sgpr_count:     22
    .sgpr_spill_count: 0
    .symbol:         _ZN9rocsparseL20bsrxmvn_17_32_kernelILj17E21rocsparse_complex_numIdEiidS2_S2_EEvT2_20rocsparse_direction_NS_24const_host_device_scalarIT0_EES3_PKS3_PKT1_SC_S9_PKT3_PKT4_S7_PT5_21rocsparse_index_base_b.kd
    .uniform_work_group_size: 1
    .uses_dynamic_stack: false
    .vgpr_count:     26
    .vgpr_spill_count: 0
    .wavefront_size: 64
  - .args:
      - .offset:         0
        .size:           4
        .value_kind:     by_value
      - .offset:         4
        .size:           4
        .value_kind:     by_value
      - .offset:         8
        .size:           16
        .value_kind:     by_value
      - .offset:         24
        .size:           4
        .value_kind:     by_value
      - .actual_access:  read_only
        .address_space:  global
        .offset:         32
        .size:           8
        .value_kind:     global_buffer
      - .actual_access:  read_only
        .address_space:  global
        .offset:         40
        .size:           8
        .value_kind:     global_buffer
      - .actual_access:  read_only
        .address_space:  global
        .offset:         48
        .size:           8
        .value_kind:     global_buffer
      - .actual_access:  read_only
        .address_space:  global
        .offset:         56
        .size:           8
        .value_kind:     global_buffer
      - .actual_access:  read_only
        .address_space:  global
        .offset:         64
        .size:           8
        .value_kind:     global_buffer
      - .actual_access:  read_only
        .address_space:  global
        .offset:         72
        .size:           8
        .value_kind:     global_buffer
      - .offset:         80
        .size:           16
        .value_kind:     by_value
      - .address_space:  global
        .offset:         96
        .size:           8
        .value_kind:     global_buffer
      - .offset:         104
        .size:           4
        .value_kind:     by_value
      - .offset:         108
        .size:           1
        .value_kind:     by_value
    .group_segment_fixed_size: 5184
    .kernarg_segment_align: 8
    .kernarg_segment_size: 112
    .language:       OpenCL C
    .language_version:
      - 2
      - 0
    .max_flat_workgroup_size: 324
    .name:           _ZN9rocsparseL20bsrxmvn_17_32_kernelILj18E21rocsparse_complex_numIdEiidS2_S2_EEvT2_20rocsparse_direction_NS_24const_host_device_scalarIT0_EES3_PKS3_PKT1_SC_S9_PKT3_PKT4_S7_PT5_21rocsparse_index_base_b
    .private_segment_fixed_size: 0
    .sgpr_count:     22
    .sgpr_spill_count: 0
    .symbol:         _ZN9rocsparseL20bsrxmvn_17_32_kernelILj18E21rocsparse_complex_numIdEiidS2_S2_EEvT2_20rocsparse_direction_NS_24const_host_device_scalarIT0_EES3_PKS3_PKT1_SC_S9_PKT3_PKT4_S7_PT5_21rocsparse_index_base_b.kd
    .uniform_work_group_size: 1
    .uses_dynamic_stack: false
    .vgpr_count:     26
    .vgpr_spill_count: 0
    .wavefront_size: 64
  - .args:
      - .offset:         0
        .size:           4
        .value_kind:     by_value
      - .offset:         4
        .size:           4
        .value_kind:     by_value
      - .offset:         8
        .size:           16
        .value_kind:     by_value
      - .offset:         24
        .size:           4
        .value_kind:     by_value
      - .actual_access:  read_only
        .address_space:  global
        .offset:         32
        .size:           8
        .value_kind:     global_buffer
      - .actual_access:  read_only
        .address_space:  global
        .offset:         40
        .size:           8
        .value_kind:     global_buffer
      - .actual_access:  read_only
        .address_space:  global
        .offset:         48
        .size:           8
        .value_kind:     global_buffer
      - .actual_access:  read_only
        .address_space:  global
        .offset:         56
        .size:           8
        .value_kind:     global_buffer
      - .actual_access:  read_only
        .address_space:  global
        .offset:         64
        .size:           8
        .value_kind:     global_buffer
      - .actual_access:  read_only
        .address_space:  global
        .offset:         72
        .size:           8
        .value_kind:     global_buffer
      - .offset:         80
        .size:           16
        .value_kind:     by_value
      - .address_space:  global
        .offset:         96
        .size:           8
        .value_kind:     global_buffer
      - .offset:         104
        .size:           4
        .value_kind:     by_value
      - .offset:         108
        .size:           1
        .value_kind:     by_value
    .group_segment_fixed_size: 5776
    .kernarg_segment_align: 8
    .kernarg_segment_size: 112
    .language:       OpenCL C
    .language_version:
      - 2
      - 0
    .max_flat_workgroup_size: 361
    .name:           _ZN9rocsparseL20bsrxmvn_17_32_kernelILj19E21rocsparse_complex_numIdEiidS2_S2_EEvT2_20rocsparse_direction_NS_24const_host_device_scalarIT0_EES3_PKS3_PKT1_SC_S9_PKT3_PKT4_S7_PT5_21rocsparse_index_base_b
    .private_segment_fixed_size: 0
    .sgpr_count:     22
    .sgpr_spill_count: 0
    .symbol:         _ZN9rocsparseL20bsrxmvn_17_32_kernelILj19E21rocsparse_complex_numIdEiidS2_S2_EEvT2_20rocsparse_direction_NS_24const_host_device_scalarIT0_EES3_PKS3_PKT1_SC_S9_PKT3_PKT4_S7_PT5_21rocsparse_index_base_b.kd
    .uniform_work_group_size: 1
    .uses_dynamic_stack: false
    .vgpr_count:     26
    .vgpr_spill_count: 0
    .wavefront_size: 64
  - .args:
      - .offset:         0
        .size:           4
        .value_kind:     by_value
      - .offset:         4
        .size:           4
        .value_kind:     by_value
      - .offset:         8
        .size:           16
        .value_kind:     by_value
      - .offset:         24
        .size:           4
        .value_kind:     by_value
      - .actual_access:  read_only
        .address_space:  global
        .offset:         32
        .size:           8
        .value_kind:     global_buffer
      - .actual_access:  read_only
        .address_space:  global
        .offset:         40
        .size:           8
        .value_kind:     global_buffer
      - .actual_access:  read_only
        .address_space:  global
        .offset:         48
        .size:           8
        .value_kind:     global_buffer
      - .actual_access:  read_only
        .address_space:  global
        .offset:         56
        .size:           8
        .value_kind:     global_buffer
      - .actual_access:  read_only
        .address_space:  global
        .offset:         64
        .size:           8
        .value_kind:     global_buffer
      - .actual_access:  read_only
        .address_space:  global
        .offset:         72
        .size:           8
        .value_kind:     global_buffer
      - .offset:         80
        .size:           16
        .value_kind:     by_value
      - .address_space:  global
        .offset:         96
        .size:           8
        .value_kind:     global_buffer
      - .offset:         104
        .size:           4
        .value_kind:     by_value
      - .offset:         108
        .size:           1
        .value_kind:     by_value
    .group_segment_fixed_size: 6400
    .kernarg_segment_align: 8
    .kernarg_segment_size: 112
    .language:       OpenCL C
    .language_version:
      - 2
      - 0
    .max_flat_workgroup_size: 400
    .name:           _ZN9rocsparseL20bsrxmvn_17_32_kernelILj20E21rocsparse_complex_numIdEiidS2_S2_EEvT2_20rocsparse_direction_NS_24const_host_device_scalarIT0_EES3_PKS3_PKT1_SC_S9_PKT3_PKT4_S7_PT5_21rocsparse_index_base_b
    .private_segment_fixed_size: 0
    .sgpr_count:     22
    .sgpr_spill_count: 0
    .symbol:         _ZN9rocsparseL20bsrxmvn_17_32_kernelILj20E21rocsparse_complex_numIdEiidS2_S2_EEvT2_20rocsparse_direction_NS_24const_host_device_scalarIT0_EES3_PKS3_PKT1_SC_S9_PKT3_PKT4_S7_PT5_21rocsparse_index_base_b.kd
    .uniform_work_group_size: 1
    .uses_dynamic_stack: false
    .vgpr_count:     26
    .vgpr_spill_count: 0
    .wavefront_size: 64
  - .args:
      - .offset:         0
        .size:           4
        .value_kind:     by_value
      - .offset:         4
        .size:           4
        .value_kind:     by_value
      - .offset:         8
        .size:           16
        .value_kind:     by_value
      - .offset:         24
        .size:           4
        .value_kind:     by_value
      - .actual_access:  read_only
        .address_space:  global
        .offset:         32
        .size:           8
        .value_kind:     global_buffer
      - .actual_access:  read_only
        .address_space:  global
        .offset:         40
        .size:           8
        .value_kind:     global_buffer
      - .actual_access:  read_only
        .address_space:  global
        .offset:         48
        .size:           8
        .value_kind:     global_buffer
      - .actual_access:  read_only
        .address_space:  global
        .offset:         56
        .size:           8
        .value_kind:     global_buffer
      - .actual_access:  read_only
        .address_space:  global
        .offset:         64
        .size:           8
        .value_kind:     global_buffer
      - .actual_access:  read_only
        .address_space:  global
        .offset:         72
        .size:           8
        .value_kind:     global_buffer
      - .offset:         80
        .size:           16
        .value_kind:     by_value
      - .address_space:  global
        .offset:         96
        .size:           8
        .value_kind:     global_buffer
      - .offset:         104
        .size:           4
        .value_kind:     by_value
      - .offset:         108
        .size:           1
        .value_kind:     by_value
    .group_segment_fixed_size: 7056
    .kernarg_segment_align: 8
    .kernarg_segment_size: 112
    .language:       OpenCL C
    .language_version:
      - 2
      - 0
    .max_flat_workgroup_size: 441
    .name:           _ZN9rocsparseL20bsrxmvn_17_32_kernelILj21E21rocsparse_complex_numIdEiidS2_S2_EEvT2_20rocsparse_direction_NS_24const_host_device_scalarIT0_EES3_PKS3_PKT1_SC_S9_PKT3_PKT4_S7_PT5_21rocsparse_index_base_b
    .private_segment_fixed_size: 0
    .sgpr_count:     22
    .sgpr_spill_count: 0
    .symbol:         _ZN9rocsparseL20bsrxmvn_17_32_kernelILj21E21rocsparse_complex_numIdEiidS2_S2_EEvT2_20rocsparse_direction_NS_24const_host_device_scalarIT0_EES3_PKS3_PKT1_SC_S9_PKT3_PKT4_S7_PT5_21rocsparse_index_base_b.kd
    .uniform_work_group_size: 1
    .uses_dynamic_stack: false
    .vgpr_count:     26
    .vgpr_spill_count: 0
    .wavefront_size: 64
  - .args:
      - .offset:         0
        .size:           4
        .value_kind:     by_value
      - .offset:         4
        .size:           4
        .value_kind:     by_value
      - .offset:         8
        .size:           16
        .value_kind:     by_value
      - .offset:         24
        .size:           4
        .value_kind:     by_value
      - .actual_access:  read_only
        .address_space:  global
        .offset:         32
        .size:           8
        .value_kind:     global_buffer
      - .actual_access:  read_only
        .address_space:  global
        .offset:         40
        .size:           8
        .value_kind:     global_buffer
      - .actual_access:  read_only
        .address_space:  global
        .offset:         48
        .size:           8
        .value_kind:     global_buffer
      - .actual_access:  read_only
        .address_space:  global
        .offset:         56
        .size:           8
        .value_kind:     global_buffer
      - .actual_access:  read_only
        .address_space:  global
        .offset:         64
        .size:           8
        .value_kind:     global_buffer
      - .actual_access:  read_only
        .address_space:  global
        .offset:         72
        .size:           8
        .value_kind:     global_buffer
      - .offset:         80
        .size:           16
        .value_kind:     by_value
      - .address_space:  global
        .offset:         96
        .size:           8
        .value_kind:     global_buffer
      - .offset:         104
        .size:           4
        .value_kind:     by_value
      - .offset:         108
        .size:           1
        .value_kind:     by_value
    .group_segment_fixed_size: 7744
    .kernarg_segment_align: 8
    .kernarg_segment_size: 112
    .language:       OpenCL C
    .language_version:
      - 2
      - 0
    .max_flat_workgroup_size: 484
    .name:           _ZN9rocsparseL20bsrxmvn_17_32_kernelILj22E21rocsparse_complex_numIdEiidS2_S2_EEvT2_20rocsparse_direction_NS_24const_host_device_scalarIT0_EES3_PKS3_PKT1_SC_S9_PKT3_PKT4_S7_PT5_21rocsparse_index_base_b
    .private_segment_fixed_size: 0
    .sgpr_count:     22
    .sgpr_spill_count: 0
    .symbol:         _ZN9rocsparseL20bsrxmvn_17_32_kernelILj22E21rocsparse_complex_numIdEiidS2_S2_EEvT2_20rocsparse_direction_NS_24const_host_device_scalarIT0_EES3_PKS3_PKT1_SC_S9_PKT3_PKT4_S7_PT5_21rocsparse_index_base_b.kd
    .uniform_work_group_size: 1
    .uses_dynamic_stack: false
    .vgpr_count:     26
    .vgpr_spill_count: 0
    .wavefront_size: 64
  - .args:
      - .offset:         0
        .size:           4
        .value_kind:     by_value
      - .offset:         4
        .size:           4
        .value_kind:     by_value
      - .offset:         8
        .size:           16
        .value_kind:     by_value
      - .offset:         24
        .size:           4
        .value_kind:     by_value
      - .actual_access:  read_only
        .address_space:  global
        .offset:         32
        .size:           8
        .value_kind:     global_buffer
      - .actual_access:  read_only
        .address_space:  global
        .offset:         40
        .size:           8
        .value_kind:     global_buffer
      - .actual_access:  read_only
        .address_space:  global
        .offset:         48
        .size:           8
        .value_kind:     global_buffer
      - .actual_access:  read_only
        .address_space:  global
        .offset:         56
        .size:           8
        .value_kind:     global_buffer
      - .actual_access:  read_only
        .address_space:  global
        .offset:         64
        .size:           8
        .value_kind:     global_buffer
      - .actual_access:  read_only
        .address_space:  global
        .offset:         72
        .size:           8
        .value_kind:     global_buffer
      - .offset:         80
        .size:           16
        .value_kind:     by_value
      - .address_space:  global
        .offset:         96
        .size:           8
        .value_kind:     global_buffer
      - .offset:         104
        .size:           4
        .value_kind:     by_value
      - .offset:         108
        .size:           1
        .value_kind:     by_value
    .group_segment_fixed_size: 8464
    .kernarg_segment_align: 8
    .kernarg_segment_size: 112
    .language:       OpenCL C
    .language_version:
      - 2
      - 0
    .max_flat_workgroup_size: 529
    .name:           _ZN9rocsparseL20bsrxmvn_17_32_kernelILj23E21rocsparse_complex_numIdEiidS2_S2_EEvT2_20rocsparse_direction_NS_24const_host_device_scalarIT0_EES3_PKS3_PKT1_SC_S9_PKT3_PKT4_S7_PT5_21rocsparse_index_base_b
    .private_segment_fixed_size: 0
    .sgpr_count:     22
    .sgpr_spill_count: 0
    .symbol:         _ZN9rocsparseL20bsrxmvn_17_32_kernelILj23E21rocsparse_complex_numIdEiidS2_S2_EEvT2_20rocsparse_direction_NS_24const_host_device_scalarIT0_EES3_PKS3_PKT1_SC_S9_PKT3_PKT4_S7_PT5_21rocsparse_index_base_b.kd
    .uniform_work_group_size: 1
    .uses_dynamic_stack: false
    .vgpr_count:     26
    .vgpr_spill_count: 0
    .wavefront_size: 64
  - .args:
      - .offset:         0
        .size:           4
        .value_kind:     by_value
      - .offset:         4
        .size:           4
        .value_kind:     by_value
      - .offset:         8
        .size:           16
        .value_kind:     by_value
      - .offset:         24
        .size:           4
        .value_kind:     by_value
      - .actual_access:  read_only
        .address_space:  global
        .offset:         32
        .size:           8
        .value_kind:     global_buffer
      - .actual_access:  read_only
        .address_space:  global
        .offset:         40
        .size:           8
        .value_kind:     global_buffer
      - .actual_access:  read_only
        .address_space:  global
        .offset:         48
        .size:           8
        .value_kind:     global_buffer
      - .actual_access:  read_only
        .address_space:  global
        .offset:         56
        .size:           8
        .value_kind:     global_buffer
      - .actual_access:  read_only
        .address_space:  global
        .offset:         64
        .size:           8
        .value_kind:     global_buffer
      - .actual_access:  read_only
        .address_space:  global
        .offset:         72
        .size:           8
        .value_kind:     global_buffer
      - .offset:         80
        .size:           16
        .value_kind:     by_value
      - .address_space:  global
        .offset:         96
        .size:           8
        .value_kind:     global_buffer
      - .offset:         104
        .size:           4
        .value_kind:     by_value
      - .offset:         108
        .size:           1
        .value_kind:     by_value
    .group_segment_fixed_size: 9216
    .kernarg_segment_align: 8
    .kernarg_segment_size: 112
    .language:       OpenCL C
    .language_version:
      - 2
      - 0
    .max_flat_workgroup_size: 576
    .name:           _ZN9rocsparseL20bsrxmvn_17_32_kernelILj24E21rocsparse_complex_numIdEiidS2_S2_EEvT2_20rocsparse_direction_NS_24const_host_device_scalarIT0_EES3_PKS3_PKT1_SC_S9_PKT3_PKT4_S7_PT5_21rocsparse_index_base_b
    .private_segment_fixed_size: 0
    .sgpr_count:     22
    .sgpr_spill_count: 0
    .symbol:         _ZN9rocsparseL20bsrxmvn_17_32_kernelILj24E21rocsparse_complex_numIdEiidS2_S2_EEvT2_20rocsparse_direction_NS_24const_host_device_scalarIT0_EES3_PKS3_PKT1_SC_S9_PKT3_PKT4_S7_PT5_21rocsparse_index_base_b.kd
    .uniform_work_group_size: 1
    .uses_dynamic_stack: false
    .vgpr_count:     26
    .vgpr_spill_count: 0
    .wavefront_size: 64
  - .args:
      - .offset:         0
        .size:           4
        .value_kind:     by_value
      - .offset:         4
        .size:           4
        .value_kind:     by_value
      - .offset:         8
        .size:           16
        .value_kind:     by_value
      - .offset:         24
        .size:           4
        .value_kind:     by_value
      - .actual_access:  read_only
        .address_space:  global
        .offset:         32
        .size:           8
        .value_kind:     global_buffer
      - .actual_access:  read_only
        .address_space:  global
        .offset:         40
        .size:           8
        .value_kind:     global_buffer
      - .actual_access:  read_only
        .address_space:  global
        .offset:         48
        .size:           8
        .value_kind:     global_buffer
      - .actual_access:  read_only
        .address_space:  global
        .offset:         56
        .size:           8
        .value_kind:     global_buffer
      - .actual_access:  read_only
        .address_space:  global
        .offset:         64
        .size:           8
        .value_kind:     global_buffer
      - .actual_access:  read_only
        .address_space:  global
        .offset:         72
        .size:           8
        .value_kind:     global_buffer
      - .offset:         80
        .size:           16
        .value_kind:     by_value
      - .address_space:  global
        .offset:         96
        .size:           8
        .value_kind:     global_buffer
      - .offset:         104
        .size:           4
        .value_kind:     by_value
      - .offset:         108
        .size:           1
        .value_kind:     by_value
    .group_segment_fixed_size: 10000
    .kernarg_segment_align: 8
    .kernarg_segment_size: 112
    .language:       OpenCL C
    .language_version:
      - 2
      - 0
    .max_flat_workgroup_size: 625
    .name:           _ZN9rocsparseL20bsrxmvn_17_32_kernelILj25E21rocsparse_complex_numIdEiidS2_S2_EEvT2_20rocsparse_direction_NS_24const_host_device_scalarIT0_EES3_PKS3_PKT1_SC_S9_PKT3_PKT4_S7_PT5_21rocsparse_index_base_b
    .private_segment_fixed_size: 0
    .sgpr_count:     22
    .sgpr_spill_count: 0
    .symbol:         _ZN9rocsparseL20bsrxmvn_17_32_kernelILj25E21rocsparse_complex_numIdEiidS2_S2_EEvT2_20rocsparse_direction_NS_24const_host_device_scalarIT0_EES3_PKS3_PKT1_SC_S9_PKT3_PKT4_S7_PT5_21rocsparse_index_base_b.kd
    .uniform_work_group_size: 1
    .uses_dynamic_stack: false
    .vgpr_count:     26
    .vgpr_spill_count: 0
    .wavefront_size: 64
  - .args:
      - .offset:         0
        .size:           4
        .value_kind:     by_value
      - .offset:         4
        .size:           4
        .value_kind:     by_value
      - .offset:         8
        .size:           16
        .value_kind:     by_value
      - .offset:         24
        .size:           4
        .value_kind:     by_value
      - .actual_access:  read_only
        .address_space:  global
        .offset:         32
        .size:           8
        .value_kind:     global_buffer
      - .actual_access:  read_only
        .address_space:  global
        .offset:         40
        .size:           8
        .value_kind:     global_buffer
      - .actual_access:  read_only
        .address_space:  global
        .offset:         48
        .size:           8
        .value_kind:     global_buffer
      - .actual_access:  read_only
        .address_space:  global
        .offset:         56
        .size:           8
        .value_kind:     global_buffer
      - .actual_access:  read_only
        .address_space:  global
        .offset:         64
        .size:           8
        .value_kind:     global_buffer
      - .actual_access:  read_only
        .address_space:  global
        .offset:         72
        .size:           8
        .value_kind:     global_buffer
      - .offset:         80
        .size:           16
        .value_kind:     by_value
      - .address_space:  global
        .offset:         96
        .size:           8
        .value_kind:     global_buffer
      - .offset:         104
        .size:           4
        .value_kind:     by_value
      - .offset:         108
        .size:           1
        .value_kind:     by_value
    .group_segment_fixed_size: 10816
    .kernarg_segment_align: 8
    .kernarg_segment_size: 112
    .language:       OpenCL C
    .language_version:
      - 2
      - 0
    .max_flat_workgroup_size: 676
    .name:           _ZN9rocsparseL20bsrxmvn_17_32_kernelILj26E21rocsparse_complex_numIdEiidS2_S2_EEvT2_20rocsparse_direction_NS_24const_host_device_scalarIT0_EES3_PKS3_PKT1_SC_S9_PKT3_PKT4_S7_PT5_21rocsparse_index_base_b
    .private_segment_fixed_size: 0
    .sgpr_count:     22
    .sgpr_spill_count: 0
    .symbol:         _ZN9rocsparseL20bsrxmvn_17_32_kernelILj26E21rocsparse_complex_numIdEiidS2_S2_EEvT2_20rocsparse_direction_NS_24const_host_device_scalarIT0_EES3_PKS3_PKT1_SC_S9_PKT3_PKT4_S7_PT5_21rocsparse_index_base_b.kd
    .uniform_work_group_size: 1
    .uses_dynamic_stack: false
    .vgpr_count:     26
    .vgpr_spill_count: 0
    .wavefront_size: 64
  - .args:
      - .offset:         0
        .size:           4
        .value_kind:     by_value
      - .offset:         4
        .size:           4
        .value_kind:     by_value
      - .offset:         8
        .size:           16
        .value_kind:     by_value
      - .offset:         24
        .size:           4
        .value_kind:     by_value
      - .actual_access:  read_only
        .address_space:  global
        .offset:         32
        .size:           8
        .value_kind:     global_buffer
      - .actual_access:  read_only
        .address_space:  global
        .offset:         40
        .size:           8
        .value_kind:     global_buffer
      - .actual_access:  read_only
        .address_space:  global
        .offset:         48
        .size:           8
        .value_kind:     global_buffer
      - .actual_access:  read_only
        .address_space:  global
        .offset:         56
        .size:           8
        .value_kind:     global_buffer
      - .actual_access:  read_only
        .address_space:  global
        .offset:         64
        .size:           8
        .value_kind:     global_buffer
      - .actual_access:  read_only
        .address_space:  global
        .offset:         72
        .size:           8
        .value_kind:     global_buffer
      - .offset:         80
        .size:           16
        .value_kind:     by_value
      - .address_space:  global
        .offset:         96
        .size:           8
        .value_kind:     global_buffer
      - .offset:         104
        .size:           4
        .value_kind:     by_value
      - .offset:         108
        .size:           1
        .value_kind:     by_value
    .group_segment_fixed_size: 11664
    .kernarg_segment_align: 8
    .kernarg_segment_size: 112
    .language:       OpenCL C
    .language_version:
      - 2
      - 0
    .max_flat_workgroup_size: 729
    .name:           _ZN9rocsparseL20bsrxmvn_17_32_kernelILj27E21rocsparse_complex_numIdEiidS2_S2_EEvT2_20rocsparse_direction_NS_24const_host_device_scalarIT0_EES3_PKS3_PKT1_SC_S9_PKT3_PKT4_S7_PT5_21rocsparse_index_base_b
    .private_segment_fixed_size: 0
    .sgpr_count:     22
    .sgpr_spill_count: 0
    .symbol:         _ZN9rocsparseL20bsrxmvn_17_32_kernelILj27E21rocsparse_complex_numIdEiidS2_S2_EEvT2_20rocsparse_direction_NS_24const_host_device_scalarIT0_EES3_PKS3_PKT1_SC_S9_PKT3_PKT4_S7_PT5_21rocsparse_index_base_b.kd
    .uniform_work_group_size: 1
    .uses_dynamic_stack: false
    .vgpr_count:     26
    .vgpr_spill_count: 0
    .wavefront_size: 64
  - .args:
      - .offset:         0
        .size:           4
        .value_kind:     by_value
      - .offset:         4
        .size:           4
        .value_kind:     by_value
      - .offset:         8
        .size:           16
        .value_kind:     by_value
      - .offset:         24
        .size:           4
        .value_kind:     by_value
      - .actual_access:  read_only
        .address_space:  global
        .offset:         32
        .size:           8
        .value_kind:     global_buffer
      - .actual_access:  read_only
        .address_space:  global
        .offset:         40
        .size:           8
        .value_kind:     global_buffer
      - .actual_access:  read_only
        .address_space:  global
        .offset:         48
        .size:           8
        .value_kind:     global_buffer
      - .actual_access:  read_only
        .address_space:  global
        .offset:         56
        .size:           8
        .value_kind:     global_buffer
      - .actual_access:  read_only
        .address_space:  global
        .offset:         64
        .size:           8
        .value_kind:     global_buffer
      - .actual_access:  read_only
        .address_space:  global
        .offset:         72
        .size:           8
        .value_kind:     global_buffer
      - .offset:         80
        .size:           16
        .value_kind:     by_value
      - .address_space:  global
        .offset:         96
        .size:           8
        .value_kind:     global_buffer
      - .offset:         104
        .size:           4
        .value_kind:     by_value
      - .offset:         108
        .size:           1
        .value_kind:     by_value
    .group_segment_fixed_size: 12544
    .kernarg_segment_align: 8
    .kernarg_segment_size: 112
    .language:       OpenCL C
    .language_version:
      - 2
      - 0
    .max_flat_workgroup_size: 784
    .name:           _ZN9rocsparseL20bsrxmvn_17_32_kernelILj28E21rocsparse_complex_numIdEiidS2_S2_EEvT2_20rocsparse_direction_NS_24const_host_device_scalarIT0_EES3_PKS3_PKT1_SC_S9_PKT3_PKT4_S7_PT5_21rocsparse_index_base_b
    .private_segment_fixed_size: 0
    .sgpr_count:     22
    .sgpr_spill_count: 0
    .symbol:         _ZN9rocsparseL20bsrxmvn_17_32_kernelILj28E21rocsparse_complex_numIdEiidS2_S2_EEvT2_20rocsparse_direction_NS_24const_host_device_scalarIT0_EES3_PKS3_PKT1_SC_S9_PKT3_PKT4_S7_PT5_21rocsparse_index_base_b.kd
    .uniform_work_group_size: 1
    .uses_dynamic_stack: false
    .vgpr_count:     26
    .vgpr_spill_count: 0
    .wavefront_size: 64
  - .args:
      - .offset:         0
        .size:           4
        .value_kind:     by_value
      - .offset:         4
        .size:           4
        .value_kind:     by_value
      - .offset:         8
        .size:           16
        .value_kind:     by_value
      - .offset:         24
        .size:           4
        .value_kind:     by_value
      - .actual_access:  read_only
        .address_space:  global
        .offset:         32
        .size:           8
        .value_kind:     global_buffer
      - .actual_access:  read_only
        .address_space:  global
        .offset:         40
        .size:           8
        .value_kind:     global_buffer
      - .actual_access:  read_only
        .address_space:  global
        .offset:         48
        .size:           8
        .value_kind:     global_buffer
      - .actual_access:  read_only
        .address_space:  global
        .offset:         56
        .size:           8
        .value_kind:     global_buffer
      - .actual_access:  read_only
        .address_space:  global
        .offset:         64
        .size:           8
        .value_kind:     global_buffer
      - .actual_access:  read_only
        .address_space:  global
        .offset:         72
        .size:           8
        .value_kind:     global_buffer
      - .offset:         80
        .size:           16
        .value_kind:     by_value
      - .address_space:  global
        .offset:         96
        .size:           8
        .value_kind:     global_buffer
      - .offset:         104
        .size:           4
        .value_kind:     by_value
      - .offset:         108
        .size:           1
        .value_kind:     by_value
    .group_segment_fixed_size: 13456
    .kernarg_segment_align: 8
    .kernarg_segment_size: 112
    .language:       OpenCL C
    .language_version:
      - 2
      - 0
    .max_flat_workgroup_size: 841
    .name:           _ZN9rocsparseL20bsrxmvn_17_32_kernelILj29E21rocsparse_complex_numIdEiidS2_S2_EEvT2_20rocsparse_direction_NS_24const_host_device_scalarIT0_EES3_PKS3_PKT1_SC_S9_PKT3_PKT4_S7_PT5_21rocsparse_index_base_b
    .private_segment_fixed_size: 0
    .sgpr_count:     22
    .sgpr_spill_count: 0
    .symbol:         _ZN9rocsparseL20bsrxmvn_17_32_kernelILj29E21rocsparse_complex_numIdEiidS2_S2_EEvT2_20rocsparse_direction_NS_24const_host_device_scalarIT0_EES3_PKS3_PKT1_SC_S9_PKT3_PKT4_S7_PT5_21rocsparse_index_base_b.kd
    .uniform_work_group_size: 1
    .uses_dynamic_stack: false
    .vgpr_count:     26
    .vgpr_spill_count: 0
    .wavefront_size: 64
  - .args:
      - .offset:         0
        .size:           4
        .value_kind:     by_value
      - .offset:         4
        .size:           4
        .value_kind:     by_value
      - .offset:         8
        .size:           16
        .value_kind:     by_value
      - .offset:         24
        .size:           4
        .value_kind:     by_value
      - .actual_access:  read_only
        .address_space:  global
        .offset:         32
        .size:           8
        .value_kind:     global_buffer
      - .actual_access:  read_only
        .address_space:  global
        .offset:         40
        .size:           8
        .value_kind:     global_buffer
      - .actual_access:  read_only
        .address_space:  global
        .offset:         48
        .size:           8
        .value_kind:     global_buffer
      - .actual_access:  read_only
        .address_space:  global
        .offset:         56
        .size:           8
        .value_kind:     global_buffer
      - .actual_access:  read_only
        .address_space:  global
        .offset:         64
        .size:           8
        .value_kind:     global_buffer
      - .actual_access:  read_only
        .address_space:  global
        .offset:         72
        .size:           8
        .value_kind:     global_buffer
      - .offset:         80
        .size:           16
        .value_kind:     by_value
      - .address_space:  global
        .offset:         96
        .size:           8
        .value_kind:     global_buffer
      - .offset:         104
        .size:           4
        .value_kind:     by_value
      - .offset:         108
        .size:           1
        .value_kind:     by_value
    .group_segment_fixed_size: 14400
    .kernarg_segment_align: 8
    .kernarg_segment_size: 112
    .language:       OpenCL C
    .language_version:
      - 2
      - 0
    .max_flat_workgroup_size: 900
    .name:           _ZN9rocsparseL20bsrxmvn_17_32_kernelILj30E21rocsparse_complex_numIdEiidS2_S2_EEvT2_20rocsparse_direction_NS_24const_host_device_scalarIT0_EES3_PKS3_PKT1_SC_S9_PKT3_PKT4_S7_PT5_21rocsparse_index_base_b
    .private_segment_fixed_size: 0
    .sgpr_count:     22
    .sgpr_spill_count: 0
    .symbol:         _ZN9rocsparseL20bsrxmvn_17_32_kernelILj30E21rocsparse_complex_numIdEiidS2_S2_EEvT2_20rocsparse_direction_NS_24const_host_device_scalarIT0_EES3_PKS3_PKT1_SC_S9_PKT3_PKT4_S7_PT5_21rocsparse_index_base_b.kd
    .uniform_work_group_size: 1
    .uses_dynamic_stack: false
    .vgpr_count:     26
    .vgpr_spill_count: 0
    .wavefront_size: 64
  - .args:
      - .offset:         0
        .size:           4
        .value_kind:     by_value
      - .offset:         4
        .size:           4
        .value_kind:     by_value
      - .offset:         8
        .size:           16
        .value_kind:     by_value
      - .offset:         24
        .size:           4
        .value_kind:     by_value
      - .actual_access:  read_only
        .address_space:  global
        .offset:         32
        .size:           8
        .value_kind:     global_buffer
      - .actual_access:  read_only
        .address_space:  global
        .offset:         40
        .size:           8
        .value_kind:     global_buffer
      - .actual_access:  read_only
        .address_space:  global
        .offset:         48
        .size:           8
        .value_kind:     global_buffer
      - .actual_access:  read_only
        .address_space:  global
        .offset:         56
        .size:           8
        .value_kind:     global_buffer
      - .actual_access:  read_only
        .address_space:  global
        .offset:         64
        .size:           8
        .value_kind:     global_buffer
      - .actual_access:  read_only
        .address_space:  global
        .offset:         72
        .size:           8
        .value_kind:     global_buffer
      - .offset:         80
        .size:           16
        .value_kind:     by_value
      - .address_space:  global
        .offset:         96
        .size:           8
        .value_kind:     global_buffer
      - .offset:         104
        .size:           4
        .value_kind:     by_value
      - .offset:         108
        .size:           1
        .value_kind:     by_value
    .group_segment_fixed_size: 15376
    .kernarg_segment_align: 8
    .kernarg_segment_size: 112
    .language:       OpenCL C
    .language_version:
      - 2
      - 0
    .max_flat_workgroup_size: 961
    .name:           _ZN9rocsparseL20bsrxmvn_17_32_kernelILj31E21rocsparse_complex_numIdEiidS2_S2_EEvT2_20rocsparse_direction_NS_24const_host_device_scalarIT0_EES3_PKS3_PKT1_SC_S9_PKT3_PKT4_S7_PT5_21rocsparse_index_base_b
    .private_segment_fixed_size: 0
    .sgpr_count:     22
    .sgpr_spill_count: 0
    .symbol:         _ZN9rocsparseL20bsrxmvn_17_32_kernelILj31E21rocsparse_complex_numIdEiidS2_S2_EEvT2_20rocsparse_direction_NS_24const_host_device_scalarIT0_EES3_PKS3_PKT1_SC_S9_PKT3_PKT4_S7_PT5_21rocsparse_index_base_b.kd
    .uniform_work_group_size: 1
    .uses_dynamic_stack: false
    .vgpr_count:     26
    .vgpr_spill_count: 0
    .wavefront_size: 64
  - .args:
      - .offset:         0
        .size:           4
        .value_kind:     by_value
      - .offset:         4
        .size:           4
        .value_kind:     by_value
      - .offset:         8
        .size:           16
        .value_kind:     by_value
      - .offset:         24
        .size:           4
        .value_kind:     by_value
      - .actual_access:  read_only
        .address_space:  global
        .offset:         32
        .size:           8
        .value_kind:     global_buffer
      - .actual_access:  read_only
        .address_space:  global
        .offset:         40
        .size:           8
        .value_kind:     global_buffer
      - .actual_access:  read_only
        .address_space:  global
        .offset:         48
        .size:           8
        .value_kind:     global_buffer
      - .actual_access:  read_only
        .address_space:  global
        .offset:         56
        .size:           8
        .value_kind:     global_buffer
      - .actual_access:  read_only
        .address_space:  global
        .offset:         64
        .size:           8
        .value_kind:     global_buffer
      - .actual_access:  read_only
        .address_space:  global
        .offset:         72
        .size:           8
        .value_kind:     global_buffer
      - .offset:         80
        .size:           16
        .value_kind:     by_value
      - .address_space:  global
        .offset:         96
        .size:           8
        .value_kind:     global_buffer
      - .offset:         104
        .size:           4
        .value_kind:     by_value
      - .offset:         108
        .size:           1
        .value_kind:     by_value
    .group_segment_fixed_size: 16384
    .kernarg_segment_align: 8
    .kernarg_segment_size: 112
    .language:       OpenCL C
    .language_version:
      - 2
      - 0
    .max_flat_workgroup_size: 1024
    .name:           _ZN9rocsparseL20bsrxmvn_17_32_kernelILj32E21rocsparse_complex_numIdEiidS2_S2_EEvT2_20rocsparse_direction_NS_24const_host_device_scalarIT0_EES3_PKS3_PKT1_SC_S9_PKT3_PKT4_S7_PT5_21rocsparse_index_base_b
    .private_segment_fixed_size: 0
    .sgpr_count:     22
    .sgpr_spill_count: 0
    .symbol:         _ZN9rocsparseL20bsrxmvn_17_32_kernelILj32E21rocsparse_complex_numIdEiidS2_S2_EEvT2_20rocsparse_direction_NS_24const_host_device_scalarIT0_EES3_PKS3_PKT1_SC_S9_PKT3_PKT4_S7_PT5_21rocsparse_index_base_b.kd
    .uniform_work_group_size: 1
    .uses_dynamic_stack: false
    .vgpr_count:     26
    .vgpr_spill_count: 0
    .wavefront_size: 64
  - .args:
      - .offset:         0
        .size:           4
        .value_kind:     by_value
      - .offset:         4
        .size:           4
        .value_kind:     by_value
      - .offset:         8
        .size:           16
        .value_kind:     by_value
      - .offset:         24
        .size:           4
        .value_kind:     by_value
      - .actual_access:  read_only
        .address_space:  global
        .offset:         32
        .size:           8
        .value_kind:     global_buffer
      - .actual_access:  read_only
        .address_space:  global
        .offset:         40
        .size:           8
        .value_kind:     global_buffer
      - .actual_access:  read_only
        .address_space:  global
        .offset:         48
        .size:           8
        .value_kind:     global_buffer
      - .actual_access:  read_only
        .address_space:  global
        .offset:         56
        .size:           8
        .value_kind:     global_buffer
      - .actual_access:  read_only
        .address_space:  global
        .offset:         64
        .size:           8
        .value_kind:     global_buffer
      - .actual_access:  read_only
        .address_space:  global
        .offset:         72
        .size:           8
        .value_kind:     global_buffer
      - .offset:         80
        .size:           16
        .value_kind:     by_value
      - .address_space:  global
        .offset:         96
        .size:           8
        .value_kind:     global_buffer
      - .offset:         104
        .size:           4
        .value_kind:     by_value
      - .offset:         108
        .size:           1
        .value_kind:     by_value
    .group_segment_fixed_size: 4624
    .kernarg_segment_align: 8
    .kernarg_segment_size: 112
    .language:       OpenCL C
    .language_version:
      - 2
      - 0
    .max_flat_workgroup_size: 289
    .name:           _ZN9rocsparseL20bsrxmvn_17_32_kernelILj17E21rocsparse_complex_numIdElidS2_S2_EEvT2_20rocsparse_direction_NS_24const_host_device_scalarIT0_EES3_PKS3_PKT1_SC_S9_PKT3_PKT4_S7_PT5_21rocsparse_index_base_b
    .private_segment_fixed_size: 0
    .sgpr_count:     26
    .sgpr_spill_count: 0
    .symbol:         _ZN9rocsparseL20bsrxmvn_17_32_kernelILj17E21rocsparse_complex_numIdElidS2_S2_EEvT2_20rocsparse_direction_NS_24const_host_device_scalarIT0_EES3_PKS3_PKT1_SC_S9_PKT3_PKT4_S7_PT5_21rocsparse_index_base_b.kd
    .uniform_work_group_size: 1
    .uses_dynamic_stack: false
    .vgpr_count:     28
    .vgpr_spill_count: 0
    .wavefront_size: 64
  - .args:
      - .offset:         0
        .size:           4
        .value_kind:     by_value
      - .offset:         4
        .size:           4
        .value_kind:     by_value
      - .offset:         8
        .size:           16
        .value_kind:     by_value
      - .offset:         24
        .size:           4
        .value_kind:     by_value
      - .actual_access:  read_only
        .address_space:  global
        .offset:         32
        .size:           8
        .value_kind:     global_buffer
      - .actual_access:  read_only
        .address_space:  global
        .offset:         40
        .size:           8
        .value_kind:     global_buffer
      - .actual_access:  read_only
        .address_space:  global
        .offset:         48
        .size:           8
        .value_kind:     global_buffer
      - .actual_access:  read_only
        .address_space:  global
        .offset:         56
        .size:           8
        .value_kind:     global_buffer
      - .actual_access:  read_only
        .address_space:  global
        .offset:         64
        .size:           8
        .value_kind:     global_buffer
      - .actual_access:  read_only
        .address_space:  global
        .offset:         72
        .size:           8
        .value_kind:     global_buffer
      - .offset:         80
        .size:           16
        .value_kind:     by_value
      - .address_space:  global
        .offset:         96
        .size:           8
        .value_kind:     global_buffer
      - .offset:         104
        .size:           4
        .value_kind:     by_value
      - .offset:         108
        .size:           1
        .value_kind:     by_value
    .group_segment_fixed_size: 5184
    .kernarg_segment_align: 8
    .kernarg_segment_size: 112
    .language:       OpenCL C
    .language_version:
      - 2
      - 0
    .max_flat_workgroup_size: 324
    .name:           _ZN9rocsparseL20bsrxmvn_17_32_kernelILj18E21rocsparse_complex_numIdElidS2_S2_EEvT2_20rocsparse_direction_NS_24const_host_device_scalarIT0_EES3_PKS3_PKT1_SC_S9_PKT3_PKT4_S7_PT5_21rocsparse_index_base_b
    .private_segment_fixed_size: 0
    .sgpr_count:     28
    .sgpr_spill_count: 0
    .symbol:         _ZN9rocsparseL20bsrxmvn_17_32_kernelILj18E21rocsparse_complex_numIdElidS2_S2_EEvT2_20rocsparse_direction_NS_24const_host_device_scalarIT0_EES3_PKS3_PKT1_SC_S9_PKT3_PKT4_S7_PT5_21rocsparse_index_base_b.kd
    .uniform_work_group_size: 1
    .uses_dynamic_stack: false
    .vgpr_count:     28
    .vgpr_spill_count: 0
    .wavefront_size: 64
  - .args:
      - .offset:         0
        .size:           4
        .value_kind:     by_value
      - .offset:         4
        .size:           4
        .value_kind:     by_value
      - .offset:         8
        .size:           16
        .value_kind:     by_value
      - .offset:         24
        .size:           4
        .value_kind:     by_value
      - .actual_access:  read_only
        .address_space:  global
        .offset:         32
        .size:           8
        .value_kind:     global_buffer
      - .actual_access:  read_only
        .address_space:  global
        .offset:         40
        .size:           8
        .value_kind:     global_buffer
      - .actual_access:  read_only
        .address_space:  global
        .offset:         48
        .size:           8
        .value_kind:     global_buffer
      - .actual_access:  read_only
        .address_space:  global
        .offset:         56
        .size:           8
        .value_kind:     global_buffer
      - .actual_access:  read_only
        .address_space:  global
        .offset:         64
        .size:           8
        .value_kind:     global_buffer
      - .actual_access:  read_only
        .address_space:  global
        .offset:         72
        .size:           8
        .value_kind:     global_buffer
      - .offset:         80
        .size:           16
        .value_kind:     by_value
      - .address_space:  global
        .offset:         96
        .size:           8
        .value_kind:     global_buffer
      - .offset:         104
        .size:           4
        .value_kind:     by_value
      - .offset:         108
        .size:           1
        .value_kind:     by_value
    .group_segment_fixed_size: 5776
    .kernarg_segment_align: 8
    .kernarg_segment_size: 112
    .language:       OpenCL C
    .language_version:
      - 2
      - 0
    .max_flat_workgroup_size: 361
    .name:           _ZN9rocsparseL20bsrxmvn_17_32_kernelILj19E21rocsparse_complex_numIdElidS2_S2_EEvT2_20rocsparse_direction_NS_24const_host_device_scalarIT0_EES3_PKS3_PKT1_SC_S9_PKT3_PKT4_S7_PT5_21rocsparse_index_base_b
    .private_segment_fixed_size: 0
    .sgpr_count:     28
    .sgpr_spill_count: 0
    .symbol:         _ZN9rocsparseL20bsrxmvn_17_32_kernelILj19E21rocsparse_complex_numIdElidS2_S2_EEvT2_20rocsparse_direction_NS_24const_host_device_scalarIT0_EES3_PKS3_PKT1_SC_S9_PKT3_PKT4_S7_PT5_21rocsparse_index_base_b.kd
    .uniform_work_group_size: 1
    .uses_dynamic_stack: false
    .vgpr_count:     28
    .vgpr_spill_count: 0
    .wavefront_size: 64
  - .args:
      - .offset:         0
        .size:           4
        .value_kind:     by_value
      - .offset:         4
        .size:           4
        .value_kind:     by_value
      - .offset:         8
        .size:           16
        .value_kind:     by_value
      - .offset:         24
        .size:           4
        .value_kind:     by_value
      - .actual_access:  read_only
        .address_space:  global
        .offset:         32
        .size:           8
        .value_kind:     global_buffer
      - .actual_access:  read_only
        .address_space:  global
        .offset:         40
        .size:           8
        .value_kind:     global_buffer
      - .actual_access:  read_only
        .address_space:  global
        .offset:         48
        .size:           8
        .value_kind:     global_buffer
      - .actual_access:  read_only
        .address_space:  global
        .offset:         56
        .size:           8
        .value_kind:     global_buffer
      - .actual_access:  read_only
        .address_space:  global
        .offset:         64
        .size:           8
        .value_kind:     global_buffer
      - .actual_access:  read_only
        .address_space:  global
        .offset:         72
        .size:           8
        .value_kind:     global_buffer
      - .offset:         80
        .size:           16
        .value_kind:     by_value
      - .address_space:  global
        .offset:         96
        .size:           8
        .value_kind:     global_buffer
      - .offset:         104
        .size:           4
        .value_kind:     by_value
      - .offset:         108
        .size:           1
        .value_kind:     by_value
    .group_segment_fixed_size: 6400
    .kernarg_segment_align: 8
    .kernarg_segment_size: 112
    .language:       OpenCL C
    .language_version:
      - 2
      - 0
    .max_flat_workgroup_size: 400
    .name:           _ZN9rocsparseL20bsrxmvn_17_32_kernelILj20E21rocsparse_complex_numIdElidS2_S2_EEvT2_20rocsparse_direction_NS_24const_host_device_scalarIT0_EES3_PKS3_PKT1_SC_S9_PKT3_PKT4_S7_PT5_21rocsparse_index_base_b
    .private_segment_fixed_size: 0
    .sgpr_count:     28
    .sgpr_spill_count: 0
    .symbol:         _ZN9rocsparseL20bsrxmvn_17_32_kernelILj20E21rocsparse_complex_numIdElidS2_S2_EEvT2_20rocsparse_direction_NS_24const_host_device_scalarIT0_EES3_PKS3_PKT1_SC_S9_PKT3_PKT4_S7_PT5_21rocsparse_index_base_b.kd
    .uniform_work_group_size: 1
    .uses_dynamic_stack: false
    .vgpr_count:     28
    .vgpr_spill_count: 0
    .wavefront_size: 64
  - .args:
      - .offset:         0
        .size:           4
        .value_kind:     by_value
      - .offset:         4
        .size:           4
        .value_kind:     by_value
      - .offset:         8
        .size:           16
        .value_kind:     by_value
      - .offset:         24
        .size:           4
        .value_kind:     by_value
      - .actual_access:  read_only
        .address_space:  global
        .offset:         32
        .size:           8
        .value_kind:     global_buffer
      - .actual_access:  read_only
        .address_space:  global
        .offset:         40
        .size:           8
        .value_kind:     global_buffer
      - .actual_access:  read_only
        .address_space:  global
        .offset:         48
        .size:           8
        .value_kind:     global_buffer
      - .actual_access:  read_only
        .address_space:  global
        .offset:         56
        .size:           8
        .value_kind:     global_buffer
      - .actual_access:  read_only
        .address_space:  global
        .offset:         64
        .size:           8
        .value_kind:     global_buffer
      - .actual_access:  read_only
        .address_space:  global
        .offset:         72
        .size:           8
        .value_kind:     global_buffer
      - .offset:         80
        .size:           16
        .value_kind:     by_value
      - .address_space:  global
        .offset:         96
        .size:           8
        .value_kind:     global_buffer
      - .offset:         104
        .size:           4
        .value_kind:     by_value
      - .offset:         108
        .size:           1
        .value_kind:     by_value
    .group_segment_fixed_size: 7056
    .kernarg_segment_align: 8
    .kernarg_segment_size: 112
    .language:       OpenCL C
    .language_version:
      - 2
      - 0
    .max_flat_workgroup_size: 441
    .name:           _ZN9rocsparseL20bsrxmvn_17_32_kernelILj21E21rocsparse_complex_numIdElidS2_S2_EEvT2_20rocsparse_direction_NS_24const_host_device_scalarIT0_EES3_PKS3_PKT1_SC_S9_PKT3_PKT4_S7_PT5_21rocsparse_index_base_b
    .private_segment_fixed_size: 0
    .sgpr_count:     26
    .sgpr_spill_count: 0
    .symbol:         _ZN9rocsparseL20bsrxmvn_17_32_kernelILj21E21rocsparse_complex_numIdElidS2_S2_EEvT2_20rocsparse_direction_NS_24const_host_device_scalarIT0_EES3_PKS3_PKT1_SC_S9_PKT3_PKT4_S7_PT5_21rocsparse_index_base_b.kd
    .uniform_work_group_size: 1
    .uses_dynamic_stack: false
    .vgpr_count:     28
    .vgpr_spill_count: 0
    .wavefront_size: 64
  - .args:
      - .offset:         0
        .size:           4
        .value_kind:     by_value
      - .offset:         4
        .size:           4
        .value_kind:     by_value
      - .offset:         8
        .size:           16
        .value_kind:     by_value
      - .offset:         24
        .size:           4
        .value_kind:     by_value
      - .actual_access:  read_only
        .address_space:  global
        .offset:         32
        .size:           8
        .value_kind:     global_buffer
      - .actual_access:  read_only
        .address_space:  global
        .offset:         40
        .size:           8
        .value_kind:     global_buffer
      - .actual_access:  read_only
        .address_space:  global
        .offset:         48
        .size:           8
        .value_kind:     global_buffer
      - .actual_access:  read_only
        .address_space:  global
        .offset:         56
        .size:           8
        .value_kind:     global_buffer
      - .actual_access:  read_only
        .address_space:  global
        .offset:         64
        .size:           8
        .value_kind:     global_buffer
      - .actual_access:  read_only
        .address_space:  global
        .offset:         72
        .size:           8
        .value_kind:     global_buffer
      - .offset:         80
        .size:           16
        .value_kind:     by_value
      - .address_space:  global
        .offset:         96
        .size:           8
        .value_kind:     global_buffer
      - .offset:         104
        .size:           4
        .value_kind:     by_value
      - .offset:         108
        .size:           1
        .value_kind:     by_value
    .group_segment_fixed_size: 7744
    .kernarg_segment_align: 8
    .kernarg_segment_size: 112
    .language:       OpenCL C
    .language_version:
      - 2
      - 0
    .max_flat_workgroup_size: 484
    .name:           _ZN9rocsparseL20bsrxmvn_17_32_kernelILj22E21rocsparse_complex_numIdElidS2_S2_EEvT2_20rocsparse_direction_NS_24const_host_device_scalarIT0_EES3_PKS3_PKT1_SC_S9_PKT3_PKT4_S7_PT5_21rocsparse_index_base_b
    .private_segment_fixed_size: 0
    .sgpr_count:     28
    .sgpr_spill_count: 0
    .symbol:         _ZN9rocsparseL20bsrxmvn_17_32_kernelILj22E21rocsparse_complex_numIdElidS2_S2_EEvT2_20rocsparse_direction_NS_24const_host_device_scalarIT0_EES3_PKS3_PKT1_SC_S9_PKT3_PKT4_S7_PT5_21rocsparse_index_base_b.kd
    .uniform_work_group_size: 1
    .uses_dynamic_stack: false
    .vgpr_count:     28
    .vgpr_spill_count: 0
    .wavefront_size: 64
  - .args:
      - .offset:         0
        .size:           4
        .value_kind:     by_value
      - .offset:         4
        .size:           4
        .value_kind:     by_value
      - .offset:         8
        .size:           16
        .value_kind:     by_value
      - .offset:         24
        .size:           4
        .value_kind:     by_value
      - .actual_access:  read_only
        .address_space:  global
        .offset:         32
        .size:           8
        .value_kind:     global_buffer
      - .actual_access:  read_only
        .address_space:  global
        .offset:         40
        .size:           8
        .value_kind:     global_buffer
      - .actual_access:  read_only
        .address_space:  global
        .offset:         48
        .size:           8
        .value_kind:     global_buffer
      - .actual_access:  read_only
        .address_space:  global
        .offset:         56
        .size:           8
        .value_kind:     global_buffer
      - .actual_access:  read_only
        .address_space:  global
        .offset:         64
        .size:           8
        .value_kind:     global_buffer
      - .actual_access:  read_only
        .address_space:  global
        .offset:         72
        .size:           8
        .value_kind:     global_buffer
      - .offset:         80
        .size:           16
        .value_kind:     by_value
      - .address_space:  global
        .offset:         96
        .size:           8
        .value_kind:     global_buffer
      - .offset:         104
        .size:           4
        .value_kind:     by_value
      - .offset:         108
        .size:           1
        .value_kind:     by_value
    .group_segment_fixed_size: 8464
    .kernarg_segment_align: 8
    .kernarg_segment_size: 112
    .language:       OpenCL C
    .language_version:
      - 2
      - 0
    .max_flat_workgroup_size: 529
    .name:           _ZN9rocsparseL20bsrxmvn_17_32_kernelILj23E21rocsparse_complex_numIdElidS2_S2_EEvT2_20rocsparse_direction_NS_24const_host_device_scalarIT0_EES3_PKS3_PKT1_SC_S9_PKT3_PKT4_S7_PT5_21rocsparse_index_base_b
    .private_segment_fixed_size: 0
    .sgpr_count:     26
    .sgpr_spill_count: 0
    .symbol:         _ZN9rocsparseL20bsrxmvn_17_32_kernelILj23E21rocsparse_complex_numIdElidS2_S2_EEvT2_20rocsparse_direction_NS_24const_host_device_scalarIT0_EES3_PKS3_PKT1_SC_S9_PKT3_PKT4_S7_PT5_21rocsparse_index_base_b.kd
    .uniform_work_group_size: 1
    .uses_dynamic_stack: false
    .vgpr_count:     28
    .vgpr_spill_count: 0
    .wavefront_size: 64
  - .args:
      - .offset:         0
        .size:           4
        .value_kind:     by_value
      - .offset:         4
        .size:           4
        .value_kind:     by_value
      - .offset:         8
        .size:           16
        .value_kind:     by_value
      - .offset:         24
        .size:           4
        .value_kind:     by_value
      - .actual_access:  read_only
        .address_space:  global
        .offset:         32
        .size:           8
        .value_kind:     global_buffer
      - .actual_access:  read_only
        .address_space:  global
        .offset:         40
        .size:           8
        .value_kind:     global_buffer
      - .actual_access:  read_only
        .address_space:  global
        .offset:         48
        .size:           8
        .value_kind:     global_buffer
      - .actual_access:  read_only
        .address_space:  global
        .offset:         56
        .size:           8
        .value_kind:     global_buffer
      - .actual_access:  read_only
        .address_space:  global
        .offset:         64
        .size:           8
        .value_kind:     global_buffer
      - .actual_access:  read_only
        .address_space:  global
        .offset:         72
        .size:           8
        .value_kind:     global_buffer
      - .offset:         80
        .size:           16
        .value_kind:     by_value
      - .address_space:  global
        .offset:         96
        .size:           8
        .value_kind:     global_buffer
      - .offset:         104
        .size:           4
        .value_kind:     by_value
      - .offset:         108
        .size:           1
        .value_kind:     by_value
    .group_segment_fixed_size: 9216
    .kernarg_segment_align: 8
    .kernarg_segment_size: 112
    .language:       OpenCL C
    .language_version:
      - 2
      - 0
    .max_flat_workgroup_size: 576
    .name:           _ZN9rocsparseL20bsrxmvn_17_32_kernelILj24E21rocsparse_complex_numIdElidS2_S2_EEvT2_20rocsparse_direction_NS_24const_host_device_scalarIT0_EES3_PKS3_PKT1_SC_S9_PKT3_PKT4_S7_PT5_21rocsparse_index_base_b
    .private_segment_fixed_size: 0
    .sgpr_count:     26
    .sgpr_spill_count: 0
    .symbol:         _ZN9rocsparseL20bsrxmvn_17_32_kernelILj24E21rocsparse_complex_numIdElidS2_S2_EEvT2_20rocsparse_direction_NS_24const_host_device_scalarIT0_EES3_PKS3_PKT1_SC_S9_PKT3_PKT4_S7_PT5_21rocsparse_index_base_b.kd
    .uniform_work_group_size: 1
    .uses_dynamic_stack: false
    .vgpr_count:     28
    .vgpr_spill_count: 0
    .wavefront_size: 64
  - .args:
      - .offset:         0
        .size:           4
        .value_kind:     by_value
      - .offset:         4
        .size:           4
        .value_kind:     by_value
      - .offset:         8
        .size:           16
        .value_kind:     by_value
      - .offset:         24
        .size:           4
        .value_kind:     by_value
      - .actual_access:  read_only
        .address_space:  global
        .offset:         32
        .size:           8
        .value_kind:     global_buffer
      - .actual_access:  read_only
        .address_space:  global
        .offset:         40
        .size:           8
        .value_kind:     global_buffer
      - .actual_access:  read_only
        .address_space:  global
        .offset:         48
        .size:           8
        .value_kind:     global_buffer
      - .actual_access:  read_only
        .address_space:  global
        .offset:         56
        .size:           8
        .value_kind:     global_buffer
      - .actual_access:  read_only
        .address_space:  global
        .offset:         64
        .size:           8
        .value_kind:     global_buffer
      - .actual_access:  read_only
        .address_space:  global
        .offset:         72
        .size:           8
        .value_kind:     global_buffer
      - .offset:         80
        .size:           16
        .value_kind:     by_value
      - .address_space:  global
        .offset:         96
        .size:           8
        .value_kind:     global_buffer
      - .offset:         104
        .size:           4
        .value_kind:     by_value
      - .offset:         108
        .size:           1
        .value_kind:     by_value
    .group_segment_fixed_size: 10000
    .kernarg_segment_align: 8
    .kernarg_segment_size: 112
    .language:       OpenCL C
    .language_version:
      - 2
      - 0
    .max_flat_workgroup_size: 625
    .name:           _ZN9rocsparseL20bsrxmvn_17_32_kernelILj25E21rocsparse_complex_numIdElidS2_S2_EEvT2_20rocsparse_direction_NS_24const_host_device_scalarIT0_EES3_PKS3_PKT1_SC_S9_PKT3_PKT4_S7_PT5_21rocsparse_index_base_b
    .private_segment_fixed_size: 0
    .sgpr_count:     26
    .sgpr_spill_count: 0
    .symbol:         _ZN9rocsparseL20bsrxmvn_17_32_kernelILj25E21rocsparse_complex_numIdElidS2_S2_EEvT2_20rocsparse_direction_NS_24const_host_device_scalarIT0_EES3_PKS3_PKT1_SC_S9_PKT3_PKT4_S7_PT5_21rocsparse_index_base_b.kd
    .uniform_work_group_size: 1
    .uses_dynamic_stack: false
    .vgpr_count:     28
    .vgpr_spill_count: 0
    .wavefront_size: 64
  - .args:
      - .offset:         0
        .size:           4
        .value_kind:     by_value
      - .offset:         4
        .size:           4
        .value_kind:     by_value
      - .offset:         8
        .size:           16
        .value_kind:     by_value
      - .offset:         24
        .size:           4
        .value_kind:     by_value
      - .actual_access:  read_only
        .address_space:  global
        .offset:         32
        .size:           8
        .value_kind:     global_buffer
      - .actual_access:  read_only
        .address_space:  global
        .offset:         40
        .size:           8
        .value_kind:     global_buffer
      - .actual_access:  read_only
        .address_space:  global
        .offset:         48
        .size:           8
        .value_kind:     global_buffer
      - .actual_access:  read_only
        .address_space:  global
        .offset:         56
        .size:           8
        .value_kind:     global_buffer
      - .actual_access:  read_only
        .address_space:  global
        .offset:         64
        .size:           8
        .value_kind:     global_buffer
      - .actual_access:  read_only
        .address_space:  global
        .offset:         72
        .size:           8
        .value_kind:     global_buffer
      - .offset:         80
        .size:           16
        .value_kind:     by_value
      - .address_space:  global
        .offset:         96
        .size:           8
        .value_kind:     global_buffer
      - .offset:         104
        .size:           4
        .value_kind:     by_value
      - .offset:         108
        .size:           1
        .value_kind:     by_value
    .group_segment_fixed_size: 10816
    .kernarg_segment_align: 8
    .kernarg_segment_size: 112
    .language:       OpenCL C
    .language_version:
      - 2
      - 0
    .max_flat_workgroup_size: 676
    .name:           _ZN9rocsparseL20bsrxmvn_17_32_kernelILj26E21rocsparse_complex_numIdElidS2_S2_EEvT2_20rocsparse_direction_NS_24const_host_device_scalarIT0_EES3_PKS3_PKT1_SC_S9_PKT3_PKT4_S7_PT5_21rocsparse_index_base_b
    .private_segment_fixed_size: 0
    .sgpr_count:     26
    .sgpr_spill_count: 0
    .symbol:         _ZN9rocsparseL20bsrxmvn_17_32_kernelILj26E21rocsparse_complex_numIdElidS2_S2_EEvT2_20rocsparse_direction_NS_24const_host_device_scalarIT0_EES3_PKS3_PKT1_SC_S9_PKT3_PKT4_S7_PT5_21rocsparse_index_base_b.kd
    .uniform_work_group_size: 1
    .uses_dynamic_stack: false
    .vgpr_count:     28
    .vgpr_spill_count: 0
    .wavefront_size: 64
  - .args:
      - .offset:         0
        .size:           4
        .value_kind:     by_value
      - .offset:         4
        .size:           4
        .value_kind:     by_value
      - .offset:         8
        .size:           16
        .value_kind:     by_value
      - .offset:         24
        .size:           4
        .value_kind:     by_value
      - .actual_access:  read_only
        .address_space:  global
        .offset:         32
        .size:           8
        .value_kind:     global_buffer
      - .actual_access:  read_only
        .address_space:  global
        .offset:         40
        .size:           8
        .value_kind:     global_buffer
      - .actual_access:  read_only
        .address_space:  global
        .offset:         48
        .size:           8
        .value_kind:     global_buffer
      - .actual_access:  read_only
        .address_space:  global
        .offset:         56
        .size:           8
        .value_kind:     global_buffer
      - .actual_access:  read_only
        .address_space:  global
        .offset:         64
        .size:           8
        .value_kind:     global_buffer
      - .actual_access:  read_only
        .address_space:  global
        .offset:         72
        .size:           8
        .value_kind:     global_buffer
      - .offset:         80
        .size:           16
        .value_kind:     by_value
      - .address_space:  global
        .offset:         96
        .size:           8
        .value_kind:     global_buffer
      - .offset:         104
        .size:           4
        .value_kind:     by_value
      - .offset:         108
        .size:           1
        .value_kind:     by_value
    .group_segment_fixed_size: 11664
    .kernarg_segment_align: 8
    .kernarg_segment_size: 112
    .language:       OpenCL C
    .language_version:
      - 2
      - 0
    .max_flat_workgroup_size: 729
    .name:           _ZN9rocsparseL20bsrxmvn_17_32_kernelILj27E21rocsparse_complex_numIdElidS2_S2_EEvT2_20rocsparse_direction_NS_24const_host_device_scalarIT0_EES3_PKS3_PKT1_SC_S9_PKT3_PKT4_S7_PT5_21rocsparse_index_base_b
    .private_segment_fixed_size: 0
    .sgpr_count:     26
    .sgpr_spill_count: 0
    .symbol:         _ZN9rocsparseL20bsrxmvn_17_32_kernelILj27E21rocsparse_complex_numIdElidS2_S2_EEvT2_20rocsparse_direction_NS_24const_host_device_scalarIT0_EES3_PKS3_PKT1_SC_S9_PKT3_PKT4_S7_PT5_21rocsparse_index_base_b.kd
    .uniform_work_group_size: 1
    .uses_dynamic_stack: false
    .vgpr_count:     28
    .vgpr_spill_count: 0
    .wavefront_size: 64
  - .args:
      - .offset:         0
        .size:           4
        .value_kind:     by_value
      - .offset:         4
        .size:           4
        .value_kind:     by_value
      - .offset:         8
        .size:           16
        .value_kind:     by_value
      - .offset:         24
        .size:           4
        .value_kind:     by_value
      - .actual_access:  read_only
        .address_space:  global
        .offset:         32
        .size:           8
        .value_kind:     global_buffer
      - .actual_access:  read_only
        .address_space:  global
        .offset:         40
        .size:           8
        .value_kind:     global_buffer
      - .actual_access:  read_only
        .address_space:  global
        .offset:         48
        .size:           8
        .value_kind:     global_buffer
      - .actual_access:  read_only
        .address_space:  global
        .offset:         56
        .size:           8
        .value_kind:     global_buffer
      - .actual_access:  read_only
        .address_space:  global
        .offset:         64
        .size:           8
        .value_kind:     global_buffer
      - .actual_access:  read_only
        .address_space:  global
        .offset:         72
        .size:           8
        .value_kind:     global_buffer
      - .offset:         80
        .size:           16
        .value_kind:     by_value
      - .address_space:  global
        .offset:         96
        .size:           8
        .value_kind:     global_buffer
      - .offset:         104
        .size:           4
        .value_kind:     by_value
      - .offset:         108
        .size:           1
        .value_kind:     by_value
    .group_segment_fixed_size: 12544
    .kernarg_segment_align: 8
    .kernarg_segment_size: 112
    .language:       OpenCL C
    .language_version:
      - 2
      - 0
    .max_flat_workgroup_size: 784
    .name:           _ZN9rocsparseL20bsrxmvn_17_32_kernelILj28E21rocsparse_complex_numIdElidS2_S2_EEvT2_20rocsparse_direction_NS_24const_host_device_scalarIT0_EES3_PKS3_PKT1_SC_S9_PKT3_PKT4_S7_PT5_21rocsparse_index_base_b
    .private_segment_fixed_size: 0
    .sgpr_count:     26
    .sgpr_spill_count: 0
    .symbol:         _ZN9rocsparseL20bsrxmvn_17_32_kernelILj28E21rocsparse_complex_numIdElidS2_S2_EEvT2_20rocsparse_direction_NS_24const_host_device_scalarIT0_EES3_PKS3_PKT1_SC_S9_PKT3_PKT4_S7_PT5_21rocsparse_index_base_b.kd
    .uniform_work_group_size: 1
    .uses_dynamic_stack: false
    .vgpr_count:     28
    .vgpr_spill_count: 0
    .wavefront_size: 64
  - .args:
      - .offset:         0
        .size:           4
        .value_kind:     by_value
      - .offset:         4
        .size:           4
        .value_kind:     by_value
      - .offset:         8
        .size:           16
        .value_kind:     by_value
      - .offset:         24
        .size:           4
        .value_kind:     by_value
      - .actual_access:  read_only
        .address_space:  global
        .offset:         32
        .size:           8
        .value_kind:     global_buffer
      - .actual_access:  read_only
        .address_space:  global
        .offset:         40
        .size:           8
        .value_kind:     global_buffer
      - .actual_access:  read_only
        .address_space:  global
        .offset:         48
        .size:           8
        .value_kind:     global_buffer
      - .actual_access:  read_only
        .address_space:  global
        .offset:         56
        .size:           8
        .value_kind:     global_buffer
      - .actual_access:  read_only
        .address_space:  global
        .offset:         64
        .size:           8
        .value_kind:     global_buffer
      - .actual_access:  read_only
        .address_space:  global
        .offset:         72
        .size:           8
        .value_kind:     global_buffer
      - .offset:         80
        .size:           16
        .value_kind:     by_value
      - .address_space:  global
        .offset:         96
        .size:           8
        .value_kind:     global_buffer
      - .offset:         104
        .size:           4
        .value_kind:     by_value
      - .offset:         108
        .size:           1
        .value_kind:     by_value
    .group_segment_fixed_size: 13456
    .kernarg_segment_align: 8
    .kernarg_segment_size: 112
    .language:       OpenCL C
    .language_version:
      - 2
      - 0
    .max_flat_workgroup_size: 841
    .name:           _ZN9rocsparseL20bsrxmvn_17_32_kernelILj29E21rocsparse_complex_numIdElidS2_S2_EEvT2_20rocsparse_direction_NS_24const_host_device_scalarIT0_EES3_PKS3_PKT1_SC_S9_PKT3_PKT4_S7_PT5_21rocsparse_index_base_b
    .private_segment_fixed_size: 0
    .sgpr_count:     26
    .sgpr_spill_count: 0
    .symbol:         _ZN9rocsparseL20bsrxmvn_17_32_kernelILj29E21rocsparse_complex_numIdElidS2_S2_EEvT2_20rocsparse_direction_NS_24const_host_device_scalarIT0_EES3_PKS3_PKT1_SC_S9_PKT3_PKT4_S7_PT5_21rocsparse_index_base_b.kd
    .uniform_work_group_size: 1
    .uses_dynamic_stack: false
    .vgpr_count:     28
    .vgpr_spill_count: 0
    .wavefront_size: 64
  - .args:
      - .offset:         0
        .size:           4
        .value_kind:     by_value
      - .offset:         4
        .size:           4
        .value_kind:     by_value
      - .offset:         8
        .size:           16
        .value_kind:     by_value
      - .offset:         24
        .size:           4
        .value_kind:     by_value
      - .actual_access:  read_only
        .address_space:  global
        .offset:         32
        .size:           8
        .value_kind:     global_buffer
      - .actual_access:  read_only
        .address_space:  global
        .offset:         40
        .size:           8
        .value_kind:     global_buffer
      - .actual_access:  read_only
        .address_space:  global
        .offset:         48
        .size:           8
        .value_kind:     global_buffer
      - .actual_access:  read_only
        .address_space:  global
        .offset:         56
        .size:           8
        .value_kind:     global_buffer
      - .actual_access:  read_only
        .address_space:  global
        .offset:         64
        .size:           8
        .value_kind:     global_buffer
      - .actual_access:  read_only
        .address_space:  global
        .offset:         72
        .size:           8
        .value_kind:     global_buffer
      - .offset:         80
        .size:           16
        .value_kind:     by_value
      - .address_space:  global
        .offset:         96
        .size:           8
        .value_kind:     global_buffer
      - .offset:         104
        .size:           4
        .value_kind:     by_value
      - .offset:         108
        .size:           1
        .value_kind:     by_value
    .group_segment_fixed_size: 14400
    .kernarg_segment_align: 8
    .kernarg_segment_size: 112
    .language:       OpenCL C
    .language_version:
      - 2
      - 0
    .max_flat_workgroup_size: 900
    .name:           _ZN9rocsparseL20bsrxmvn_17_32_kernelILj30E21rocsparse_complex_numIdElidS2_S2_EEvT2_20rocsparse_direction_NS_24const_host_device_scalarIT0_EES3_PKS3_PKT1_SC_S9_PKT3_PKT4_S7_PT5_21rocsparse_index_base_b
    .private_segment_fixed_size: 0
    .sgpr_count:     26
    .sgpr_spill_count: 0
    .symbol:         _ZN9rocsparseL20bsrxmvn_17_32_kernelILj30E21rocsparse_complex_numIdElidS2_S2_EEvT2_20rocsparse_direction_NS_24const_host_device_scalarIT0_EES3_PKS3_PKT1_SC_S9_PKT3_PKT4_S7_PT5_21rocsparse_index_base_b.kd
    .uniform_work_group_size: 1
    .uses_dynamic_stack: false
    .vgpr_count:     28
    .vgpr_spill_count: 0
    .wavefront_size: 64
  - .args:
      - .offset:         0
        .size:           4
        .value_kind:     by_value
      - .offset:         4
        .size:           4
        .value_kind:     by_value
      - .offset:         8
        .size:           16
        .value_kind:     by_value
      - .offset:         24
        .size:           4
        .value_kind:     by_value
      - .actual_access:  read_only
        .address_space:  global
        .offset:         32
        .size:           8
        .value_kind:     global_buffer
      - .actual_access:  read_only
        .address_space:  global
        .offset:         40
        .size:           8
        .value_kind:     global_buffer
      - .actual_access:  read_only
        .address_space:  global
        .offset:         48
        .size:           8
        .value_kind:     global_buffer
      - .actual_access:  read_only
        .address_space:  global
        .offset:         56
        .size:           8
        .value_kind:     global_buffer
      - .actual_access:  read_only
        .address_space:  global
        .offset:         64
        .size:           8
        .value_kind:     global_buffer
      - .actual_access:  read_only
        .address_space:  global
        .offset:         72
        .size:           8
        .value_kind:     global_buffer
      - .offset:         80
        .size:           16
        .value_kind:     by_value
      - .address_space:  global
        .offset:         96
        .size:           8
        .value_kind:     global_buffer
      - .offset:         104
        .size:           4
        .value_kind:     by_value
      - .offset:         108
        .size:           1
        .value_kind:     by_value
    .group_segment_fixed_size: 15376
    .kernarg_segment_align: 8
    .kernarg_segment_size: 112
    .language:       OpenCL C
    .language_version:
      - 2
      - 0
    .max_flat_workgroup_size: 961
    .name:           _ZN9rocsparseL20bsrxmvn_17_32_kernelILj31E21rocsparse_complex_numIdElidS2_S2_EEvT2_20rocsparse_direction_NS_24const_host_device_scalarIT0_EES3_PKS3_PKT1_SC_S9_PKT3_PKT4_S7_PT5_21rocsparse_index_base_b
    .private_segment_fixed_size: 0
    .sgpr_count:     26
    .sgpr_spill_count: 0
    .symbol:         _ZN9rocsparseL20bsrxmvn_17_32_kernelILj31E21rocsparse_complex_numIdElidS2_S2_EEvT2_20rocsparse_direction_NS_24const_host_device_scalarIT0_EES3_PKS3_PKT1_SC_S9_PKT3_PKT4_S7_PT5_21rocsparse_index_base_b.kd
    .uniform_work_group_size: 1
    .uses_dynamic_stack: false
    .vgpr_count:     28
    .vgpr_spill_count: 0
    .wavefront_size: 64
  - .args:
      - .offset:         0
        .size:           4
        .value_kind:     by_value
      - .offset:         4
        .size:           4
        .value_kind:     by_value
      - .offset:         8
        .size:           16
        .value_kind:     by_value
      - .offset:         24
        .size:           4
        .value_kind:     by_value
      - .actual_access:  read_only
        .address_space:  global
        .offset:         32
        .size:           8
        .value_kind:     global_buffer
      - .actual_access:  read_only
        .address_space:  global
        .offset:         40
        .size:           8
        .value_kind:     global_buffer
      - .actual_access:  read_only
        .address_space:  global
        .offset:         48
        .size:           8
        .value_kind:     global_buffer
      - .actual_access:  read_only
        .address_space:  global
        .offset:         56
        .size:           8
        .value_kind:     global_buffer
      - .actual_access:  read_only
        .address_space:  global
        .offset:         64
        .size:           8
        .value_kind:     global_buffer
      - .actual_access:  read_only
        .address_space:  global
        .offset:         72
        .size:           8
        .value_kind:     global_buffer
      - .offset:         80
        .size:           16
        .value_kind:     by_value
      - .address_space:  global
        .offset:         96
        .size:           8
        .value_kind:     global_buffer
      - .offset:         104
        .size:           4
        .value_kind:     by_value
      - .offset:         108
        .size:           1
        .value_kind:     by_value
    .group_segment_fixed_size: 16384
    .kernarg_segment_align: 8
    .kernarg_segment_size: 112
    .language:       OpenCL C
    .language_version:
      - 2
      - 0
    .max_flat_workgroup_size: 1024
    .name:           _ZN9rocsparseL20bsrxmvn_17_32_kernelILj32E21rocsparse_complex_numIdElidS2_S2_EEvT2_20rocsparse_direction_NS_24const_host_device_scalarIT0_EES3_PKS3_PKT1_SC_S9_PKT3_PKT4_S7_PT5_21rocsparse_index_base_b
    .private_segment_fixed_size: 0
    .sgpr_count:     28
    .sgpr_spill_count: 0
    .symbol:         _ZN9rocsparseL20bsrxmvn_17_32_kernelILj32E21rocsparse_complex_numIdElidS2_S2_EEvT2_20rocsparse_direction_NS_24const_host_device_scalarIT0_EES3_PKS3_PKT1_SC_S9_PKT3_PKT4_S7_PT5_21rocsparse_index_base_b.kd
    .uniform_work_group_size: 1
    .uses_dynamic_stack: false
    .vgpr_count:     26
    .vgpr_spill_count: 0
    .wavefront_size: 64
  - .args:
      - .offset:         0
        .size:           8
        .value_kind:     by_value
      - .offset:         8
        .size:           4
        .value_kind:     by_value
      - .offset:         16
        .size:           16
        .value_kind:     by_value
      - .offset:         32
        .size:           8
        .value_kind:     by_value
      - .actual_access:  read_only
        .address_space:  global
        .offset:         40
        .size:           8
        .value_kind:     global_buffer
      - .actual_access:  read_only
        .address_space:  global
        .offset:         48
        .size:           8
        .value_kind:     global_buffer
      - .actual_access:  read_only
        .address_space:  global
        .offset:         56
        .size:           8
        .value_kind:     global_buffer
      - .actual_access:  read_only
        .address_space:  global
        .offset:         64
        .size:           8
        .value_kind:     global_buffer
      - .actual_access:  read_only
        .address_space:  global
        .offset:         72
        .size:           8
        .value_kind:     global_buffer
      - .actual_access:  read_only
        .address_space:  global
        .offset:         80
        .size:           8
        .value_kind:     global_buffer
      - .offset:         88
        .size:           16
        .value_kind:     by_value
      - .address_space:  global
        .offset:         104
        .size:           8
        .value_kind:     global_buffer
      - .offset:         112
        .size:           4
        .value_kind:     by_value
      - .offset:         116
        .size:           1
        .value_kind:     by_value
    .group_segment_fixed_size: 4624
    .kernarg_segment_align: 8
    .kernarg_segment_size: 120
    .language:       OpenCL C
    .language_version:
      - 2
      - 0
    .max_flat_workgroup_size: 289
    .name:           _ZN9rocsparseL20bsrxmvn_17_32_kernelILj17E21rocsparse_complex_numIdElldS2_S2_EEvT2_20rocsparse_direction_NS_24const_host_device_scalarIT0_EES3_PKS3_PKT1_SC_S9_PKT3_PKT4_S7_PT5_21rocsparse_index_base_b
    .private_segment_fixed_size: 0
    .sgpr_count:     26
    .sgpr_spill_count: 0
    .symbol:         _ZN9rocsparseL20bsrxmvn_17_32_kernelILj17E21rocsparse_complex_numIdElldS2_S2_EEvT2_20rocsparse_direction_NS_24const_host_device_scalarIT0_EES3_PKS3_PKT1_SC_S9_PKT3_PKT4_S7_PT5_21rocsparse_index_base_b.kd
    .uniform_work_group_size: 1
    .uses_dynamic_stack: false
    .vgpr_count:     29
    .vgpr_spill_count: 0
    .wavefront_size: 64
  - .args:
      - .offset:         0
        .size:           8
        .value_kind:     by_value
      - .offset:         8
        .size:           4
        .value_kind:     by_value
      - .offset:         16
        .size:           16
        .value_kind:     by_value
      - .offset:         32
        .size:           8
        .value_kind:     by_value
      - .actual_access:  read_only
        .address_space:  global
        .offset:         40
        .size:           8
        .value_kind:     global_buffer
      - .actual_access:  read_only
        .address_space:  global
        .offset:         48
        .size:           8
        .value_kind:     global_buffer
      - .actual_access:  read_only
        .address_space:  global
        .offset:         56
        .size:           8
        .value_kind:     global_buffer
      - .actual_access:  read_only
        .address_space:  global
        .offset:         64
        .size:           8
        .value_kind:     global_buffer
      - .actual_access:  read_only
        .address_space:  global
        .offset:         72
        .size:           8
        .value_kind:     global_buffer
      - .actual_access:  read_only
        .address_space:  global
        .offset:         80
        .size:           8
        .value_kind:     global_buffer
      - .offset:         88
        .size:           16
        .value_kind:     by_value
      - .address_space:  global
        .offset:         104
        .size:           8
        .value_kind:     global_buffer
      - .offset:         112
        .size:           4
        .value_kind:     by_value
      - .offset:         116
        .size:           1
        .value_kind:     by_value
    .group_segment_fixed_size: 5184
    .kernarg_segment_align: 8
    .kernarg_segment_size: 120
    .language:       OpenCL C
    .language_version:
      - 2
      - 0
    .max_flat_workgroup_size: 324
    .name:           _ZN9rocsparseL20bsrxmvn_17_32_kernelILj18E21rocsparse_complex_numIdElldS2_S2_EEvT2_20rocsparse_direction_NS_24const_host_device_scalarIT0_EES3_PKS3_PKT1_SC_S9_PKT3_PKT4_S7_PT5_21rocsparse_index_base_b
    .private_segment_fixed_size: 0
    .sgpr_count:     26
    .sgpr_spill_count: 0
    .symbol:         _ZN9rocsparseL20bsrxmvn_17_32_kernelILj18E21rocsparse_complex_numIdElldS2_S2_EEvT2_20rocsparse_direction_NS_24const_host_device_scalarIT0_EES3_PKS3_PKT1_SC_S9_PKT3_PKT4_S7_PT5_21rocsparse_index_base_b.kd
    .uniform_work_group_size: 1
    .uses_dynamic_stack: false
    .vgpr_count:     29
    .vgpr_spill_count: 0
    .wavefront_size: 64
  - .args:
      - .offset:         0
        .size:           8
        .value_kind:     by_value
      - .offset:         8
        .size:           4
        .value_kind:     by_value
      - .offset:         16
        .size:           16
        .value_kind:     by_value
      - .offset:         32
        .size:           8
        .value_kind:     by_value
      - .actual_access:  read_only
        .address_space:  global
        .offset:         40
        .size:           8
        .value_kind:     global_buffer
      - .actual_access:  read_only
        .address_space:  global
        .offset:         48
        .size:           8
        .value_kind:     global_buffer
      - .actual_access:  read_only
        .address_space:  global
        .offset:         56
        .size:           8
        .value_kind:     global_buffer
      - .actual_access:  read_only
        .address_space:  global
        .offset:         64
        .size:           8
        .value_kind:     global_buffer
      - .actual_access:  read_only
        .address_space:  global
        .offset:         72
        .size:           8
        .value_kind:     global_buffer
      - .actual_access:  read_only
        .address_space:  global
        .offset:         80
        .size:           8
        .value_kind:     global_buffer
      - .offset:         88
        .size:           16
        .value_kind:     by_value
      - .address_space:  global
        .offset:         104
        .size:           8
        .value_kind:     global_buffer
      - .offset:         112
        .size:           4
        .value_kind:     by_value
      - .offset:         116
        .size:           1
        .value_kind:     by_value
    .group_segment_fixed_size: 5776
    .kernarg_segment_align: 8
    .kernarg_segment_size: 120
    .language:       OpenCL C
    .language_version:
      - 2
      - 0
    .max_flat_workgroup_size: 361
    .name:           _ZN9rocsparseL20bsrxmvn_17_32_kernelILj19E21rocsparse_complex_numIdElldS2_S2_EEvT2_20rocsparse_direction_NS_24const_host_device_scalarIT0_EES3_PKS3_PKT1_SC_S9_PKT3_PKT4_S7_PT5_21rocsparse_index_base_b
    .private_segment_fixed_size: 0
    .sgpr_count:     26
    .sgpr_spill_count: 0
    .symbol:         _ZN9rocsparseL20bsrxmvn_17_32_kernelILj19E21rocsparse_complex_numIdElldS2_S2_EEvT2_20rocsparse_direction_NS_24const_host_device_scalarIT0_EES3_PKS3_PKT1_SC_S9_PKT3_PKT4_S7_PT5_21rocsparse_index_base_b.kd
    .uniform_work_group_size: 1
    .uses_dynamic_stack: false
    .vgpr_count:     29
    .vgpr_spill_count: 0
    .wavefront_size: 64
  - .args:
      - .offset:         0
        .size:           8
        .value_kind:     by_value
      - .offset:         8
        .size:           4
        .value_kind:     by_value
      - .offset:         16
        .size:           16
        .value_kind:     by_value
      - .offset:         32
        .size:           8
        .value_kind:     by_value
      - .actual_access:  read_only
        .address_space:  global
        .offset:         40
        .size:           8
        .value_kind:     global_buffer
      - .actual_access:  read_only
        .address_space:  global
        .offset:         48
        .size:           8
        .value_kind:     global_buffer
      - .actual_access:  read_only
        .address_space:  global
        .offset:         56
        .size:           8
        .value_kind:     global_buffer
      - .actual_access:  read_only
        .address_space:  global
        .offset:         64
        .size:           8
        .value_kind:     global_buffer
      - .actual_access:  read_only
        .address_space:  global
        .offset:         72
        .size:           8
        .value_kind:     global_buffer
      - .actual_access:  read_only
        .address_space:  global
        .offset:         80
        .size:           8
        .value_kind:     global_buffer
      - .offset:         88
        .size:           16
        .value_kind:     by_value
      - .address_space:  global
        .offset:         104
        .size:           8
        .value_kind:     global_buffer
      - .offset:         112
        .size:           4
        .value_kind:     by_value
      - .offset:         116
        .size:           1
        .value_kind:     by_value
    .group_segment_fixed_size: 6400
    .kernarg_segment_align: 8
    .kernarg_segment_size: 120
    .language:       OpenCL C
    .language_version:
      - 2
      - 0
    .max_flat_workgroup_size: 400
    .name:           _ZN9rocsparseL20bsrxmvn_17_32_kernelILj20E21rocsparse_complex_numIdElldS2_S2_EEvT2_20rocsparse_direction_NS_24const_host_device_scalarIT0_EES3_PKS3_PKT1_SC_S9_PKT3_PKT4_S7_PT5_21rocsparse_index_base_b
    .private_segment_fixed_size: 0
    .sgpr_count:     26
    .sgpr_spill_count: 0
    .symbol:         _ZN9rocsparseL20bsrxmvn_17_32_kernelILj20E21rocsparse_complex_numIdElldS2_S2_EEvT2_20rocsparse_direction_NS_24const_host_device_scalarIT0_EES3_PKS3_PKT1_SC_S9_PKT3_PKT4_S7_PT5_21rocsparse_index_base_b.kd
    .uniform_work_group_size: 1
    .uses_dynamic_stack: false
    .vgpr_count:     29
    .vgpr_spill_count: 0
    .wavefront_size: 64
  - .args:
      - .offset:         0
        .size:           8
        .value_kind:     by_value
      - .offset:         8
        .size:           4
        .value_kind:     by_value
      - .offset:         16
        .size:           16
        .value_kind:     by_value
      - .offset:         32
        .size:           8
        .value_kind:     by_value
      - .actual_access:  read_only
        .address_space:  global
        .offset:         40
        .size:           8
        .value_kind:     global_buffer
      - .actual_access:  read_only
        .address_space:  global
        .offset:         48
        .size:           8
        .value_kind:     global_buffer
      - .actual_access:  read_only
        .address_space:  global
        .offset:         56
        .size:           8
        .value_kind:     global_buffer
      - .actual_access:  read_only
        .address_space:  global
        .offset:         64
        .size:           8
        .value_kind:     global_buffer
      - .actual_access:  read_only
        .address_space:  global
        .offset:         72
        .size:           8
        .value_kind:     global_buffer
      - .actual_access:  read_only
        .address_space:  global
        .offset:         80
        .size:           8
        .value_kind:     global_buffer
      - .offset:         88
        .size:           16
        .value_kind:     by_value
      - .address_space:  global
        .offset:         104
        .size:           8
        .value_kind:     global_buffer
      - .offset:         112
        .size:           4
        .value_kind:     by_value
      - .offset:         116
        .size:           1
        .value_kind:     by_value
    .group_segment_fixed_size: 7056
    .kernarg_segment_align: 8
    .kernarg_segment_size: 120
    .language:       OpenCL C
    .language_version:
      - 2
      - 0
    .max_flat_workgroup_size: 441
    .name:           _ZN9rocsparseL20bsrxmvn_17_32_kernelILj21E21rocsparse_complex_numIdElldS2_S2_EEvT2_20rocsparse_direction_NS_24const_host_device_scalarIT0_EES3_PKS3_PKT1_SC_S9_PKT3_PKT4_S7_PT5_21rocsparse_index_base_b
    .private_segment_fixed_size: 0
    .sgpr_count:     26
    .sgpr_spill_count: 0
    .symbol:         _ZN9rocsparseL20bsrxmvn_17_32_kernelILj21E21rocsparse_complex_numIdElldS2_S2_EEvT2_20rocsparse_direction_NS_24const_host_device_scalarIT0_EES3_PKS3_PKT1_SC_S9_PKT3_PKT4_S7_PT5_21rocsparse_index_base_b.kd
    .uniform_work_group_size: 1
    .uses_dynamic_stack: false
    .vgpr_count:     29
    .vgpr_spill_count: 0
    .wavefront_size: 64
  - .args:
      - .offset:         0
        .size:           8
        .value_kind:     by_value
      - .offset:         8
        .size:           4
        .value_kind:     by_value
      - .offset:         16
        .size:           16
        .value_kind:     by_value
      - .offset:         32
        .size:           8
        .value_kind:     by_value
      - .actual_access:  read_only
        .address_space:  global
        .offset:         40
        .size:           8
        .value_kind:     global_buffer
      - .actual_access:  read_only
        .address_space:  global
        .offset:         48
        .size:           8
        .value_kind:     global_buffer
      - .actual_access:  read_only
        .address_space:  global
        .offset:         56
        .size:           8
        .value_kind:     global_buffer
      - .actual_access:  read_only
        .address_space:  global
        .offset:         64
        .size:           8
        .value_kind:     global_buffer
      - .actual_access:  read_only
        .address_space:  global
        .offset:         72
        .size:           8
        .value_kind:     global_buffer
      - .actual_access:  read_only
        .address_space:  global
        .offset:         80
        .size:           8
        .value_kind:     global_buffer
      - .offset:         88
        .size:           16
        .value_kind:     by_value
      - .address_space:  global
        .offset:         104
        .size:           8
        .value_kind:     global_buffer
      - .offset:         112
        .size:           4
        .value_kind:     by_value
      - .offset:         116
        .size:           1
        .value_kind:     by_value
    .group_segment_fixed_size: 7744
    .kernarg_segment_align: 8
    .kernarg_segment_size: 120
    .language:       OpenCL C
    .language_version:
      - 2
      - 0
    .max_flat_workgroup_size: 484
    .name:           _ZN9rocsparseL20bsrxmvn_17_32_kernelILj22E21rocsparse_complex_numIdElldS2_S2_EEvT2_20rocsparse_direction_NS_24const_host_device_scalarIT0_EES3_PKS3_PKT1_SC_S9_PKT3_PKT4_S7_PT5_21rocsparse_index_base_b
    .private_segment_fixed_size: 0
    .sgpr_count:     26
    .sgpr_spill_count: 0
    .symbol:         _ZN9rocsparseL20bsrxmvn_17_32_kernelILj22E21rocsparse_complex_numIdElldS2_S2_EEvT2_20rocsparse_direction_NS_24const_host_device_scalarIT0_EES3_PKS3_PKT1_SC_S9_PKT3_PKT4_S7_PT5_21rocsparse_index_base_b.kd
    .uniform_work_group_size: 1
    .uses_dynamic_stack: false
    .vgpr_count:     29
    .vgpr_spill_count: 0
    .wavefront_size: 64
  - .args:
      - .offset:         0
        .size:           8
        .value_kind:     by_value
      - .offset:         8
        .size:           4
        .value_kind:     by_value
      - .offset:         16
        .size:           16
        .value_kind:     by_value
      - .offset:         32
        .size:           8
        .value_kind:     by_value
      - .actual_access:  read_only
        .address_space:  global
        .offset:         40
        .size:           8
        .value_kind:     global_buffer
      - .actual_access:  read_only
        .address_space:  global
        .offset:         48
        .size:           8
        .value_kind:     global_buffer
      - .actual_access:  read_only
        .address_space:  global
        .offset:         56
        .size:           8
        .value_kind:     global_buffer
      - .actual_access:  read_only
        .address_space:  global
        .offset:         64
        .size:           8
        .value_kind:     global_buffer
      - .actual_access:  read_only
        .address_space:  global
        .offset:         72
        .size:           8
        .value_kind:     global_buffer
      - .actual_access:  read_only
        .address_space:  global
        .offset:         80
        .size:           8
        .value_kind:     global_buffer
      - .offset:         88
        .size:           16
        .value_kind:     by_value
      - .address_space:  global
        .offset:         104
        .size:           8
        .value_kind:     global_buffer
      - .offset:         112
        .size:           4
        .value_kind:     by_value
      - .offset:         116
        .size:           1
        .value_kind:     by_value
    .group_segment_fixed_size: 8464
    .kernarg_segment_align: 8
    .kernarg_segment_size: 120
    .language:       OpenCL C
    .language_version:
      - 2
      - 0
    .max_flat_workgroup_size: 529
    .name:           _ZN9rocsparseL20bsrxmvn_17_32_kernelILj23E21rocsparse_complex_numIdElldS2_S2_EEvT2_20rocsparse_direction_NS_24const_host_device_scalarIT0_EES3_PKS3_PKT1_SC_S9_PKT3_PKT4_S7_PT5_21rocsparse_index_base_b
    .private_segment_fixed_size: 0
    .sgpr_count:     26
    .sgpr_spill_count: 0
    .symbol:         _ZN9rocsparseL20bsrxmvn_17_32_kernelILj23E21rocsparse_complex_numIdElldS2_S2_EEvT2_20rocsparse_direction_NS_24const_host_device_scalarIT0_EES3_PKS3_PKT1_SC_S9_PKT3_PKT4_S7_PT5_21rocsparse_index_base_b.kd
    .uniform_work_group_size: 1
    .uses_dynamic_stack: false
    .vgpr_count:     29
    .vgpr_spill_count: 0
    .wavefront_size: 64
  - .args:
      - .offset:         0
        .size:           8
        .value_kind:     by_value
      - .offset:         8
        .size:           4
        .value_kind:     by_value
      - .offset:         16
        .size:           16
        .value_kind:     by_value
      - .offset:         32
        .size:           8
        .value_kind:     by_value
      - .actual_access:  read_only
        .address_space:  global
        .offset:         40
        .size:           8
        .value_kind:     global_buffer
      - .actual_access:  read_only
        .address_space:  global
        .offset:         48
        .size:           8
        .value_kind:     global_buffer
      - .actual_access:  read_only
        .address_space:  global
        .offset:         56
        .size:           8
        .value_kind:     global_buffer
      - .actual_access:  read_only
        .address_space:  global
        .offset:         64
        .size:           8
        .value_kind:     global_buffer
      - .actual_access:  read_only
        .address_space:  global
        .offset:         72
        .size:           8
        .value_kind:     global_buffer
      - .actual_access:  read_only
        .address_space:  global
        .offset:         80
        .size:           8
        .value_kind:     global_buffer
      - .offset:         88
        .size:           16
        .value_kind:     by_value
      - .address_space:  global
        .offset:         104
        .size:           8
        .value_kind:     global_buffer
      - .offset:         112
        .size:           4
        .value_kind:     by_value
      - .offset:         116
        .size:           1
        .value_kind:     by_value
    .group_segment_fixed_size: 9216
    .kernarg_segment_align: 8
    .kernarg_segment_size: 120
    .language:       OpenCL C
    .language_version:
      - 2
      - 0
    .max_flat_workgroup_size: 576
    .name:           _ZN9rocsparseL20bsrxmvn_17_32_kernelILj24E21rocsparse_complex_numIdElldS2_S2_EEvT2_20rocsparse_direction_NS_24const_host_device_scalarIT0_EES3_PKS3_PKT1_SC_S9_PKT3_PKT4_S7_PT5_21rocsparse_index_base_b
    .private_segment_fixed_size: 0
    .sgpr_count:     26
    .sgpr_spill_count: 0
    .symbol:         _ZN9rocsparseL20bsrxmvn_17_32_kernelILj24E21rocsparse_complex_numIdElldS2_S2_EEvT2_20rocsparse_direction_NS_24const_host_device_scalarIT0_EES3_PKS3_PKT1_SC_S9_PKT3_PKT4_S7_PT5_21rocsparse_index_base_b.kd
    .uniform_work_group_size: 1
    .uses_dynamic_stack: false
    .vgpr_count:     29
    .vgpr_spill_count: 0
    .wavefront_size: 64
  - .args:
      - .offset:         0
        .size:           8
        .value_kind:     by_value
      - .offset:         8
        .size:           4
        .value_kind:     by_value
      - .offset:         16
        .size:           16
        .value_kind:     by_value
      - .offset:         32
        .size:           8
        .value_kind:     by_value
      - .actual_access:  read_only
        .address_space:  global
        .offset:         40
        .size:           8
        .value_kind:     global_buffer
      - .actual_access:  read_only
        .address_space:  global
        .offset:         48
        .size:           8
        .value_kind:     global_buffer
      - .actual_access:  read_only
        .address_space:  global
        .offset:         56
        .size:           8
        .value_kind:     global_buffer
      - .actual_access:  read_only
        .address_space:  global
        .offset:         64
        .size:           8
        .value_kind:     global_buffer
      - .actual_access:  read_only
        .address_space:  global
        .offset:         72
        .size:           8
        .value_kind:     global_buffer
      - .actual_access:  read_only
        .address_space:  global
        .offset:         80
        .size:           8
        .value_kind:     global_buffer
      - .offset:         88
        .size:           16
        .value_kind:     by_value
      - .address_space:  global
        .offset:         104
        .size:           8
        .value_kind:     global_buffer
      - .offset:         112
        .size:           4
        .value_kind:     by_value
      - .offset:         116
        .size:           1
        .value_kind:     by_value
    .group_segment_fixed_size: 10000
    .kernarg_segment_align: 8
    .kernarg_segment_size: 120
    .language:       OpenCL C
    .language_version:
      - 2
      - 0
    .max_flat_workgroup_size: 625
    .name:           _ZN9rocsparseL20bsrxmvn_17_32_kernelILj25E21rocsparse_complex_numIdElldS2_S2_EEvT2_20rocsparse_direction_NS_24const_host_device_scalarIT0_EES3_PKS3_PKT1_SC_S9_PKT3_PKT4_S7_PT5_21rocsparse_index_base_b
    .private_segment_fixed_size: 0
    .sgpr_count:     26
    .sgpr_spill_count: 0
    .symbol:         _ZN9rocsparseL20bsrxmvn_17_32_kernelILj25E21rocsparse_complex_numIdElldS2_S2_EEvT2_20rocsparse_direction_NS_24const_host_device_scalarIT0_EES3_PKS3_PKT1_SC_S9_PKT3_PKT4_S7_PT5_21rocsparse_index_base_b.kd
    .uniform_work_group_size: 1
    .uses_dynamic_stack: false
    .vgpr_count:     29
    .vgpr_spill_count: 0
    .wavefront_size: 64
  - .args:
      - .offset:         0
        .size:           8
        .value_kind:     by_value
      - .offset:         8
        .size:           4
        .value_kind:     by_value
      - .offset:         16
        .size:           16
        .value_kind:     by_value
      - .offset:         32
        .size:           8
        .value_kind:     by_value
      - .actual_access:  read_only
        .address_space:  global
        .offset:         40
        .size:           8
        .value_kind:     global_buffer
      - .actual_access:  read_only
        .address_space:  global
        .offset:         48
        .size:           8
        .value_kind:     global_buffer
      - .actual_access:  read_only
        .address_space:  global
        .offset:         56
        .size:           8
        .value_kind:     global_buffer
      - .actual_access:  read_only
        .address_space:  global
        .offset:         64
        .size:           8
        .value_kind:     global_buffer
      - .actual_access:  read_only
        .address_space:  global
        .offset:         72
        .size:           8
        .value_kind:     global_buffer
      - .actual_access:  read_only
        .address_space:  global
        .offset:         80
        .size:           8
        .value_kind:     global_buffer
      - .offset:         88
        .size:           16
        .value_kind:     by_value
      - .address_space:  global
        .offset:         104
        .size:           8
        .value_kind:     global_buffer
      - .offset:         112
        .size:           4
        .value_kind:     by_value
      - .offset:         116
        .size:           1
        .value_kind:     by_value
    .group_segment_fixed_size: 10816
    .kernarg_segment_align: 8
    .kernarg_segment_size: 120
    .language:       OpenCL C
    .language_version:
      - 2
      - 0
    .max_flat_workgroup_size: 676
    .name:           _ZN9rocsparseL20bsrxmvn_17_32_kernelILj26E21rocsparse_complex_numIdElldS2_S2_EEvT2_20rocsparse_direction_NS_24const_host_device_scalarIT0_EES3_PKS3_PKT1_SC_S9_PKT3_PKT4_S7_PT5_21rocsparse_index_base_b
    .private_segment_fixed_size: 0
    .sgpr_count:     26
    .sgpr_spill_count: 0
    .symbol:         _ZN9rocsparseL20bsrxmvn_17_32_kernelILj26E21rocsparse_complex_numIdElldS2_S2_EEvT2_20rocsparse_direction_NS_24const_host_device_scalarIT0_EES3_PKS3_PKT1_SC_S9_PKT3_PKT4_S7_PT5_21rocsparse_index_base_b.kd
    .uniform_work_group_size: 1
    .uses_dynamic_stack: false
    .vgpr_count:     29
    .vgpr_spill_count: 0
    .wavefront_size: 64
  - .args:
      - .offset:         0
        .size:           8
        .value_kind:     by_value
      - .offset:         8
        .size:           4
        .value_kind:     by_value
      - .offset:         16
        .size:           16
        .value_kind:     by_value
      - .offset:         32
        .size:           8
        .value_kind:     by_value
      - .actual_access:  read_only
        .address_space:  global
        .offset:         40
        .size:           8
        .value_kind:     global_buffer
      - .actual_access:  read_only
        .address_space:  global
        .offset:         48
        .size:           8
        .value_kind:     global_buffer
      - .actual_access:  read_only
        .address_space:  global
        .offset:         56
        .size:           8
        .value_kind:     global_buffer
      - .actual_access:  read_only
        .address_space:  global
        .offset:         64
        .size:           8
        .value_kind:     global_buffer
      - .actual_access:  read_only
        .address_space:  global
        .offset:         72
        .size:           8
        .value_kind:     global_buffer
      - .actual_access:  read_only
        .address_space:  global
        .offset:         80
        .size:           8
        .value_kind:     global_buffer
      - .offset:         88
        .size:           16
        .value_kind:     by_value
      - .address_space:  global
        .offset:         104
        .size:           8
        .value_kind:     global_buffer
      - .offset:         112
        .size:           4
        .value_kind:     by_value
      - .offset:         116
        .size:           1
        .value_kind:     by_value
    .group_segment_fixed_size: 11664
    .kernarg_segment_align: 8
    .kernarg_segment_size: 120
    .language:       OpenCL C
    .language_version:
      - 2
      - 0
    .max_flat_workgroup_size: 729
    .name:           _ZN9rocsparseL20bsrxmvn_17_32_kernelILj27E21rocsparse_complex_numIdElldS2_S2_EEvT2_20rocsparse_direction_NS_24const_host_device_scalarIT0_EES3_PKS3_PKT1_SC_S9_PKT3_PKT4_S7_PT5_21rocsparse_index_base_b
    .private_segment_fixed_size: 0
    .sgpr_count:     26
    .sgpr_spill_count: 0
    .symbol:         _ZN9rocsparseL20bsrxmvn_17_32_kernelILj27E21rocsparse_complex_numIdElldS2_S2_EEvT2_20rocsparse_direction_NS_24const_host_device_scalarIT0_EES3_PKS3_PKT1_SC_S9_PKT3_PKT4_S7_PT5_21rocsparse_index_base_b.kd
    .uniform_work_group_size: 1
    .uses_dynamic_stack: false
    .vgpr_count:     29
    .vgpr_spill_count: 0
    .wavefront_size: 64
  - .args:
      - .offset:         0
        .size:           8
        .value_kind:     by_value
      - .offset:         8
        .size:           4
        .value_kind:     by_value
      - .offset:         16
        .size:           16
        .value_kind:     by_value
      - .offset:         32
        .size:           8
        .value_kind:     by_value
      - .actual_access:  read_only
        .address_space:  global
        .offset:         40
        .size:           8
        .value_kind:     global_buffer
      - .actual_access:  read_only
        .address_space:  global
        .offset:         48
        .size:           8
        .value_kind:     global_buffer
      - .actual_access:  read_only
        .address_space:  global
        .offset:         56
        .size:           8
        .value_kind:     global_buffer
      - .actual_access:  read_only
        .address_space:  global
        .offset:         64
        .size:           8
        .value_kind:     global_buffer
      - .actual_access:  read_only
        .address_space:  global
        .offset:         72
        .size:           8
        .value_kind:     global_buffer
      - .actual_access:  read_only
        .address_space:  global
        .offset:         80
        .size:           8
        .value_kind:     global_buffer
      - .offset:         88
        .size:           16
        .value_kind:     by_value
      - .address_space:  global
        .offset:         104
        .size:           8
        .value_kind:     global_buffer
      - .offset:         112
        .size:           4
        .value_kind:     by_value
      - .offset:         116
        .size:           1
        .value_kind:     by_value
    .group_segment_fixed_size: 12544
    .kernarg_segment_align: 8
    .kernarg_segment_size: 120
    .language:       OpenCL C
    .language_version:
      - 2
      - 0
    .max_flat_workgroup_size: 784
    .name:           _ZN9rocsparseL20bsrxmvn_17_32_kernelILj28E21rocsparse_complex_numIdElldS2_S2_EEvT2_20rocsparse_direction_NS_24const_host_device_scalarIT0_EES3_PKS3_PKT1_SC_S9_PKT3_PKT4_S7_PT5_21rocsparse_index_base_b
    .private_segment_fixed_size: 0
    .sgpr_count:     26
    .sgpr_spill_count: 0
    .symbol:         _ZN9rocsparseL20bsrxmvn_17_32_kernelILj28E21rocsparse_complex_numIdElldS2_S2_EEvT2_20rocsparse_direction_NS_24const_host_device_scalarIT0_EES3_PKS3_PKT1_SC_S9_PKT3_PKT4_S7_PT5_21rocsparse_index_base_b.kd
    .uniform_work_group_size: 1
    .uses_dynamic_stack: false
    .vgpr_count:     29
    .vgpr_spill_count: 0
    .wavefront_size: 64
  - .args:
      - .offset:         0
        .size:           8
        .value_kind:     by_value
      - .offset:         8
        .size:           4
        .value_kind:     by_value
      - .offset:         16
        .size:           16
        .value_kind:     by_value
      - .offset:         32
        .size:           8
        .value_kind:     by_value
      - .actual_access:  read_only
        .address_space:  global
        .offset:         40
        .size:           8
        .value_kind:     global_buffer
      - .actual_access:  read_only
        .address_space:  global
        .offset:         48
        .size:           8
        .value_kind:     global_buffer
      - .actual_access:  read_only
        .address_space:  global
        .offset:         56
        .size:           8
        .value_kind:     global_buffer
      - .actual_access:  read_only
        .address_space:  global
        .offset:         64
        .size:           8
        .value_kind:     global_buffer
      - .actual_access:  read_only
        .address_space:  global
        .offset:         72
        .size:           8
        .value_kind:     global_buffer
      - .actual_access:  read_only
        .address_space:  global
        .offset:         80
        .size:           8
        .value_kind:     global_buffer
      - .offset:         88
        .size:           16
        .value_kind:     by_value
      - .address_space:  global
        .offset:         104
        .size:           8
        .value_kind:     global_buffer
      - .offset:         112
        .size:           4
        .value_kind:     by_value
      - .offset:         116
        .size:           1
        .value_kind:     by_value
    .group_segment_fixed_size: 13456
    .kernarg_segment_align: 8
    .kernarg_segment_size: 120
    .language:       OpenCL C
    .language_version:
      - 2
      - 0
    .max_flat_workgroup_size: 841
    .name:           _ZN9rocsparseL20bsrxmvn_17_32_kernelILj29E21rocsparse_complex_numIdElldS2_S2_EEvT2_20rocsparse_direction_NS_24const_host_device_scalarIT0_EES3_PKS3_PKT1_SC_S9_PKT3_PKT4_S7_PT5_21rocsparse_index_base_b
    .private_segment_fixed_size: 0
    .sgpr_count:     26
    .sgpr_spill_count: 0
    .symbol:         _ZN9rocsparseL20bsrxmvn_17_32_kernelILj29E21rocsparse_complex_numIdElldS2_S2_EEvT2_20rocsparse_direction_NS_24const_host_device_scalarIT0_EES3_PKS3_PKT1_SC_S9_PKT3_PKT4_S7_PT5_21rocsparse_index_base_b.kd
    .uniform_work_group_size: 1
    .uses_dynamic_stack: false
    .vgpr_count:     29
    .vgpr_spill_count: 0
    .wavefront_size: 64
  - .args:
      - .offset:         0
        .size:           8
        .value_kind:     by_value
      - .offset:         8
        .size:           4
        .value_kind:     by_value
      - .offset:         16
        .size:           16
        .value_kind:     by_value
      - .offset:         32
        .size:           8
        .value_kind:     by_value
      - .actual_access:  read_only
        .address_space:  global
        .offset:         40
        .size:           8
        .value_kind:     global_buffer
      - .actual_access:  read_only
        .address_space:  global
        .offset:         48
        .size:           8
        .value_kind:     global_buffer
      - .actual_access:  read_only
        .address_space:  global
        .offset:         56
        .size:           8
        .value_kind:     global_buffer
      - .actual_access:  read_only
        .address_space:  global
        .offset:         64
        .size:           8
        .value_kind:     global_buffer
      - .actual_access:  read_only
        .address_space:  global
        .offset:         72
        .size:           8
        .value_kind:     global_buffer
      - .actual_access:  read_only
        .address_space:  global
        .offset:         80
        .size:           8
        .value_kind:     global_buffer
      - .offset:         88
        .size:           16
        .value_kind:     by_value
      - .address_space:  global
        .offset:         104
        .size:           8
        .value_kind:     global_buffer
      - .offset:         112
        .size:           4
        .value_kind:     by_value
      - .offset:         116
        .size:           1
        .value_kind:     by_value
    .group_segment_fixed_size: 14400
    .kernarg_segment_align: 8
    .kernarg_segment_size: 120
    .language:       OpenCL C
    .language_version:
      - 2
      - 0
    .max_flat_workgroup_size: 900
    .name:           _ZN9rocsparseL20bsrxmvn_17_32_kernelILj30E21rocsparse_complex_numIdElldS2_S2_EEvT2_20rocsparse_direction_NS_24const_host_device_scalarIT0_EES3_PKS3_PKT1_SC_S9_PKT3_PKT4_S7_PT5_21rocsparse_index_base_b
    .private_segment_fixed_size: 0
    .sgpr_count:     26
    .sgpr_spill_count: 0
    .symbol:         _ZN9rocsparseL20bsrxmvn_17_32_kernelILj30E21rocsparse_complex_numIdElldS2_S2_EEvT2_20rocsparse_direction_NS_24const_host_device_scalarIT0_EES3_PKS3_PKT1_SC_S9_PKT3_PKT4_S7_PT5_21rocsparse_index_base_b.kd
    .uniform_work_group_size: 1
    .uses_dynamic_stack: false
    .vgpr_count:     29
    .vgpr_spill_count: 0
    .wavefront_size: 64
  - .args:
      - .offset:         0
        .size:           8
        .value_kind:     by_value
      - .offset:         8
        .size:           4
        .value_kind:     by_value
      - .offset:         16
        .size:           16
        .value_kind:     by_value
      - .offset:         32
        .size:           8
        .value_kind:     by_value
      - .actual_access:  read_only
        .address_space:  global
        .offset:         40
        .size:           8
        .value_kind:     global_buffer
      - .actual_access:  read_only
        .address_space:  global
        .offset:         48
        .size:           8
        .value_kind:     global_buffer
      - .actual_access:  read_only
        .address_space:  global
        .offset:         56
        .size:           8
        .value_kind:     global_buffer
      - .actual_access:  read_only
        .address_space:  global
        .offset:         64
        .size:           8
        .value_kind:     global_buffer
      - .actual_access:  read_only
        .address_space:  global
        .offset:         72
        .size:           8
        .value_kind:     global_buffer
      - .actual_access:  read_only
        .address_space:  global
        .offset:         80
        .size:           8
        .value_kind:     global_buffer
      - .offset:         88
        .size:           16
        .value_kind:     by_value
      - .address_space:  global
        .offset:         104
        .size:           8
        .value_kind:     global_buffer
      - .offset:         112
        .size:           4
        .value_kind:     by_value
      - .offset:         116
        .size:           1
        .value_kind:     by_value
    .group_segment_fixed_size: 15376
    .kernarg_segment_align: 8
    .kernarg_segment_size: 120
    .language:       OpenCL C
    .language_version:
      - 2
      - 0
    .max_flat_workgroup_size: 961
    .name:           _ZN9rocsparseL20bsrxmvn_17_32_kernelILj31E21rocsparse_complex_numIdElldS2_S2_EEvT2_20rocsparse_direction_NS_24const_host_device_scalarIT0_EES3_PKS3_PKT1_SC_S9_PKT3_PKT4_S7_PT5_21rocsparse_index_base_b
    .private_segment_fixed_size: 0
    .sgpr_count:     26
    .sgpr_spill_count: 0
    .symbol:         _ZN9rocsparseL20bsrxmvn_17_32_kernelILj31E21rocsparse_complex_numIdElldS2_S2_EEvT2_20rocsparse_direction_NS_24const_host_device_scalarIT0_EES3_PKS3_PKT1_SC_S9_PKT3_PKT4_S7_PT5_21rocsparse_index_base_b.kd
    .uniform_work_group_size: 1
    .uses_dynamic_stack: false
    .vgpr_count:     29
    .vgpr_spill_count: 0
    .wavefront_size: 64
  - .args:
      - .offset:         0
        .size:           8
        .value_kind:     by_value
      - .offset:         8
        .size:           4
        .value_kind:     by_value
      - .offset:         16
        .size:           16
        .value_kind:     by_value
      - .offset:         32
        .size:           8
        .value_kind:     by_value
      - .actual_access:  read_only
        .address_space:  global
        .offset:         40
        .size:           8
        .value_kind:     global_buffer
      - .actual_access:  read_only
        .address_space:  global
        .offset:         48
        .size:           8
        .value_kind:     global_buffer
      - .actual_access:  read_only
        .address_space:  global
        .offset:         56
        .size:           8
        .value_kind:     global_buffer
      - .actual_access:  read_only
        .address_space:  global
        .offset:         64
        .size:           8
        .value_kind:     global_buffer
      - .actual_access:  read_only
        .address_space:  global
        .offset:         72
        .size:           8
        .value_kind:     global_buffer
      - .actual_access:  read_only
        .address_space:  global
        .offset:         80
        .size:           8
        .value_kind:     global_buffer
      - .offset:         88
        .size:           16
        .value_kind:     by_value
      - .address_space:  global
        .offset:         104
        .size:           8
        .value_kind:     global_buffer
      - .offset:         112
        .size:           4
        .value_kind:     by_value
      - .offset:         116
        .size:           1
        .value_kind:     by_value
    .group_segment_fixed_size: 16384
    .kernarg_segment_align: 8
    .kernarg_segment_size: 120
    .language:       OpenCL C
    .language_version:
      - 2
      - 0
    .max_flat_workgroup_size: 1024
    .name:           _ZN9rocsparseL20bsrxmvn_17_32_kernelILj32E21rocsparse_complex_numIdElldS2_S2_EEvT2_20rocsparse_direction_NS_24const_host_device_scalarIT0_EES3_PKS3_PKT1_SC_S9_PKT3_PKT4_S7_PT5_21rocsparse_index_base_b
    .private_segment_fixed_size: 0
    .sgpr_count:     26
    .sgpr_spill_count: 0
    .symbol:         _ZN9rocsparseL20bsrxmvn_17_32_kernelILj32E21rocsparse_complex_numIdElldS2_S2_EEvT2_20rocsparse_direction_NS_24const_host_device_scalarIT0_EES3_PKS3_PKT1_SC_S9_PKT3_PKT4_S7_PT5_21rocsparse_index_base_b.kd
    .uniform_work_group_size: 1
    .uses_dynamic_stack: false
    .vgpr_count:     26
    .vgpr_spill_count: 0
    .wavefront_size: 64
  - .args:
      - .offset:         0
        .size:           4
        .value_kind:     by_value
      - .offset:         4
        .size:           4
        .value_kind:     by_value
      - .offset:         8
        .size:           8
        .value_kind:     by_value
      - .offset:         16
        .size:           4
        .value_kind:     by_value
      - .actual_access:  read_only
        .address_space:  global
        .offset:         24
        .size:           8
        .value_kind:     global_buffer
      - .actual_access:  read_only
        .address_space:  global
        .offset:         32
        .size:           8
        .value_kind:     global_buffer
      - .actual_access:  read_only
        .address_space:  global
        .offset:         40
        .size:           8
        .value_kind:     global_buffer
      - .actual_access:  read_only
        .address_space:  global
        .offset:         48
        .size:           8
        .value_kind:     global_buffer
      - .actual_access:  read_only
        .address_space:  global
        .offset:         56
        .size:           8
        .value_kind:     global_buffer
      - .actual_access:  read_only
        .address_space:  global
        .offset:         64
        .size:           8
        .value_kind:     global_buffer
      - .offset:         72
        .size:           8
        .value_kind:     by_value
      - .address_space:  global
        .offset:         80
        .size:           8
        .value_kind:     global_buffer
      - .offset:         88
        .size:           4
        .value_kind:     by_value
      - .offset:         92
        .size:           1
        .value_kind:     by_value
    .group_segment_fixed_size: 2312
    .kernarg_segment_align: 8
    .kernarg_segment_size: 96
    .language:       OpenCL C
    .language_version:
      - 2
      - 0
    .max_flat_workgroup_size: 289
    .name:           _ZN9rocsparseL20bsrxmvn_17_32_kernelILj17EdiifddEEvT2_20rocsparse_direction_NS_24const_host_device_scalarIT0_EES1_PKS1_PKT1_SA_S7_PKT3_PKT4_S5_PT5_21rocsparse_index_base_b
    .private_segment_fixed_size: 0
    .sgpr_count:     22
    .sgpr_spill_count: 0
    .symbol:         _ZN9rocsparseL20bsrxmvn_17_32_kernelILj17EdiifddEEvT2_20rocsparse_direction_NS_24const_host_device_scalarIT0_EES1_PKS1_PKT1_SA_S7_PKT3_PKT4_S5_PT5_21rocsparse_index_base_b.kd
    .uniform_work_group_size: 1
    .uses_dynamic_stack: false
    .vgpr_count:     17
    .vgpr_spill_count: 0
    .wavefront_size: 64
  - .args:
      - .offset:         0
        .size:           4
        .value_kind:     by_value
      - .offset:         4
        .size:           4
        .value_kind:     by_value
      - .offset:         8
        .size:           8
        .value_kind:     by_value
      - .offset:         16
        .size:           4
        .value_kind:     by_value
      - .actual_access:  read_only
        .address_space:  global
        .offset:         24
        .size:           8
        .value_kind:     global_buffer
      - .actual_access:  read_only
        .address_space:  global
        .offset:         32
        .size:           8
        .value_kind:     global_buffer
      - .actual_access:  read_only
        .address_space:  global
        .offset:         40
        .size:           8
        .value_kind:     global_buffer
      - .actual_access:  read_only
        .address_space:  global
        .offset:         48
        .size:           8
        .value_kind:     global_buffer
      - .actual_access:  read_only
        .address_space:  global
        .offset:         56
        .size:           8
        .value_kind:     global_buffer
      - .actual_access:  read_only
        .address_space:  global
        .offset:         64
        .size:           8
        .value_kind:     global_buffer
      - .offset:         72
        .size:           8
        .value_kind:     by_value
      - .address_space:  global
        .offset:         80
        .size:           8
        .value_kind:     global_buffer
      - .offset:         88
        .size:           4
        .value_kind:     by_value
      - .offset:         92
        .size:           1
        .value_kind:     by_value
    .group_segment_fixed_size: 2592
    .kernarg_segment_align: 8
    .kernarg_segment_size: 96
    .language:       OpenCL C
    .language_version:
      - 2
      - 0
    .max_flat_workgroup_size: 324
    .name:           _ZN9rocsparseL20bsrxmvn_17_32_kernelILj18EdiifddEEvT2_20rocsparse_direction_NS_24const_host_device_scalarIT0_EES1_PKS1_PKT1_SA_S7_PKT3_PKT4_S5_PT5_21rocsparse_index_base_b
    .private_segment_fixed_size: 0
    .sgpr_count:     22
    .sgpr_spill_count: 0
    .symbol:         _ZN9rocsparseL20bsrxmvn_17_32_kernelILj18EdiifddEEvT2_20rocsparse_direction_NS_24const_host_device_scalarIT0_EES1_PKS1_PKT1_SA_S7_PKT3_PKT4_S5_PT5_21rocsparse_index_base_b.kd
    .uniform_work_group_size: 1
    .uses_dynamic_stack: false
    .vgpr_count:     17
    .vgpr_spill_count: 0
    .wavefront_size: 64
  - .args:
      - .offset:         0
        .size:           4
        .value_kind:     by_value
      - .offset:         4
        .size:           4
        .value_kind:     by_value
      - .offset:         8
        .size:           8
        .value_kind:     by_value
      - .offset:         16
        .size:           4
        .value_kind:     by_value
      - .actual_access:  read_only
        .address_space:  global
        .offset:         24
        .size:           8
        .value_kind:     global_buffer
      - .actual_access:  read_only
        .address_space:  global
        .offset:         32
        .size:           8
        .value_kind:     global_buffer
      - .actual_access:  read_only
        .address_space:  global
        .offset:         40
        .size:           8
        .value_kind:     global_buffer
      - .actual_access:  read_only
        .address_space:  global
        .offset:         48
        .size:           8
        .value_kind:     global_buffer
      - .actual_access:  read_only
        .address_space:  global
        .offset:         56
        .size:           8
        .value_kind:     global_buffer
      - .actual_access:  read_only
        .address_space:  global
        .offset:         64
        .size:           8
        .value_kind:     global_buffer
      - .offset:         72
        .size:           8
        .value_kind:     by_value
      - .address_space:  global
        .offset:         80
        .size:           8
        .value_kind:     global_buffer
      - .offset:         88
        .size:           4
        .value_kind:     by_value
      - .offset:         92
        .size:           1
        .value_kind:     by_value
    .group_segment_fixed_size: 2888
    .kernarg_segment_align: 8
    .kernarg_segment_size: 96
    .language:       OpenCL C
    .language_version:
      - 2
      - 0
    .max_flat_workgroup_size: 361
    .name:           _ZN9rocsparseL20bsrxmvn_17_32_kernelILj19EdiifddEEvT2_20rocsparse_direction_NS_24const_host_device_scalarIT0_EES1_PKS1_PKT1_SA_S7_PKT3_PKT4_S5_PT5_21rocsparse_index_base_b
    .private_segment_fixed_size: 0
    .sgpr_count:     22
    .sgpr_spill_count: 0
    .symbol:         _ZN9rocsparseL20bsrxmvn_17_32_kernelILj19EdiifddEEvT2_20rocsparse_direction_NS_24const_host_device_scalarIT0_EES1_PKS1_PKT1_SA_S7_PKT3_PKT4_S5_PT5_21rocsparse_index_base_b.kd
    .uniform_work_group_size: 1
    .uses_dynamic_stack: false
    .vgpr_count:     17
    .vgpr_spill_count: 0
    .wavefront_size: 64
  - .args:
      - .offset:         0
        .size:           4
        .value_kind:     by_value
      - .offset:         4
        .size:           4
        .value_kind:     by_value
      - .offset:         8
        .size:           8
        .value_kind:     by_value
      - .offset:         16
        .size:           4
        .value_kind:     by_value
      - .actual_access:  read_only
        .address_space:  global
        .offset:         24
        .size:           8
        .value_kind:     global_buffer
      - .actual_access:  read_only
        .address_space:  global
        .offset:         32
        .size:           8
        .value_kind:     global_buffer
      - .actual_access:  read_only
        .address_space:  global
        .offset:         40
        .size:           8
        .value_kind:     global_buffer
      - .actual_access:  read_only
        .address_space:  global
        .offset:         48
        .size:           8
        .value_kind:     global_buffer
      - .actual_access:  read_only
        .address_space:  global
        .offset:         56
        .size:           8
        .value_kind:     global_buffer
      - .actual_access:  read_only
        .address_space:  global
        .offset:         64
        .size:           8
        .value_kind:     global_buffer
      - .offset:         72
        .size:           8
        .value_kind:     by_value
      - .address_space:  global
        .offset:         80
        .size:           8
        .value_kind:     global_buffer
      - .offset:         88
        .size:           4
        .value_kind:     by_value
      - .offset:         92
        .size:           1
        .value_kind:     by_value
    .group_segment_fixed_size: 3200
    .kernarg_segment_align: 8
    .kernarg_segment_size: 96
    .language:       OpenCL C
    .language_version:
      - 2
      - 0
    .max_flat_workgroup_size: 400
    .name:           _ZN9rocsparseL20bsrxmvn_17_32_kernelILj20EdiifddEEvT2_20rocsparse_direction_NS_24const_host_device_scalarIT0_EES1_PKS1_PKT1_SA_S7_PKT3_PKT4_S5_PT5_21rocsparse_index_base_b
    .private_segment_fixed_size: 0
    .sgpr_count:     22
    .sgpr_spill_count: 0
    .symbol:         _ZN9rocsparseL20bsrxmvn_17_32_kernelILj20EdiifddEEvT2_20rocsparse_direction_NS_24const_host_device_scalarIT0_EES1_PKS1_PKT1_SA_S7_PKT3_PKT4_S5_PT5_21rocsparse_index_base_b.kd
    .uniform_work_group_size: 1
    .uses_dynamic_stack: false
    .vgpr_count:     17
    .vgpr_spill_count: 0
    .wavefront_size: 64
  - .args:
      - .offset:         0
        .size:           4
        .value_kind:     by_value
      - .offset:         4
        .size:           4
        .value_kind:     by_value
      - .offset:         8
        .size:           8
        .value_kind:     by_value
      - .offset:         16
        .size:           4
        .value_kind:     by_value
      - .actual_access:  read_only
        .address_space:  global
        .offset:         24
        .size:           8
        .value_kind:     global_buffer
      - .actual_access:  read_only
        .address_space:  global
        .offset:         32
        .size:           8
        .value_kind:     global_buffer
      - .actual_access:  read_only
        .address_space:  global
        .offset:         40
        .size:           8
        .value_kind:     global_buffer
      - .actual_access:  read_only
        .address_space:  global
        .offset:         48
        .size:           8
        .value_kind:     global_buffer
      - .actual_access:  read_only
        .address_space:  global
        .offset:         56
        .size:           8
        .value_kind:     global_buffer
      - .actual_access:  read_only
        .address_space:  global
        .offset:         64
        .size:           8
        .value_kind:     global_buffer
      - .offset:         72
        .size:           8
        .value_kind:     by_value
      - .address_space:  global
        .offset:         80
        .size:           8
        .value_kind:     global_buffer
      - .offset:         88
        .size:           4
        .value_kind:     by_value
      - .offset:         92
        .size:           1
        .value_kind:     by_value
    .group_segment_fixed_size: 3528
    .kernarg_segment_align: 8
    .kernarg_segment_size: 96
    .language:       OpenCL C
    .language_version:
      - 2
      - 0
    .max_flat_workgroup_size: 441
    .name:           _ZN9rocsparseL20bsrxmvn_17_32_kernelILj21EdiifddEEvT2_20rocsparse_direction_NS_24const_host_device_scalarIT0_EES1_PKS1_PKT1_SA_S7_PKT3_PKT4_S5_PT5_21rocsparse_index_base_b
    .private_segment_fixed_size: 0
    .sgpr_count:     22
    .sgpr_spill_count: 0
    .symbol:         _ZN9rocsparseL20bsrxmvn_17_32_kernelILj21EdiifddEEvT2_20rocsparse_direction_NS_24const_host_device_scalarIT0_EES1_PKS1_PKT1_SA_S7_PKT3_PKT4_S5_PT5_21rocsparse_index_base_b.kd
    .uniform_work_group_size: 1
    .uses_dynamic_stack: false
    .vgpr_count:     17
    .vgpr_spill_count: 0
    .wavefront_size: 64
  - .args:
      - .offset:         0
        .size:           4
        .value_kind:     by_value
      - .offset:         4
        .size:           4
        .value_kind:     by_value
      - .offset:         8
        .size:           8
        .value_kind:     by_value
      - .offset:         16
        .size:           4
        .value_kind:     by_value
      - .actual_access:  read_only
        .address_space:  global
        .offset:         24
        .size:           8
        .value_kind:     global_buffer
      - .actual_access:  read_only
        .address_space:  global
        .offset:         32
        .size:           8
        .value_kind:     global_buffer
      - .actual_access:  read_only
        .address_space:  global
        .offset:         40
        .size:           8
        .value_kind:     global_buffer
      - .actual_access:  read_only
        .address_space:  global
        .offset:         48
        .size:           8
        .value_kind:     global_buffer
      - .actual_access:  read_only
        .address_space:  global
        .offset:         56
        .size:           8
        .value_kind:     global_buffer
      - .actual_access:  read_only
        .address_space:  global
        .offset:         64
        .size:           8
        .value_kind:     global_buffer
      - .offset:         72
        .size:           8
        .value_kind:     by_value
      - .address_space:  global
        .offset:         80
        .size:           8
        .value_kind:     global_buffer
      - .offset:         88
        .size:           4
        .value_kind:     by_value
      - .offset:         92
        .size:           1
        .value_kind:     by_value
    .group_segment_fixed_size: 3872
    .kernarg_segment_align: 8
    .kernarg_segment_size: 96
    .language:       OpenCL C
    .language_version:
      - 2
      - 0
    .max_flat_workgroup_size: 484
    .name:           _ZN9rocsparseL20bsrxmvn_17_32_kernelILj22EdiifddEEvT2_20rocsparse_direction_NS_24const_host_device_scalarIT0_EES1_PKS1_PKT1_SA_S7_PKT3_PKT4_S5_PT5_21rocsparse_index_base_b
    .private_segment_fixed_size: 0
    .sgpr_count:     22
    .sgpr_spill_count: 0
    .symbol:         _ZN9rocsparseL20bsrxmvn_17_32_kernelILj22EdiifddEEvT2_20rocsparse_direction_NS_24const_host_device_scalarIT0_EES1_PKS1_PKT1_SA_S7_PKT3_PKT4_S5_PT5_21rocsparse_index_base_b.kd
    .uniform_work_group_size: 1
    .uses_dynamic_stack: false
    .vgpr_count:     17
    .vgpr_spill_count: 0
    .wavefront_size: 64
  - .args:
      - .offset:         0
        .size:           4
        .value_kind:     by_value
      - .offset:         4
        .size:           4
        .value_kind:     by_value
      - .offset:         8
        .size:           8
        .value_kind:     by_value
      - .offset:         16
        .size:           4
        .value_kind:     by_value
      - .actual_access:  read_only
        .address_space:  global
        .offset:         24
        .size:           8
        .value_kind:     global_buffer
      - .actual_access:  read_only
        .address_space:  global
        .offset:         32
        .size:           8
        .value_kind:     global_buffer
      - .actual_access:  read_only
        .address_space:  global
        .offset:         40
        .size:           8
        .value_kind:     global_buffer
      - .actual_access:  read_only
        .address_space:  global
        .offset:         48
        .size:           8
        .value_kind:     global_buffer
      - .actual_access:  read_only
        .address_space:  global
        .offset:         56
        .size:           8
        .value_kind:     global_buffer
      - .actual_access:  read_only
        .address_space:  global
        .offset:         64
        .size:           8
        .value_kind:     global_buffer
      - .offset:         72
        .size:           8
        .value_kind:     by_value
      - .address_space:  global
        .offset:         80
        .size:           8
        .value_kind:     global_buffer
      - .offset:         88
        .size:           4
        .value_kind:     by_value
      - .offset:         92
        .size:           1
        .value_kind:     by_value
    .group_segment_fixed_size: 4232
    .kernarg_segment_align: 8
    .kernarg_segment_size: 96
    .language:       OpenCL C
    .language_version:
      - 2
      - 0
    .max_flat_workgroup_size: 529
    .name:           _ZN9rocsparseL20bsrxmvn_17_32_kernelILj23EdiifddEEvT2_20rocsparse_direction_NS_24const_host_device_scalarIT0_EES1_PKS1_PKT1_SA_S7_PKT3_PKT4_S5_PT5_21rocsparse_index_base_b
    .private_segment_fixed_size: 0
    .sgpr_count:     22
    .sgpr_spill_count: 0
    .symbol:         _ZN9rocsparseL20bsrxmvn_17_32_kernelILj23EdiifddEEvT2_20rocsparse_direction_NS_24const_host_device_scalarIT0_EES1_PKS1_PKT1_SA_S7_PKT3_PKT4_S5_PT5_21rocsparse_index_base_b.kd
    .uniform_work_group_size: 1
    .uses_dynamic_stack: false
    .vgpr_count:     17
    .vgpr_spill_count: 0
    .wavefront_size: 64
  - .args:
      - .offset:         0
        .size:           4
        .value_kind:     by_value
      - .offset:         4
        .size:           4
        .value_kind:     by_value
      - .offset:         8
        .size:           8
        .value_kind:     by_value
      - .offset:         16
        .size:           4
        .value_kind:     by_value
      - .actual_access:  read_only
        .address_space:  global
        .offset:         24
        .size:           8
        .value_kind:     global_buffer
      - .actual_access:  read_only
        .address_space:  global
        .offset:         32
        .size:           8
        .value_kind:     global_buffer
      - .actual_access:  read_only
        .address_space:  global
        .offset:         40
        .size:           8
        .value_kind:     global_buffer
      - .actual_access:  read_only
        .address_space:  global
        .offset:         48
        .size:           8
        .value_kind:     global_buffer
      - .actual_access:  read_only
        .address_space:  global
        .offset:         56
        .size:           8
        .value_kind:     global_buffer
      - .actual_access:  read_only
        .address_space:  global
        .offset:         64
        .size:           8
        .value_kind:     global_buffer
      - .offset:         72
        .size:           8
        .value_kind:     by_value
      - .address_space:  global
        .offset:         80
        .size:           8
        .value_kind:     global_buffer
      - .offset:         88
        .size:           4
        .value_kind:     by_value
      - .offset:         92
        .size:           1
        .value_kind:     by_value
    .group_segment_fixed_size: 4608
    .kernarg_segment_align: 8
    .kernarg_segment_size: 96
    .language:       OpenCL C
    .language_version:
      - 2
      - 0
    .max_flat_workgroup_size: 576
    .name:           _ZN9rocsparseL20bsrxmvn_17_32_kernelILj24EdiifddEEvT2_20rocsparse_direction_NS_24const_host_device_scalarIT0_EES1_PKS1_PKT1_SA_S7_PKT3_PKT4_S5_PT5_21rocsparse_index_base_b
    .private_segment_fixed_size: 0
    .sgpr_count:     22
    .sgpr_spill_count: 0
    .symbol:         _ZN9rocsparseL20bsrxmvn_17_32_kernelILj24EdiifddEEvT2_20rocsparse_direction_NS_24const_host_device_scalarIT0_EES1_PKS1_PKT1_SA_S7_PKT3_PKT4_S5_PT5_21rocsparse_index_base_b.kd
    .uniform_work_group_size: 1
    .uses_dynamic_stack: false
    .vgpr_count:     17
    .vgpr_spill_count: 0
    .wavefront_size: 64
  - .args:
      - .offset:         0
        .size:           4
        .value_kind:     by_value
      - .offset:         4
        .size:           4
        .value_kind:     by_value
      - .offset:         8
        .size:           8
        .value_kind:     by_value
      - .offset:         16
        .size:           4
        .value_kind:     by_value
      - .actual_access:  read_only
        .address_space:  global
        .offset:         24
        .size:           8
        .value_kind:     global_buffer
      - .actual_access:  read_only
        .address_space:  global
        .offset:         32
        .size:           8
        .value_kind:     global_buffer
      - .actual_access:  read_only
        .address_space:  global
        .offset:         40
        .size:           8
        .value_kind:     global_buffer
      - .actual_access:  read_only
        .address_space:  global
        .offset:         48
        .size:           8
        .value_kind:     global_buffer
      - .actual_access:  read_only
        .address_space:  global
        .offset:         56
        .size:           8
        .value_kind:     global_buffer
      - .actual_access:  read_only
        .address_space:  global
        .offset:         64
        .size:           8
        .value_kind:     global_buffer
      - .offset:         72
        .size:           8
        .value_kind:     by_value
      - .address_space:  global
        .offset:         80
        .size:           8
        .value_kind:     global_buffer
      - .offset:         88
        .size:           4
        .value_kind:     by_value
      - .offset:         92
        .size:           1
        .value_kind:     by_value
    .group_segment_fixed_size: 5000
    .kernarg_segment_align: 8
    .kernarg_segment_size: 96
    .language:       OpenCL C
    .language_version:
      - 2
      - 0
    .max_flat_workgroup_size: 625
    .name:           _ZN9rocsparseL20bsrxmvn_17_32_kernelILj25EdiifddEEvT2_20rocsparse_direction_NS_24const_host_device_scalarIT0_EES1_PKS1_PKT1_SA_S7_PKT3_PKT4_S5_PT5_21rocsparse_index_base_b
    .private_segment_fixed_size: 0
    .sgpr_count:     22
    .sgpr_spill_count: 0
    .symbol:         _ZN9rocsparseL20bsrxmvn_17_32_kernelILj25EdiifddEEvT2_20rocsparse_direction_NS_24const_host_device_scalarIT0_EES1_PKS1_PKT1_SA_S7_PKT3_PKT4_S5_PT5_21rocsparse_index_base_b.kd
    .uniform_work_group_size: 1
    .uses_dynamic_stack: false
    .vgpr_count:     17
    .vgpr_spill_count: 0
    .wavefront_size: 64
  - .args:
      - .offset:         0
        .size:           4
        .value_kind:     by_value
      - .offset:         4
        .size:           4
        .value_kind:     by_value
      - .offset:         8
        .size:           8
        .value_kind:     by_value
      - .offset:         16
        .size:           4
        .value_kind:     by_value
      - .actual_access:  read_only
        .address_space:  global
        .offset:         24
        .size:           8
        .value_kind:     global_buffer
      - .actual_access:  read_only
        .address_space:  global
        .offset:         32
        .size:           8
        .value_kind:     global_buffer
      - .actual_access:  read_only
        .address_space:  global
        .offset:         40
        .size:           8
        .value_kind:     global_buffer
      - .actual_access:  read_only
        .address_space:  global
        .offset:         48
        .size:           8
        .value_kind:     global_buffer
      - .actual_access:  read_only
        .address_space:  global
        .offset:         56
        .size:           8
        .value_kind:     global_buffer
      - .actual_access:  read_only
        .address_space:  global
        .offset:         64
        .size:           8
        .value_kind:     global_buffer
      - .offset:         72
        .size:           8
        .value_kind:     by_value
      - .address_space:  global
        .offset:         80
        .size:           8
        .value_kind:     global_buffer
      - .offset:         88
        .size:           4
        .value_kind:     by_value
      - .offset:         92
        .size:           1
        .value_kind:     by_value
    .group_segment_fixed_size: 5408
    .kernarg_segment_align: 8
    .kernarg_segment_size: 96
    .language:       OpenCL C
    .language_version:
      - 2
      - 0
    .max_flat_workgroup_size: 676
    .name:           _ZN9rocsparseL20bsrxmvn_17_32_kernelILj26EdiifddEEvT2_20rocsparse_direction_NS_24const_host_device_scalarIT0_EES1_PKS1_PKT1_SA_S7_PKT3_PKT4_S5_PT5_21rocsparse_index_base_b
    .private_segment_fixed_size: 0
    .sgpr_count:     22
    .sgpr_spill_count: 0
    .symbol:         _ZN9rocsparseL20bsrxmvn_17_32_kernelILj26EdiifddEEvT2_20rocsparse_direction_NS_24const_host_device_scalarIT0_EES1_PKS1_PKT1_SA_S7_PKT3_PKT4_S5_PT5_21rocsparse_index_base_b.kd
    .uniform_work_group_size: 1
    .uses_dynamic_stack: false
    .vgpr_count:     17
    .vgpr_spill_count: 0
    .wavefront_size: 64
  - .args:
      - .offset:         0
        .size:           4
        .value_kind:     by_value
      - .offset:         4
        .size:           4
        .value_kind:     by_value
      - .offset:         8
        .size:           8
        .value_kind:     by_value
      - .offset:         16
        .size:           4
        .value_kind:     by_value
      - .actual_access:  read_only
        .address_space:  global
        .offset:         24
        .size:           8
        .value_kind:     global_buffer
      - .actual_access:  read_only
        .address_space:  global
        .offset:         32
        .size:           8
        .value_kind:     global_buffer
      - .actual_access:  read_only
        .address_space:  global
        .offset:         40
        .size:           8
        .value_kind:     global_buffer
      - .actual_access:  read_only
        .address_space:  global
        .offset:         48
        .size:           8
        .value_kind:     global_buffer
      - .actual_access:  read_only
        .address_space:  global
        .offset:         56
        .size:           8
        .value_kind:     global_buffer
      - .actual_access:  read_only
        .address_space:  global
        .offset:         64
        .size:           8
        .value_kind:     global_buffer
      - .offset:         72
        .size:           8
        .value_kind:     by_value
      - .address_space:  global
        .offset:         80
        .size:           8
        .value_kind:     global_buffer
      - .offset:         88
        .size:           4
        .value_kind:     by_value
      - .offset:         92
        .size:           1
        .value_kind:     by_value
    .group_segment_fixed_size: 5832
    .kernarg_segment_align: 8
    .kernarg_segment_size: 96
    .language:       OpenCL C
    .language_version:
      - 2
      - 0
    .max_flat_workgroup_size: 729
    .name:           _ZN9rocsparseL20bsrxmvn_17_32_kernelILj27EdiifddEEvT2_20rocsparse_direction_NS_24const_host_device_scalarIT0_EES1_PKS1_PKT1_SA_S7_PKT3_PKT4_S5_PT5_21rocsparse_index_base_b
    .private_segment_fixed_size: 0
    .sgpr_count:     22
    .sgpr_spill_count: 0
    .symbol:         _ZN9rocsparseL20bsrxmvn_17_32_kernelILj27EdiifddEEvT2_20rocsparse_direction_NS_24const_host_device_scalarIT0_EES1_PKS1_PKT1_SA_S7_PKT3_PKT4_S5_PT5_21rocsparse_index_base_b.kd
    .uniform_work_group_size: 1
    .uses_dynamic_stack: false
    .vgpr_count:     17
    .vgpr_spill_count: 0
    .wavefront_size: 64
  - .args:
      - .offset:         0
        .size:           4
        .value_kind:     by_value
      - .offset:         4
        .size:           4
        .value_kind:     by_value
      - .offset:         8
        .size:           8
        .value_kind:     by_value
      - .offset:         16
        .size:           4
        .value_kind:     by_value
      - .actual_access:  read_only
        .address_space:  global
        .offset:         24
        .size:           8
        .value_kind:     global_buffer
      - .actual_access:  read_only
        .address_space:  global
        .offset:         32
        .size:           8
        .value_kind:     global_buffer
      - .actual_access:  read_only
        .address_space:  global
        .offset:         40
        .size:           8
        .value_kind:     global_buffer
      - .actual_access:  read_only
        .address_space:  global
        .offset:         48
        .size:           8
        .value_kind:     global_buffer
      - .actual_access:  read_only
        .address_space:  global
        .offset:         56
        .size:           8
        .value_kind:     global_buffer
      - .actual_access:  read_only
        .address_space:  global
        .offset:         64
        .size:           8
        .value_kind:     global_buffer
      - .offset:         72
        .size:           8
        .value_kind:     by_value
      - .address_space:  global
        .offset:         80
        .size:           8
        .value_kind:     global_buffer
      - .offset:         88
        .size:           4
        .value_kind:     by_value
      - .offset:         92
        .size:           1
        .value_kind:     by_value
    .group_segment_fixed_size: 6272
    .kernarg_segment_align: 8
    .kernarg_segment_size: 96
    .language:       OpenCL C
    .language_version:
      - 2
      - 0
    .max_flat_workgroup_size: 784
    .name:           _ZN9rocsparseL20bsrxmvn_17_32_kernelILj28EdiifddEEvT2_20rocsparse_direction_NS_24const_host_device_scalarIT0_EES1_PKS1_PKT1_SA_S7_PKT3_PKT4_S5_PT5_21rocsparse_index_base_b
    .private_segment_fixed_size: 0
    .sgpr_count:     22
    .sgpr_spill_count: 0
    .symbol:         _ZN9rocsparseL20bsrxmvn_17_32_kernelILj28EdiifddEEvT2_20rocsparse_direction_NS_24const_host_device_scalarIT0_EES1_PKS1_PKT1_SA_S7_PKT3_PKT4_S5_PT5_21rocsparse_index_base_b.kd
    .uniform_work_group_size: 1
    .uses_dynamic_stack: false
    .vgpr_count:     17
    .vgpr_spill_count: 0
    .wavefront_size: 64
  - .args:
      - .offset:         0
        .size:           4
        .value_kind:     by_value
      - .offset:         4
        .size:           4
        .value_kind:     by_value
      - .offset:         8
        .size:           8
        .value_kind:     by_value
      - .offset:         16
        .size:           4
        .value_kind:     by_value
      - .actual_access:  read_only
        .address_space:  global
        .offset:         24
        .size:           8
        .value_kind:     global_buffer
      - .actual_access:  read_only
        .address_space:  global
        .offset:         32
        .size:           8
        .value_kind:     global_buffer
      - .actual_access:  read_only
        .address_space:  global
        .offset:         40
        .size:           8
        .value_kind:     global_buffer
      - .actual_access:  read_only
        .address_space:  global
        .offset:         48
        .size:           8
        .value_kind:     global_buffer
      - .actual_access:  read_only
        .address_space:  global
        .offset:         56
        .size:           8
        .value_kind:     global_buffer
      - .actual_access:  read_only
        .address_space:  global
        .offset:         64
        .size:           8
        .value_kind:     global_buffer
      - .offset:         72
        .size:           8
        .value_kind:     by_value
      - .address_space:  global
        .offset:         80
        .size:           8
        .value_kind:     global_buffer
      - .offset:         88
        .size:           4
        .value_kind:     by_value
      - .offset:         92
        .size:           1
        .value_kind:     by_value
    .group_segment_fixed_size: 6728
    .kernarg_segment_align: 8
    .kernarg_segment_size: 96
    .language:       OpenCL C
    .language_version:
      - 2
      - 0
    .max_flat_workgroup_size: 841
    .name:           _ZN9rocsparseL20bsrxmvn_17_32_kernelILj29EdiifddEEvT2_20rocsparse_direction_NS_24const_host_device_scalarIT0_EES1_PKS1_PKT1_SA_S7_PKT3_PKT4_S5_PT5_21rocsparse_index_base_b
    .private_segment_fixed_size: 0
    .sgpr_count:     22
    .sgpr_spill_count: 0
    .symbol:         _ZN9rocsparseL20bsrxmvn_17_32_kernelILj29EdiifddEEvT2_20rocsparse_direction_NS_24const_host_device_scalarIT0_EES1_PKS1_PKT1_SA_S7_PKT3_PKT4_S5_PT5_21rocsparse_index_base_b.kd
    .uniform_work_group_size: 1
    .uses_dynamic_stack: false
    .vgpr_count:     17
    .vgpr_spill_count: 0
    .wavefront_size: 64
  - .args:
      - .offset:         0
        .size:           4
        .value_kind:     by_value
      - .offset:         4
        .size:           4
        .value_kind:     by_value
      - .offset:         8
        .size:           8
        .value_kind:     by_value
      - .offset:         16
        .size:           4
        .value_kind:     by_value
      - .actual_access:  read_only
        .address_space:  global
        .offset:         24
        .size:           8
        .value_kind:     global_buffer
      - .actual_access:  read_only
        .address_space:  global
        .offset:         32
        .size:           8
        .value_kind:     global_buffer
      - .actual_access:  read_only
        .address_space:  global
        .offset:         40
        .size:           8
        .value_kind:     global_buffer
      - .actual_access:  read_only
        .address_space:  global
        .offset:         48
        .size:           8
        .value_kind:     global_buffer
      - .actual_access:  read_only
        .address_space:  global
        .offset:         56
        .size:           8
        .value_kind:     global_buffer
      - .actual_access:  read_only
        .address_space:  global
        .offset:         64
        .size:           8
        .value_kind:     global_buffer
      - .offset:         72
        .size:           8
        .value_kind:     by_value
      - .address_space:  global
        .offset:         80
        .size:           8
        .value_kind:     global_buffer
      - .offset:         88
        .size:           4
        .value_kind:     by_value
      - .offset:         92
        .size:           1
        .value_kind:     by_value
    .group_segment_fixed_size: 7200
    .kernarg_segment_align: 8
    .kernarg_segment_size: 96
    .language:       OpenCL C
    .language_version:
      - 2
      - 0
    .max_flat_workgroup_size: 900
    .name:           _ZN9rocsparseL20bsrxmvn_17_32_kernelILj30EdiifddEEvT2_20rocsparse_direction_NS_24const_host_device_scalarIT0_EES1_PKS1_PKT1_SA_S7_PKT3_PKT4_S5_PT5_21rocsparse_index_base_b
    .private_segment_fixed_size: 0
    .sgpr_count:     22
    .sgpr_spill_count: 0
    .symbol:         _ZN9rocsparseL20bsrxmvn_17_32_kernelILj30EdiifddEEvT2_20rocsparse_direction_NS_24const_host_device_scalarIT0_EES1_PKS1_PKT1_SA_S7_PKT3_PKT4_S5_PT5_21rocsparse_index_base_b.kd
    .uniform_work_group_size: 1
    .uses_dynamic_stack: false
    .vgpr_count:     17
    .vgpr_spill_count: 0
    .wavefront_size: 64
  - .args:
      - .offset:         0
        .size:           4
        .value_kind:     by_value
      - .offset:         4
        .size:           4
        .value_kind:     by_value
      - .offset:         8
        .size:           8
        .value_kind:     by_value
      - .offset:         16
        .size:           4
        .value_kind:     by_value
      - .actual_access:  read_only
        .address_space:  global
        .offset:         24
        .size:           8
        .value_kind:     global_buffer
      - .actual_access:  read_only
        .address_space:  global
        .offset:         32
        .size:           8
        .value_kind:     global_buffer
      - .actual_access:  read_only
        .address_space:  global
        .offset:         40
        .size:           8
        .value_kind:     global_buffer
      - .actual_access:  read_only
        .address_space:  global
        .offset:         48
        .size:           8
        .value_kind:     global_buffer
      - .actual_access:  read_only
        .address_space:  global
        .offset:         56
        .size:           8
        .value_kind:     global_buffer
      - .actual_access:  read_only
        .address_space:  global
        .offset:         64
        .size:           8
        .value_kind:     global_buffer
      - .offset:         72
        .size:           8
        .value_kind:     by_value
      - .address_space:  global
        .offset:         80
        .size:           8
        .value_kind:     global_buffer
      - .offset:         88
        .size:           4
        .value_kind:     by_value
      - .offset:         92
        .size:           1
        .value_kind:     by_value
    .group_segment_fixed_size: 7688
    .kernarg_segment_align: 8
    .kernarg_segment_size: 96
    .language:       OpenCL C
    .language_version:
      - 2
      - 0
    .max_flat_workgroup_size: 961
    .name:           _ZN9rocsparseL20bsrxmvn_17_32_kernelILj31EdiifddEEvT2_20rocsparse_direction_NS_24const_host_device_scalarIT0_EES1_PKS1_PKT1_SA_S7_PKT3_PKT4_S5_PT5_21rocsparse_index_base_b
    .private_segment_fixed_size: 0
    .sgpr_count:     22
    .sgpr_spill_count: 0
    .symbol:         _ZN9rocsparseL20bsrxmvn_17_32_kernelILj31EdiifddEEvT2_20rocsparse_direction_NS_24const_host_device_scalarIT0_EES1_PKS1_PKT1_SA_S7_PKT3_PKT4_S5_PT5_21rocsparse_index_base_b.kd
    .uniform_work_group_size: 1
    .uses_dynamic_stack: false
    .vgpr_count:     17
    .vgpr_spill_count: 0
    .wavefront_size: 64
  - .args:
      - .offset:         0
        .size:           4
        .value_kind:     by_value
      - .offset:         4
        .size:           4
        .value_kind:     by_value
      - .offset:         8
        .size:           8
        .value_kind:     by_value
      - .offset:         16
        .size:           4
        .value_kind:     by_value
      - .actual_access:  read_only
        .address_space:  global
        .offset:         24
        .size:           8
        .value_kind:     global_buffer
      - .actual_access:  read_only
        .address_space:  global
        .offset:         32
        .size:           8
        .value_kind:     global_buffer
      - .actual_access:  read_only
        .address_space:  global
        .offset:         40
        .size:           8
        .value_kind:     global_buffer
      - .actual_access:  read_only
        .address_space:  global
        .offset:         48
        .size:           8
        .value_kind:     global_buffer
      - .actual_access:  read_only
        .address_space:  global
        .offset:         56
        .size:           8
        .value_kind:     global_buffer
      - .actual_access:  read_only
        .address_space:  global
        .offset:         64
        .size:           8
        .value_kind:     global_buffer
      - .offset:         72
        .size:           8
        .value_kind:     by_value
      - .address_space:  global
        .offset:         80
        .size:           8
        .value_kind:     global_buffer
      - .offset:         88
        .size:           4
        .value_kind:     by_value
      - .offset:         92
        .size:           1
        .value_kind:     by_value
    .group_segment_fixed_size: 8192
    .kernarg_segment_align: 8
    .kernarg_segment_size: 96
    .language:       OpenCL C
    .language_version:
      - 2
      - 0
    .max_flat_workgroup_size: 1024
    .name:           _ZN9rocsparseL20bsrxmvn_17_32_kernelILj32EdiifddEEvT2_20rocsparse_direction_NS_24const_host_device_scalarIT0_EES1_PKS1_PKT1_SA_S7_PKT3_PKT4_S5_PT5_21rocsparse_index_base_b
    .private_segment_fixed_size: 0
    .sgpr_count:     22
    .sgpr_spill_count: 0
    .symbol:         _ZN9rocsparseL20bsrxmvn_17_32_kernelILj32EdiifddEEvT2_20rocsparse_direction_NS_24const_host_device_scalarIT0_EES1_PKS1_PKT1_SA_S7_PKT3_PKT4_S5_PT5_21rocsparse_index_base_b.kd
    .uniform_work_group_size: 1
    .uses_dynamic_stack: false
    .vgpr_count:     16
    .vgpr_spill_count: 0
    .wavefront_size: 64
  - .args:
      - .offset:         0
        .size:           4
        .value_kind:     by_value
      - .offset:         4
        .size:           4
        .value_kind:     by_value
      - .offset:         8
        .size:           8
        .value_kind:     by_value
      - .offset:         16
        .size:           4
        .value_kind:     by_value
      - .actual_access:  read_only
        .address_space:  global
        .offset:         24
        .size:           8
        .value_kind:     global_buffer
      - .actual_access:  read_only
        .address_space:  global
        .offset:         32
        .size:           8
        .value_kind:     global_buffer
      - .actual_access:  read_only
        .address_space:  global
        .offset:         40
        .size:           8
        .value_kind:     global_buffer
      - .actual_access:  read_only
        .address_space:  global
        .offset:         48
        .size:           8
        .value_kind:     global_buffer
      - .actual_access:  read_only
        .address_space:  global
        .offset:         56
        .size:           8
        .value_kind:     global_buffer
      - .actual_access:  read_only
        .address_space:  global
        .offset:         64
        .size:           8
        .value_kind:     global_buffer
      - .offset:         72
        .size:           8
        .value_kind:     by_value
      - .address_space:  global
        .offset:         80
        .size:           8
        .value_kind:     global_buffer
      - .offset:         88
        .size:           4
        .value_kind:     by_value
      - .offset:         92
        .size:           1
        .value_kind:     by_value
    .group_segment_fixed_size: 2312
    .kernarg_segment_align: 8
    .kernarg_segment_size: 96
    .language:       OpenCL C
    .language_version:
      - 2
      - 0
    .max_flat_workgroup_size: 289
    .name:           _ZN9rocsparseL20bsrxmvn_17_32_kernelILj17EdlifddEEvT2_20rocsparse_direction_NS_24const_host_device_scalarIT0_EES1_PKS1_PKT1_SA_S7_PKT3_PKT4_S5_PT5_21rocsparse_index_base_b
    .private_segment_fixed_size: 0
    .sgpr_count:     26
    .sgpr_spill_count: 0
    .symbol:         _ZN9rocsparseL20bsrxmvn_17_32_kernelILj17EdlifddEEvT2_20rocsparse_direction_NS_24const_host_device_scalarIT0_EES1_PKS1_PKT1_SA_S7_PKT3_PKT4_S5_PT5_21rocsparse_index_base_b.kd
    .uniform_work_group_size: 1
    .uses_dynamic_stack: false
    .vgpr_count:     18
    .vgpr_spill_count: 0
    .wavefront_size: 64
  - .args:
      - .offset:         0
        .size:           4
        .value_kind:     by_value
      - .offset:         4
        .size:           4
        .value_kind:     by_value
      - .offset:         8
        .size:           8
        .value_kind:     by_value
      - .offset:         16
        .size:           4
        .value_kind:     by_value
      - .actual_access:  read_only
        .address_space:  global
        .offset:         24
        .size:           8
        .value_kind:     global_buffer
      - .actual_access:  read_only
        .address_space:  global
        .offset:         32
        .size:           8
        .value_kind:     global_buffer
      - .actual_access:  read_only
        .address_space:  global
        .offset:         40
        .size:           8
        .value_kind:     global_buffer
      - .actual_access:  read_only
        .address_space:  global
        .offset:         48
        .size:           8
        .value_kind:     global_buffer
      - .actual_access:  read_only
        .address_space:  global
        .offset:         56
        .size:           8
        .value_kind:     global_buffer
      - .actual_access:  read_only
        .address_space:  global
        .offset:         64
        .size:           8
        .value_kind:     global_buffer
      - .offset:         72
        .size:           8
        .value_kind:     by_value
      - .address_space:  global
        .offset:         80
        .size:           8
        .value_kind:     global_buffer
      - .offset:         88
        .size:           4
        .value_kind:     by_value
      - .offset:         92
        .size:           1
        .value_kind:     by_value
    .group_segment_fixed_size: 2592
    .kernarg_segment_align: 8
    .kernarg_segment_size: 96
    .language:       OpenCL C
    .language_version:
      - 2
      - 0
    .max_flat_workgroup_size: 324
    .name:           _ZN9rocsparseL20bsrxmvn_17_32_kernelILj18EdlifddEEvT2_20rocsparse_direction_NS_24const_host_device_scalarIT0_EES1_PKS1_PKT1_SA_S7_PKT3_PKT4_S5_PT5_21rocsparse_index_base_b
    .private_segment_fixed_size: 0
    .sgpr_count:     26
    .sgpr_spill_count: 0
    .symbol:         _ZN9rocsparseL20bsrxmvn_17_32_kernelILj18EdlifddEEvT2_20rocsparse_direction_NS_24const_host_device_scalarIT0_EES1_PKS1_PKT1_SA_S7_PKT3_PKT4_S5_PT5_21rocsparse_index_base_b.kd
    .uniform_work_group_size: 1
    .uses_dynamic_stack: false
    .vgpr_count:     18
    .vgpr_spill_count: 0
    .wavefront_size: 64
  - .args:
      - .offset:         0
        .size:           4
        .value_kind:     by_value
      - .offset:         4
        .size:           4
        .value_kind:     by_value
      - .offset:         8
        .size:           8
        .value_kind:     by_value
      - .offset:         16
        .size:           4
        .value_kind:     by_value
      - .actual_access:  read_only
        .address_space:  global
        .offset:         24
        .size:           8
        .value_kind:     global_buffer
      - .actual_access:  read_only
        .address_space:  global
        .offset:         32
        .size:           8
        .value_kind:     global_buffer
      - .actual_access:  read_only
        .address_space:  global
        .offset:         40
        .size:           8
        .value_kind:     global_buffer
      - .actual_access:  read_only
        .address_space:  global
        .offset:         48
        .size:           8
        .value_kind:     global_buffer
      - .actual_access:  read_only
        .address_space:  global
        .offset:         56
        .size:           8
        .value_kind:     global_buffer
      - .actual_access:  read_only
        .address_space:  global
        .offset:         64
        .size:           8
        .value_kind:     global_buffer
      - .offset:         72
        .size:           8
        .value_kind:     by_value
      - .address_space:  global
        .offset:         80
        .size:           8
        .value_kind:     global_buffer
      - .offset:         88
        .size:           4
        .value_kind:     by_value
      - .offset:         92
        .size:           1
        .value_kind:     by_value
    .group_segment_fixed_size: 2888
    .kernarg_segment_align: 8
    .kernarg_segment_size: 96
    .language:       OpenCL C
    .language_version:
      - 2
      - 0
    .max_flat_workgroup_size: 361
    .name:           _ZN9rocsparseL20bsrxmvn_17_32_kernelILj19EdlifddEEvT2_20rocsparse_direction_NS_24const_host_device_scalarIT0_EES1_PKS1_PKT1_SA_S7_PKT3_PKT4_S5_PT5_21rocsparse_index_base_b
    .private_segment_fixed_size: 0
    .sgpr_count:     26
    .sgpr_spill_count: 0
    .symbol:         _ZN9rocsparseL20bsrxmvn_17_32_kernelILj19EdlifddEEvT2_20rocsparse_direction_NS_24const_host_device_scalarIT0_EES1_PKS1_PKT1_SA_S7_PKT3_PKT4_S5_PT5_21rocsparse_index_base_b.kd
    .uniform_work_group_size: 1
    .uses_dynamic_stack: false
    .vgpr_count:     20
    .vgpr_spill_count: 0
    .wavefront_size: 64
  - .args:
      - .offset:         0
        .size:           4
        .value_kind:     by_value
      - .offset:         4
        .size:           4
        .value_kind:     by_value
      - .offset:         8
        .size:           8
        .value_kind:     by_value
      - .offset:         16
        .size:           4
        .value_kind:     by_value
      - .actual_access:  read_only
        .address_space:  global
        .offset:         24
        .size:           8
        .value_kind:     global_buffer
      - .actual_access:  read_only
        .address_space:  global
        .offset:         32
        .size:           8
        .value_kind:     global_buffer
      - .actual_access:  read_only
        .address_space:  global
        .offset:         40
        .size:           8
        .value_kind:     global_buffer
      - .actual_access:  read_only
        .address_space:  global
        .offset:         48
        .size:           8
        .value_kind:     global_buffer
      - .actual_access:  read_only
        .address_space:  global
        .offset:         56
        .size:           8
        .value_kind:     global_buffer
      - .actual_access:  read_only
        .address_space:  global
        .offset:         64
        .size:           8
        .value_kind:     global_buffer
      - .offset:         72
        .size:           8
        .value_kind:     by_value
      - .address_space:  global
        .offset:         80
        .size:           8
        .value_kind:     global_buffer
      - .offset:         88
        .size:           4
        .value_kind:     by_value
      - .offset:         92
        .size:           1
        .value_kind:     by_value
    .group_segment_fixed_size: 3200
    .kernarg_segment_align: 8
    .kernarg_segment_size: 96
    .language:       OpenCL C
    .language_version:
      - 2
      - 0
    .max_flat_workgroup_size: 400
    .name:           _ZN9rocsparseL20bsrxmvn_17_32_kernelILj20EdlifddEEvT2_20rocsparse_direction_NS_24const_host_device_scalarIT0_EES1_PKS1_PKT1_SA_S7_PKT3_PKT4_S5_PT5_21rocsparse_index_base_b
    .private_segment_fixed_size: 0
    .sgpr_count:     26
    .sgpr_spill_count: 0
    .symbol:         _ZN9rocsparseL20bsrxmvn_17_32_kernelILj20EdlifddEEvT2_20rocsparse_direction_NS_24const_host_device_scalarIT0_EES1_PKS1_PKT1_SA_S7_PKT3_PKT4_S5_PT5_21rocsparse_index_base_b.kd
    .uniform_work_group_size: 1
    .uses_dynamic_stack: false
    .vgpr_count:     20
    .vgpr_spill_count: 0
    .wavefront_size: 64
  - .args:
      - .offset:         0
        .size:           4
        .value_kind:     by_value
      - .offset:         4
        .size:           4
        .value_kind:     by_value
      - .offset:         8
        .size:           8
        .value_kind:     by_value
      - .offset:         16
        .size:           4
        .value_kind:     by_value
      - .actual_access:  read_only
        .address_space:  global
        .offset:         24
        .size:           8
        .value_kind:     global_buffer
      - .actual_access:  read_only
        .address_space:  global
        .offset:         32
        .size:           8
        .value_kind:     global_buffer
      - .actual_access:  read_only
        .address_space:  global
        .offset:         40
        .size:           8
        .value_kind:     global_buffer
      - .actual_access:  read_only
        .address_space:  global
        .offset:         48
        .size:           8
        .value_kind:     global_buffer
      - .actual_access:  read_only
        .address_space:  global
        .offset:         56
        .size:           8
        .value_kind:     global_buffer
      - .actual_access:  read_only
        .address_space:  global
        .offset:         64
        .size:           8
        .value_kind:     global_buffer
      - .offset:         72
        .size:           8
        .value_kind:     by_value
      - .address_space:  global
        .offset:         80
        .size:           8
        .value_kind:     global_buffer
      - .offset:         88
        .size:           4
        .value_kind:     by_value
      - .offset:         92
        .size:           1
        .value_kind:     by_value
    .group_segment_fixed_size: 3528
    .kernarg_segment_align: 8
    .kernarg_segment_size: 96
    .language:       OpenCL C
    .language_version:
      - 2
      - 0
    .max_flat_workgroup_size: 441
    .name:           _ZN9rocsparseL20bsrxmvn_17_32_kernelILj21EdlifddEEvT2_20rocsparse_direction_NS_24const_host_device_scalarIT0_EES1_PKS1_PKT1_SA_S7_PKT3_PKT4_S5_PT5_21rocsparse_index_base_b
    .private_segment_fixed_size: 0
    .sgpr_count:     26
    .sgpr_spill_count: 0
    .symbol:         _ZN9rocsparseL20bsrxmvn_17_32_kernelILj21EdlifddEEvT2_20rocsparse_direction_NS_24const_host_device_scalarIT0_EES1_PKS1_PKT1_SA_S7_PKT3_PKT4_S5_PT5_21rocsparse_index_base_b.kd
    .uniform_work_group_size: 1
    .uses_dynamic_stack: false
    .vgpr_count:     20
    .vgpr_spill_count: 0
    .wavefront_size: 64
  - .args:
      - .offset:         0
        .size:           4
        .value_kind:     by_value
      - .offset:         4
        .size:           4
        .value_kind:     by_value
      - .offset:         8
        .size:           8
        .value_kind:     by_value
      - .offset:         16
        .size:           4
        .value_kind:     by_value
      - .actual_access:  read_only
        .address_space:  global
        .offset:         24
        .size:           8
        .value_kind:     global_buffer
      - .actual_access:  read_only
        .address_space:  global
        .offset:         32
        .size:           8
        .value_kind:     global_buffer
      - .actual_access:  read_only
        .address_space:  global
        .offset:         40
        .size:           8
        .value_kind:     global_buffer
      - .actual_access:  read_only
        .address_space:  global
        .offset:         48
        .size:           8
        .value_kind:     global_buffer
      - .actual_access:  read_only
        .address_space:  global
        .offset:         56
        .size:           8
        .value_kind:     global_buffer
      - .actual_access:  read_only
        .address_space:  global
        .offset:         64
        .size:           8
        .value_kind:     global_buffer
      - .offset:         72
        .size:           8
        .value_kind:     by_value
      - .address_space:  global
        .offset:         80
        .size:           8
        .value_kind:     global_buffer
      - .offset:         88
        .size:           4
        .value_kind:     by_value
      - .offset:         92
        .size:           1
        .value_kind:     by_value
    .group_segment_fixed_size: 3872
    .kernarg_segment_align: 8
    .kernarg_segment_size: 96
    .language:       OpenCL C
    .language_version:
      - 2
      - 0
    .max_flat_workgroup_size: 484
    .name:           _ZN9rocsparseL20bsrxmvn_17_32_kernelILj22EdlifddEEvT2_20rocsparse_direction_NS_24const_host_device_scalarIT0_EES1_PKS1_PKT1_SA_S7_PKT3_PKT4_S5_PT5_21rocsparse_index_base_b
    .private_segment_fixed_size: 0
    .sgpr_count:     26
    .sgpr_spill_count: 0
    .symbol:         _ZN9rocsparseL20bsrxmvn_17_32_kernelILj22EdlifddEEvT2_20rocsparse_direction_NS_24const_host_device_scalarIT0_EES1_PKS1_PKT1_SA_S7_PKT3_PKT4_S5_PT5_21rocsparse_index_base_b.kd
    .uniform_work_group_size: 1
    .uses_dynamic_stack: false
    .vgpr_count:     20
    .vgpr_spill_count: 0
    .wavefront_size: 64
  - .args:
      - .offset:         0
        .size:           4
        .value_kind:     by_value
      - .offset:         4
        .size:           4
        .value_kind:     by_value
      - .offset:         8
        .size:           8
        .value_kind:     by_value
      - .offset:         16
        .size:           4
        .value_kind:     by_value
      - .actual_access:  read_only
        .address_space:  global
        .offset:         24
        .size:           8
        .value_kind:     global_buffer
      - .actual_access:  read_only
        .address_space:  global
        .offset:         32
        .size:           8
        .value_kind:     global_buffer
      - .actual_access:  read_only
        .address_space:  global
        .offset:         40
        .size:           8
        .value_kind:     global_buffer
      - .actual_access:  read_only
        .address_space:  global
        .offset:         48
        .size:           8
        .value_kind:     global_buffer
      - .actual_access:  read_only
        .address_space:  global
        .offset:         56
        .size:           8
        .value_kind:     global_buffer
      - .actual_access:  read_only
        .address_space:  global
        .offset:         64
        .size:           8
        .value_kind:     global_buffer
      - .offset:         72
        .size:           8
        .value_kind:     by_value
      - .address_space:  global
        .offset:         80
        .size:           8
        .value_kind:     global_buffer
      - .offset:         88
        .size:           4
        .value_kind:     by_value
      - .offset:         92
        .size:           1
        .value_kind:     by_value
    .group_segment_fixed_size: 4232
    .kernarg_segment_align: 8
    .kernarg_segment_size: 96
    .language:       OpenCL C
    .language_version:
      - 2
      - 0
    .max_flat_workgroup_size: 529
    .name:           _ZN9rocsparseL20bsrxmvn_17_32_kernelILj23EdlifddEEvT2_20rocsparse_direction_NS_24const_host_device_scalarIT0_EES1_PKS1_PKT1_SA_S7_PKT3_PKT4_S5_PT5_21rocsparse_index_base_b
    .private_segment_fixed_size: 0
    .sgpr_count:     26
    .sgpr_spill_count: 0
    .symbol:         _ZN9rocsparseL20bsrxmvn_17_32_kernelILj23EdlifddEEvT2_20rocsparse_direction_NS_24const_host_device_scalarIT0_EES1_PKS1_PKT1_SA_S7_PKT3_PKT4_S5_PT5_21rocsparse_index_base_b.kd
    .uniform_work_group_size: 1
    .uses_dynamic_stack: false
    .vgpr_count:     20
    .vgpr_spill_count: 0
    .wavefront_size: 64
  - .args:
      - .offset:         0
        .size:           4
        .value_kind:     by_value
      - .offset:         4
        .size:           4
        .value_kind:     by_value
      - .offset:         8
        .size:           8
        .value_kind:     by_value
      - .offset:         16
        .size:           4
        .value_kind:     by_value
      - .actual_access:  read_only
        .address_space:  global
        .offset:         24
        .size:           8
        .value_kind:     global_buffer
      - .actual_access:  read_only
        .address_space:  global
        .offset:         32
        .size:           8
        .value_kind:     global_buffer
      - .actual_access:  read_only
        .address_space:  global
        .offset:         40
        .size:           8
        .value_kind:     global_buffer
      - .actual_access:  read_only
        .address_space:  global
        .offset:         48
        .size:           8
        .value_kind:     global_buffer
      - .actual_access:  read_only
        .address_space:  global
        .offset:         56
        .size:           8
        .value_kind:     global_buffer
      - .actual_access:  read_only
        .address_space:  global
        .offset:         64
        .size:           8
        .value_kind:     global_buffer
      - .offset:         72
        .size:           8
        .value_kind:     by_value
      - .address_space:  global
        .offset:         80
        .size:           8
        .value_kind:     global_buffer
      - .offset:         88
        .size:           4
        .value_kind:     by_value
      - .offset:         92
        .size:           1
        .value_kind:     by_value
    .group_segment_fixed_size: 4608
    .kernarg_segment_align: 8
    .kernarg_segment_size: 96
    .language:       OpenCL C
    .language_version:
      - 2
      - 0
    .max_flat_workgroup_size: 576
    .name:           _ZN9rocsparseL20bsrxmvn_17_32_kernelILj24EdlifddEEvT2_20rocsparse_direction_NS_24const_host_device_scalarIT0_EES1_PKS1_PKT1_SA_S7_PKT3_PKT4_S5_PT5_21rocsparse_index_base_b
    .private_segment_fixed_size: 0
    .sgpr_count:     26
    .sgpr_spill_count: 0
    .symbol:         _ZN9rocsparseL20bsrxmvn_17_32_kernelILj24EdlifddEEvT2_20rocsparse_direction_NS_24const_host_device_scalarIT0_EES1_PKS1_PKT1_SA_S7_PKT3_PKT4_S5_PT5_21rocsparse_index_base_b.kd
    .uniform_work_group_size: 1
    .uses_dynamic_stack: false
    .vgpr_count:     20
    .vgpr_spill_count: 0
    .wavefront_size: 64
  - .args:
      - .offset:         0
        .size:           4
        .value_kind:     by_value
      - .offset:         4
        .size:           4
        .value_kind:     by_value
      - .offset:         8
        .size:           8
        .value_kind:     by_value
      - .offset:         16
        .size:           4
        .value_kind:     by_value
      - .actual_access:  read_only
        .address_space:  global
        .offset:         24
        .size:           8
        .value_kind:     global_buffer
      - .actual_access:  read_only
        .address_space:  global
        .offset:         32
        .size:           8
        .value_kind:     global_buffer
      - .actual_access:  read_only
        .address_space:  global
        .offset:         40
        .size:           8
        .value_kind:     global_buffer
      - .actual_access:  read_only
        .address_space:  global
        .offset:         48
        .size:           8
        .value_kind:     global_buffer
      - .actual_access:  read_only
        .address_space:  global
        .offset:         56
        .size:           8
        .value_kind:     global_buffer
      - .actual_access:  read_only
        .address_space:  global
        .offset:         64
        .size:           8
        .value_kind:     global_buffer
      - .offset:         72
        .size:           8
        .value_kind:     by_value
      - .address_space:  global
        .offset:         80
        .size:           8
        .value_kind:     global_buffer
      - .offset:         88
        .size:           4
        .value_kind:     by_value
      - .offset:         92
        .size:           1
        .value_kind:     by_value
    .group_segment_fixed_size: 5000
    .kernarg_segment_align: 8
    .kernarg_segment_size: 96
    .language:       OpenCL C
    .language_version:
      - 2
      - 0
    .max_flat_workgroup_size: 625
    .name:           _ZN9rocsparseL20bsrxmvn_17_32_kernelILj25EdlifddEEvT2_20rocsparse_direction_NS_24const_host_device_scalarIT0_EES1_PKS1_PKT1_SA_S7_PKT3_PKT4_S5_PT5_21rocsparse_index_base_b
    .private_segment_fixed_size: 0
    .sgpr_count:     26
    .sgpr_spill_count: 0
    .symbol:         _ZN9rocsparseL20bsrxmvn_17_32_kernelILj25EdlifddEEvT2_20rocsparse_direction_NS_24const_host_device_scalarIT0_EES1_PKS1_PKT1_SA_S7_PKT3_PKT4_S5_PT5_21rocsparse_index_base_b.kd
    .uniform_work_group_size: 1
    .uses_dynamic_stack: false
    .vgpr_count:     20
    .vgpr_spill_count: 0
    .wavefront_size: 64
  - .args:
      - .offset:         0
        .size:           4
        .value_kind:     by_value
      - .offset:         4
        .size:           4
        .value_kind:     by_value
      - .offset:         8
        .size:           8
        .value_kind:     by_value
      - .offset:         16
        .size:           4
        .value_kind:     by_value
      - .actual_access:  read_only
        .address_space:  global
        .offset:         24
        .size:           8
        .value_kind:     global_buffer
      - .actual_access:  read_only
        .address_space:  global
        .offset:         32
        .size:           8
        .value_kind:     global_buffer
      - .actual_access:  read_only
        .address_space:  global
        .offset:         40
        .size:           8
        .value_kind:     global_buffer
      - .actual_access:  read_only
        .address_space:  global
        .offset:         48
        .size:           8
        .value_kind:     global_buffer
      - .actual_access:  read_only
        .address_space:  global
        .offset:         56
        .size:           8
        .value_kind:     global_buffer
      - .actual_access:  read_only
        .address_space:  global
        .offset:         64
        .size:           8
        .value_kind:     global_buffer
      - .offset:         72
        .size:           8
        .value_kind:     by_value
      - .address_space:  global
        .offset:         80
        .size:           8
        .value_kind:     global_buffer
      - .offset:         88
        .size:           4
        .value_kind:     by_value
      - .offset:         92
        .size:           1
        .value_kind:     by_value
    .group_segment_fixed_size: 5408
    .kernarg_segment_align: 8
    .kernarg_segment_size: 96
    .language:       OpenCL C
    .language_version:
      - 2
      - 0
    .max_flat_workgroup_size: 676
    .name:           _ZN9rocsparseL20bsrxmvn_17_32_kernelILj26EdlifddEEvT2_20rocsparse_direction_NS_24const_host_device_scalarIT0_EES1_PKS1_PKT1_SA_S7_PKT3_PKT4_S5_PT5_21rocsparse_index_base_b
    .private_segment_fixed_size: 0
    .sgpr_count:     26
    .sgpr_spill_count: 0
    .symbol:         _ZN9rocsparseL20bsrxmvn_17_32_kernelILj26EdlifddEEvT2_20rocsparse_direction_NS_24const_host_device_scalarIT0_EES1_PKS1_PKT1_SA_S7_PKT3_PKT4_S5_PT5_21rocsparse_index_base_b.kd
    .uniform_work_group_size: 1
    .uses_dynamic_stack: false
    .vgpr_count:     20
    .vgpr_spill_count: 0
    .wavefront_size: 64
  - .args:
      - .offset:         0
        .size:           4
        .value_kind:     by_value
      - .offset:         4
        .size:           4
        .value_kind:     by_value
      - .offset:         8
        .size:           8
        .value_kind:     by_value
      - .offset:         16
        .size:           4
        .value_kind:     by_value
      - .actual_access:  read_only
        .address_space:  global
        .offset:         24
        .size:           8
        .value_kind:     global_buffer
      - .actual_access:  read_only
        .address_space:  global
        .offset:         32
        .size:           8
        .value_kind:     global_buffer
      - .actual_access:  read_only
        .address_space:  global
        .offset:         40
        .size:           8
        .value_kind:     global_buffer
      - .actual_access:  read_only
        .address_space:  global
        .offset:         48
        .size:           8
        .value_kind:     global_buffer
      - .actual_access:  read_only
        .address_space:  global
        .offset:         56
        .size:           8
        .value_kind:     global_buffer
      - .actual_access:  read_only
        .address_space:  global
        .offset:         64
        .size:           8
        .value_kind:     global_buffer
      - .offset:         72
        .size:           8
        .value_kind:     by_value
      - .address_space:  global
        .offset:         80
        .size:           8
        .value_kind:     global_buffer
      - .offset:         88
        .size:           4
        .value_kind:     by_value
      - .offset:         92
        .size:           1
        .value_kind:     by_value
    .group_segment_fixed_size: 5832
    .kernarg_segment_align: 8
    .kernarg_segment_size: 96
    .language:       OpenCL C
    .language_version:
      - 2
      - 0
    .max_flat_workgroup_size: 729
    .name:           _ZN9rocsparseL20bsrxmvn_17_32_kernelILj27EdlifddEEvT2_20rocsparse_direction_NS_24const_host_device_scalarIT0_EES1_PKS1_PKT1_SA_S7_PKT3_PKT4_S5_PT5_21rocsparse_index_base_b
    .private_segment_fixed_size: 0
    .sgpr_count:     26
    .sgpr_spill_count: 0
    .symbol:         _ZN9rocsparseL20bsrxmvn_17_32_kernelILj27EdlifddEEvT2_20rocsparse_direction_NS_24const_host_device_scalarIT0_EES1_PKS1_PKT1_SA_S7_PKT3_PKT4_S5_PT5_21rocsparse_index_base_b.kd
    .uniform_work_group_size: 1
    .uses_dynamic_stack: false
    .vgpr_count:     20
    .vgpr_spill_count: 0
    .wavefront_size: 64
  - .args:
      - .offset:         0
        .size:           4
        .value_kind:     by_value
      - .offset:         4
        .size:           4
        .value_kind:     by_value
      - .offset:         8
        .size:           8
        .value_kind:     by_value
      - .offset:         16
        .size:           4
        .value_kind:     by_value
      - .actual_access:  read_only
        .address_space:  global
        .offset:         24
        .size:           8
        .value_kind:     global_buffer
      - .actual_access:  read_only
        .address_space:  global
        .offset:         32
        .size:           8
        .value_kind:     global_buffer
      - .actual_access:  read_only
        .address_space:  global
        .offset:         40
        .size:           8
        .value_kind:     global_buffer
      - .actual_access:  read_only
        .address_space:  global
        .offset:         48
        .size:           8
        .value_kind:     global_buffer
      - .actual_access:  read_only
        .address_space:  global
        .offset:         56
        .size:           8
        .value_kind:     global_buffer
      - .actual_access:  read_only
        .address_space:  global
        .offset:         64
        .size:           8
        .value_kind:     global_buffer
      - .offset:         72
        .size:           8
        .value_kind:     by_value
      - .address_space:  global
        .offset:         80
        .size:           8
        .value_kind:     global_buffer
      - .offset:         88
        .size:           4
        .value_kind:     by_value
      - .offset:         92
        .size:           1
        .value_kind:     by_value
    .group_segment_fixed_size: 6272
    .kernarg_segment_align: 8
    .kernarg_segment_size: 96
    .language:       OpenCL C
    .language_version:
      - 2
      - 0
    .max_flat_workgroup_size: 784
    .name:           _ZN9rocsparseL20bsrxmvn_17_32_kernelILj28EdlifddEEvT2_20rocsparse_direction_NS_24const_host_device_scalarIT0_EES1_PKS1_PKT1_SA_S7_PKT3_PKT4_S5_PT5_21rocsparse_index_base_b
    .private_segment_fixed_size: 0
    .sgpr_count:     26
    .sgpr_spill_count: 0
    .symbol:         _ZN9rocsparseL20bsrxmvn_17_32_kernelILj28EdlifddEEvT2_20rocsparse_direction_NS_24const_host_device_scalarIT0_EES1_PKS1_PKT1_SA_S7_PKT3_PKT4_S5_PT5_21rocsparse_index_base_b.kd
    .uniform_work_group_size: 1
    .uses_dynamic_stack: false
    .vgpr_count:     20
    .vgpr_spill_count: 0
    .wavefront_size: 64
  - .args:
      - .offset:         0
        .size:           4
        .value_kind:     by_value
      - .offset:         4
        .size:           4
        .value_kind:     by_value
      - .offset:         8
        .size:           8
        .value_kind:     by_value
      - .offset:         16
        .size:           4
        .value_kind:     by_value
      - .actual_access:  read_only
        .address_space:  global
        .offset:         24
        .size:           8
        .value_kind:     global_buffer
      - .actual_access:  read_only
        .address_space:  global
        .offset:         32
        .size:           8
        .value_kind:     global_buffer
      - .actual_access:  read_only
        .address_space:  global
        .offset:         40
        .size:           8
        .value_kind:     global_buffer
      - .actual_access:  read_only
        .address_space:  global
        .offset:         48
        .size:           8
        .value_kind:     global_buffer
      - .actual_access:  read_only
        .address_space:  global
        .offset:         56
        .size:           8
        .value_kind:     global_buffer
      - .actual_access:  read_only
        .address_space:  global
        .offset:         64
        .size:           8
        .value_kind:     global_buffer
      - .offset:         72
        .size:           8
        .value_kind:     by_value
      - .address_space:  global
        .offset:         80
        .size:           8
        .value_kind:     global_buffer
      - .offset:         88
        .size:           4
        .value_kind:     by_value
      - .offset:         92
        .size:           1
        .value_kind:     by_value
    .group_segment_fixed_size: 6728
    .kernarg_segment_align: 8
    .kernarg_segment_size: 96
    .language:       OpenCL C
    .language_version:
      - 2
      - 0
    .max_flat_workgroup_size: 841
    .name:           _ZN9rocsparseL20bsrxmvn_17_32_kernelILj29EdlifddEEvT2_20rocsparse_direction_NS_24const_host_device_scalarIT0_EES1_PKS1_PKT1_SA_S7_PKT3_PKT4_S5_PT5_21rocsparse_index_base_b
    .private_segment_fixed_size: 0
    .sgpr_count:     26
    .sgpr_spill_count: 0
    .symbol:         _ZN9rocsparseL20bsrxmvn_17_32_kernelILj29EdlifddEEvT2_20rocsparse_direction_NS_24const_host_device_scalarIT0_EES1_PKS1_PKT1_SA_S7_PKT3_PKT4_S5_PT5_21rocsparse_index_base_b.kd
    .uniform_work_group_size: 1
    .uses_dynamic_stack: false
    .vgpr_count:     20
    .vgpr_spill_count: 0
    .wavefront_size: 64
  - .args:
      - .offset:         0
        .size:           4
        .value_kind:     by_value
      - .offset:         4
        .size:           4
        .value_kind:     by_value
      - .offset:         8
        .size:           8
        .value_kind:     by_value
      - .offset:         16
        .size:           4
        .value_kind:     by_value
      - .actual_access:  read_only
        .address_space:  global
        .offset:         24
        .size:           8
        .value_kind:     global_buffer
      - .actual_access:  read_only
        .address_space:  global
        .offset:         32
        .size:           8
        .value_kind:     global_buffer
      - .actual_access:  read_only
        .address_space:  global
        .offset:         40
        .size:           8
        .value_kind:     global_buffer
      - .actual_access:  read_only
        .address_space:  global
        .offset:         48
        .size:           8
        .value_kind:     global_buffer
      - .actual_access:  read_only
        .address_space:  global
        .offset:         56
        .size:           8
        .value_kind:     global_buffer
      - .actual_access:  read_only
        .address_space:  global
        .offset:         64
        .size:           8
        .value_kind:     global_buffer
      - .offset:         72
        .size:           8
        .value_kind:     by_value
      - .address_space:  global
        .offset:         80
        .size:           8
        .value_kind:     global_buffer
      - .offset:         88
        .size:           4
        .value_kind:     by_value
      - .offset:         92
        .size:           1
        .value_kind:     by_value
    .group_segment_fixed_size: 7200
    .kernarg_segment_align: 8
    .kernarg_segment_size: 96
    .language:       OpenCL C
    .language_version:
      - 2
      - 0
    .max_flat_workgroup_size: 900
    .name:           _ZN9rocsparseL20bsrxmvn_17_32_kernelILj30EdlifddEEvT2_20rocsparse_direction_NS_24const_host_device_scalarIT0_EES1_PKS1_PKT1_SA_S7_PKT3_PKT4_S5_PT5_21rocsparse_index_base_b
    .private_segment_fixed_size: 0
    .sgpr_count:     26
    .sgpr_spill_count: 0
    .symbol:         _ZN9rocsparseL20bsrxmvn_17_32_kernelILj30EdlifddEEvT2_20rocsparse_direction_NS_24const_host_device_scalarIT0_EES1_PKS1_PKT1_SA_S7_PKT3_PKT4_S5_PT5_21rocsparse_index_base_b.kd
    .uniform_work_group_size: 1
    .uses_dynamic_stack: false
    .vgpr_count:     20
    .vgpr_spill_count: 0
    .wavefront_size: 64
  - .args:
      - .offset:         0
        .size:           4
        .value_kind:     by_value
      - .offset:         4
        .size:           4
        .value_kind:     by_value
      - .offset:         8
        .size:           8
        .value_kind:     by_value
      - .offset:         16
        .size:           4
        .value_kind:     by_value
      - .actual_access:  read_only
        .address_space:  global
        .offset:         24
        .size:           8
        .value_kind:     global_buffer
      - .actual_access:  read_only
        .address_space:  global
        .offset:         32
        .size:           8
        .value_kind:     global_buffer
      - .actual_access:  read_only
        .address_space:  global
        .offset:         40
        .size:           8
        .value_kind:     global_buffer
      - .actual_access:  read_only
        .address_space:  global
        .offset:         48
        .size:           8
        .value_kind:     global_buffer
      - .actual_access:  read_only
        .address_space:  global
        .offset:         56
        .size:           8
        .value_kind:     global_buffer
      - .actual_access:  read_only
        .address_space:  global
        .offset:         64
        .size:           8
        .value_kind:     global_buffer
      - .offset:         72
        .size:           8
        .value_kind:     by_value
      - .address_space:  global
        .offset:         80
        .size:           8
        .value_kind:     global_buffer
      - .offset:         88
        .size:           4
        .value_kind:     by_value
      - .offset:         92
        .size:           1
        .value_kind:     by_value
    .group_segment_fixed_size: 7688
    .kernarg_segment_align: 8
    .kernarg_segment_size: 96
    .language:       OpenCL C
    .language_version:
      - 2
      - 0
    .max_flat_workgroup_size: 961
    .name:           _ZN9rocsparseL20bsrxmvn_17_32_kernelILj31EdlifddEEvT2_20rocsparse_direction_NS_24const_host_device_scalarIT0_EES1_PKS1_PKT1_SA_S7_PKT3_PKT4_S5_PT5_21rocsparse_index_base_b
    .private_segment_fixed_size: 0
    .sgpr_count:     26
    .sgpr_spill_count: 0
    .symbol:         _ZN9rocsparseL20bsrxmvn_17_32_kernelILj31EdlifddEEvT2_20rocsparse_direction_NS_24const_host_device_scalarIT0_EES1_PKS1_PKT1_SA_S7_PKT3_PKT4_S5_PT5_21rocsparse_index_base_b.kd
    .uniform_work_group_size: 1
    .uses_dynamic_stack: false
    .vgpr_count:     20
    .vgpr_spill_count: 0
    .wavefront_size: 64
  - .args:
      - .offset:         0
        .size:           4
        .value_kind:     by_value
      - .offset:         4
        .size:           4
        .value_kind:     by_value
      - .offset:         8
        .size:           8
        .value_kind:     by_value
      - .offset:         16
        .size:           4
        .value_kind:     by_value
      - .actual_access:  read_only
        .address_space:  global
        .offset:         24
        .size:           8
        .value_kind:     global_buffer
      - .actual_access:  read_only
        .address_space:  global
        .offset:         32
        .size:           8
        .value_kind:     global_buffer
      - .actual_access:  read_only
        .address_space:  global
        .offset:         40
        .size:           8
        .value_kind:     global_buffer
      - .actual_access:  read_only
        .address_space:  global
        .offset:         48
        .size:           8
        .value_kind:     global_buffer
      - .actual_access:  read_only
        .address_space:  global
        .offset:         56
        .size:           8
        .value_kind:     global_buffer
      - .actual_access:  read_only
        .address_space:  global
        .offset:         64
        .size:           8
        .value_kind:     global_buffer
      - .offset:         72
        .size:           8
        .value_kind:     by_value
      - .address_space:  global
        .offset:         80
        .size:           8
        .value_kind:     global_buffer
      - .offset:         88
        .size:           4
        .value_kind:     by_value
      - .offset:         92
        .size:           1
        .value_kind:     by_value
    .group_segment_fixed_size: 8192
    .kernarg_segment_align: 8
    .kernarg_segment_size: 96
    .language:       OpenCL C
    .language_version:
      - 2
      - 0
    .max_flat_workgroup_size: 1024
    .name:           _ZN9rocsparseL20bsrxmvn_17_32_kernelILj32EdlifddEEvT2_20rocsparse_direction_NS_24const_host_device_scalarIT0_EES1_PKS1_PKT1_SA_S7_PKT3_PKT4_S5_PT5_21rocsparse_index_base_b
    .private_segment_fixed_size: 0
    .sgpr_count:     28
    .sgpr_spill_count: 0
    .symbol:         _ZN9rocsparseL20bsrxmvn_17_32_kernelILj32EdlifddEEvT2_20rocsparse_direction_NS_24const_host_device_scalarIT0_EES1_PKS1_PKT1_SA_S7_PKT3_PKT4_S5_PT5_21rocsparse_index_base_b.kd
    .uniform_work_group_size: 1
    .uses_dynamic_stack: false
    .vgpr_count:     18
    .vgpr_spill_count: 0
    .wavefront_size: 64
  - .args:
      - .offset:         0
        .size:           8
        .value_kind:     by_value
      - .offset:         8
        .size:           4
        .value_kind:     by_value
      - .offset:         16
        .size:           8
        .value_kind:     by_value
      - .offset:         24
        .size:           8
        .value_kind:     by_value
      - .actual_access:  read_only
        .address_space:  global
        .offset:         32
        .size:           8
        .value_kind:     global_buffer
      - .actual_access:  read_only
        .address_space:  global
        .offset:         40
        .size:           8
        .value_kind:     global_buffer
      - .actual_access:  read_only
        .address_space:  global
        .offset:         48
        .size:           8
        .value_kind:     global_buffer
      - .actual_access:  read_only
        .address_space:  global
        .offset:         56
        .size:           8
        .value_kind:     global_buffer
      - .actual_access:  read_only
        .address_space:  global
        .offset:         64
        .size:           8
        .value_kind:     global_buffer
      - .actual_access:  read_only
        .address_space:  global
        .offset:         72
        .size:           8
        .value_kind:     global_buffer
      - .offset:         80
        .size:           8
        .value_kind:     by_value
      - .address_space:  global
        .offset:         88
        .size:           8
        .value_kind:     global_buffer
      - .offset:         96
        .size:           4
        .value_kind:     by_value
      - .offset:         100
        .size:           1
        .value_kind:     by_value
    .group_segment_fixed_size: 2312
    .kernarg_segment_align: 8
    .kernarg_segment_size: 104
    .language:       OpenCL C
    .language_version:
      - 2
      - 0
    .max_flat_workgroup_size: 289
    .name:           _ZN9rocsparseL20bsrxmvn_17_32_kernelILj17EdllfddEEvT2_20rocsparse_direction_NS_24const_host_device_scalarIT0_EES1_PKS1_PKT1_SA_S7_PKT3_PKT4_S5_PT5_21rocsparse_index_base_b
    .private_segment_fixed_size: 0
    .sgpr_count:     26
    .sgpr_spill_count: 0
    .symbol:         _ZN9rocsparseL20bsrxmvn_17_32_kernelILj17EdllfddEEvT2_20rocsparse_direction_NS_24const_host_device_scalarIT0_EES1_PKS1_PKT1_SA_S7_PKT3_PKT4_S5_PT5_21rocsparse_index_base_b.kd
    .uniform_work_group_size: 1
    .uses_dynamic_stack: false
    .vgpr_count:     19
    .vgpr_spill_count: 0
    .wavefront_size: 64
  - .args:
      - .offset:         0
        .size:           8
        .value_kind:     by_value
      - .offset:         8
        .size:           4
        .value_kind:     by_value
      - .offset:         16
        .size:           8
        .value_kind:     by_value
      - .offset:         24
        .size:           8
        .value_kind:     by_value
      - .actual_access:  read_only
        .address_space:  global
        .offset:         32
        .size:           8
        .value_kind:     global_buffer
      - .actual_access:  read_only
        .address_space:  global
        .offset:         40
        .size:           8
        .value_kind:     global_buffer
      - .actual_access:  read_only
        .address_space:  global
        .offset:         48
        .size:           8
        .value_kind:     global_buffer
      - .actual_access:  read_only
        .address_space:  global
        .offset:         56
        .size:           8
        .value_kind:     global_buffer
      - .actual_access:  read_only
        .address_space:  global
        .offset:         64
        .size:           8
        .value_kind:     global_buffer
      - .actual_access:  read_only
        .address_space:  global
        .offset:         72
        .size:           8
        .value_kind:     global_buffer
      - .offset:         80
        .size:           8
        .value_kind:     by_value
      - .address_space:  global
        .offset:         88
        .size:           8
        .value_kind:     global_buffer
      - .offset:         96
        .size:           4
        .value_kind:     by_value
      - .offset:         100
        .size:           1
        .value_kind:     by_value
    .group_segment_fixed_size: 2592
    .kernarg_segment_align: 8
    .kernarg_segment_size: 104
    .language:       OpenCL C
    .language_version:
      - 2
      - 0
    .max_flat_workgroup_size: 324
    .name:           _ZN9rocsparseL20bsrxmvn_17_32_kernelILj18EdllfddEEvT2_20rocsparse_direction_NS_24const_host_device_scalarIT0_EES1_PKS1_PKT1_SA_S7_PKT3_PKT4_S5_PT5_21rocsparse_index_base_b
    .private_segment_fixed_size: 0
    .sgpr_count:     26
    .sgpr_spill_count: 0
    .symbol:         _ZN9rocsparseL20bsrxmvn_17_32_kernelILj18EdllfddEEvT2_20rocsparse_direction_NS_24const_host_device_scalarIT0_EES1_PKS1_PKT1_SA_S7_PKT3_PKT4_S5_PT5_21rocsparse_index_base_b.kd
    .uniform_work_group_size: 1
    .uses_dynamic_stack: false
    .vgpr_count:     19
    .vgpr_spill_count: 0
    .wavefront_size: 64
  - .args:
      - .offset:         0
        .size:           8
        .value_kind:     by_value
      - .offset:         8
        .size:           4
        .value_kind:     by_value
      - .offset:         16
        .size:           8
        .value_kind:     by_value
      - .offset:         24
        .size:           8
        .value_kind:     by_value
      - .actual_access:  read_only
        .address_space:  global
        .offset:         32
        .size:           8
        .value_kind:     global_buffer
      - .actual_access:  read_only
        .address_space:  global
        .offset:         40
        .size:           8
        .value_kind:     global_buffer
      - .actual_access:  read_only
        .address_space:  global
        .offset:         48
        .size:           8
        .value_kind:     global_buffer
      - .actual_access:  read_only
        .address_space:  global
        .offset:         56
        .size:           8
        .value_kind:     global_buffer
      - .actual_access:  read_only
        .address_space:  global
        .offset:         64
        .size:           8
        .value_kind:     global_buffer
      - .actual_access:  read_only
        .address_space:  global
        .offset:         72
        .size:           8
        .value_kind:     global_buffer
      - .offset:         80
        .size:           8
        .value_kind:     by_value
      - .address_space:  global
        .offset:         88
        .size:           8
        .value_kind:     global_buffer
      - .offset:         96
        .size:           4
        .value_kind:     by_value
      - .offset:         100
        .size:           1
        .value_kind:     by_value
    .group_segment_fixed_size: 2888
    .kernarg_segment_align: 8
    .kernarg_segment_size: 104
    .language:       OpenCL C
    .language_version:
      - 2
      - 0
    .max_flat_workgroup_size: 361
    .name:           _ZN9rocsparseL20bsrxmvn_17_32_kernelILj19EdllfddEEvT2_20rocsparse_direction_NS_24const_host_device_scalarIT0_EES1_PKS1_PKT1_SA_S7_PKT3_PKT4_S5_PT5_21rocsparse_index_base_b
    .private_segment_fixed_size: 0
    .sgpr_count:     26
    .sgpr_spill_count: 0
    .symbol:         _ZN9rocsparseL20bsrxmvn_17_32_kernelILj19EdllfddEEvT2_20rocsparse_direction_NS_24const_host_device_scalarIT0_EES1_PKS1_PKT1_SA_S7_PKT3_PKT4_S5_PT5_21rocsparse_index_base_b.kd
    .uniform_work_group_size: 1
    .uses_dynamic_stack: false
    .vgpr_count:     21
    .vgpr_spill_count: 0
    .wavefront_size: 64
  - .args:
      - .offset:         0
        .size:           8
        .value_kind:     by_value
      - .offset:         8
        .size:           4
        .value_kind:     by_value
      - .offset:         16
        .size:           8
        .value_kind:     by_value
      - .offset:         24
        .size:           8
        .value_kind:     by_value
      - .actual_access:  read_only
        .address_space:  global
        .offset:         32
        .size:           8
        .value_kind:     global_buffer
      - .actual_access:  read_only
        .address_space:  global
        .offset:         40
        .size:           8
        .value_kind:     global_buffer
      - .actual_access:  read_only
        .address_space:  global
        .offset:         48
        .size:           8
        .value_kind:     global_buffer
      - .actual_access:  read_only
        .address_space:  global
        .offset:         56
        .size:           8
        .value_kind:     global_buffer
      - .actual_access:  read_only
        .address_space:  global
        .offset:         64
        .size:           8
        .value_kind:     global_buffer
      - .actual_access:  read_only
        .address_space:  global
        .offset:         72
        .size:           8
        .value_kind:     global_buffer
      - .offset:         80
        .size:           8
        .value_kind:     by_value
      - .address_space:  global
        .offset:         88
        .size:           8
        .value_kind:     global_buffer
      - .offset:         96
        .size:           4
        .value_kind:     by_value
      - .offset:         100
        .size:           1
        .value_kind:     by_value
    .group_segment_fixed_size: 3200
    .kernarg_segment_align: 8
    .kernarg_segment_size: 104
    .language:       OpenCL C
    .language_version:
      - 2
      - 0
    .max_flat_workgroup_size: 400
    .name:           _ZN9rocsparseL20bsrxmvn_17_32_kernelILj20EdllfddEEvT2_20rocsparse_direction_NS_24const_host_device_scalarIT0_EES1_PKS1_PKT1_SA_S7_PKT3_PKT4_S5_PT5_21rocsparse_index_base_b
    .private_segment_fixed_size: 0
    .sgpr_count:     26
    .sgpr_spill_count: 0
    .symbol:         _ZN9rocsparseL20bsrxmvn_17_32_kernelILj20EdllfddEEvT2_20rocsparse_direction_NS_24const_host_device_scalarIT0_EES1_PKS1_PKT1_SA_S7_PKT3_PKT4_S5_PT5_21rocsparse_index_base_b.kd
    .uniform_work_group_size: 1
    .uses_dynamic_stack: false
    .vgpr_count:     21
    .vgpr_spill_count: 0
    .wavefront_size: 64
  - .args:
      - .offset:         0
        .size:           8
        .value_kind:     by_value
      - .offset:         8
        .size:           4
        .value_kind:     by_value
      - .offset:         16
        .size:           8
        .value_kind:     by_value
      - .offset:         24
        .size:           8
        .value_kind:     by_value
      - .actual_access:  read_only
        .address_space:  global
        .offset:         32
        .size:           8
        .value_kind:     global_buffer
      - .actual_access:  read_only
        .address_space:  global
        .offset:         40
        .size:           8
        .value_kind:     global_buffer
      - .actual_access:  read_only
        .address_space:  global
        .offset:         48
        .size:           8
        .value_kind:     global_buffer
      - .actual_access:  read_only
        .address_space:  global
        .offset:         56
        .size:           8
        .value_kind:     global_buffer
      - .actual_access:  read_only
        .address_space:  global
        .offset:         64
        .size:           8
        .value_kind:     global_buffer
      - .actual_access:  read_only
        .address_space:  global
        .offset:         72
        .size:           8
        .value_kind:     global_buffer
      - .offset:         80
        .size:           8
        .value_kind:     by_value
      - .address_space:  global
        .offset:         88
        .size:           8
        .value_kind:     global_buffer
      - .offset:         96
        .size:           4
        .value_kind:     by_value
      - .offset:         100
        .size:           1
        .value_kind:     by_value
    .group_segment_fixed_size: 3528
    .kernarg_segment_align: 8
    .kernarg_segment_size: 104
    .language:       OpenCL C
    .language_version:
      - 2
      - 0
    .max_flat_workgroup_size: 441
    .name:           _ZN9rocsparseL20bsrxmvn_17_32_kernelILj21EdllfddEEvT2_20rocsparse_direction_NS_24const_host_device_scalarIT0_EES1_PKS1_PKT1_SA_S7_PKT3_PKT4_S5_PT5_21rocsparse_index_base_b
    .private_segment_fixed_size: 0
    .sgpr_count:     26
    .sgpr_spill_count: 0
    .symbol:         _ZN9rocsparseL20bsrxmvn_17_32_kernelILj21EdllfddEEvT2_20rocsparse_direction_NS_24const_host_device_scalarIT0_EES1_PKS1_PKT1_SA_S7_PKT3_PKT4_S5_PT5_21rocsparse_index_base_b.kd
    .uniform_work_group_size: 1
    .uses_dynamic_stack: false
    .vgpr_count:     21
    .vgpr_spill_count: 0
    .wavefront_size: 64
  - .args:
      - .offset:         0
        .size:           8
        .value_kind:     by_value
      - .offset:         8
        .size:           4
        .value_kind:     by_value
      - .offset:         16
        .size:           8
        .value_kind:     by_value
      - .offset:         24
        .size:           8
        .value_kind:     by_value
      - .actual_access:  read_only
        .address_space:  global
        .offset:         32
        .size:           8
        .value_kind:     global_buffer
      - .actual_access:  read_only
        .address_space:  global
        .offset:         40
        .size:           8
        .value_kind:     global_buffer
      - .actual_access:  read_only
        .address_space:  global
        .offset:         48
        .size:           8
        .value_kind:     global_buffer
      - .actual_access:  read_only
        .address_space:  global
        .offset:         56
        .size:           8
        .value_kind:     global_buffer
      - .actual_access:  read_only
        .address_space:  global
        .offset:         64
        .size:           8
        .value_kind:     global_buffer
      - .actual_access:  read_only
        .address_space:  global
        .offset:         72
        .size:           8
        .value_kind:     global_buffer
      - .offset:         80
        .size:           8
        .value_kind:     by_value
      - .address_space:  global
        .offset:         88
        .size:           8
        .value_kind:     global_buffer
      - .offset:         96
        .size:           4
        .value_kind:     by_value
      - .offset:         100
        .size:           1
        .value_kind:     by_value
    .group_segment_fixed_size: 3872
    .kernarg_segment_align: 8
    .kernarg_segment_size: 104
    .language:       OpenCL C
    .language_version:
      - 2
      - 0
    .max_flat_workgroup_size: 484
    .name:           _ZN9rocsparseL20bsrxmvn_17_32_kernelILj22EdllfddEEvT2_20rocsparse_direction_NS_24const_host_device_scalarIT0_EES1_PKS1_PKT1_SA_S7_PKT3_PKT4_S5_PT5_21rocsparse_index_base_b
    .private_segment_fixed_size: 0
    .sgpr_count:     26
    .sgpr_spill_count: 0
    .symbol:         _ZN9rocsparseL20bsrxmvn_17_32_kernelILj22EdllfddEEvT2_20rocsparse_direction_NS_24const_host_device_scalarIT0_EES1_PKS1_PKT1_SA_S7_PKT3_PKT4_S5_PT5_21rocsparse_index_base_b.kd
    .uniform_work_group_size: 1
    .uses_dynamic_stack: false
    .vgpr_count:     21
    .vgpr_spill_count: 0
    .wavefront_size: 64
  - .args:
      - .offset:         0
        .size:           8
        .value_kind:     by_value
      - .offset:         8
        .size:           4
        .value_kind:     by_value
      - .offset:         16
        .size:           8
        .value_kind:     by_value
      - .offset:         24
        .size:           8
        .value_kind:     by_value
      - .actual_access:  read_only
        .address_space:  global
        .offset:         32
        .size:           8
        .value_kind:     global_buffer
      - .actual_access:  read_only
        .address_space:  global
        .offset:         40
        .size:           8
        .value_kind:     global_buffer
      - .actual_access:  read_only
        .address_space:  global
        .offset:         48
        .size:           8
        .value_kind:     global_buffer
      - .actual_access:  read_only
        .address_space:  global
        .offset:         56
        .size:           8
        .value_kind:     global_buffer
      - .actual_access:  read_only
        .address_space:  global
        .offset:         64
        .size:           8
        .value_kind:     global_buffer
      - .actual_access:  read_only
        .address_space:  global
        .offset:         72
        .size:           8
        .value_kind:     global_buffer
      - .offset:         80
        .size:           8
        .value_kind:     by_value
      - .address_space:  global
        .offset:         88
        .size:           8
        .value_kind:     global_buffer
      - .offset:         96
        .size:           4
        .value_kind:     by_value
      - .offset:         100
        .size:           1
        .value_kind:     by_value
    .group_segment_fixed_size: 4232
    .kernarg_segment_align: 8
    .kernarg_segment_size: 104
    .language:       OpenCL C
    .language_version:
      - 2
      - 0
    .max_flat_workgroup_size: 529
    .name:           _ZN9rocsparseL20bsrxmvn_17_32_kernelILj23EdllfddEEvT2_20rocsparse_direction_NS_24const_host_device_scalarIT0_EES1_PKS1_PKT1_SA_S7_PKT3_PKT4_S5_PT5_21rocsparse_index_base_b
    .private_segment_fixed_size: 0
    .sgpr_count:     26
    .sgpr_spill_count: 0
    .symbol:         _ZN9rocsparseL20bsrxmvn_17_32_kernelILj23EdllfddEEvT2_20rocsparse_direction_NS_24const_host_device_scalarIT0_EES1_PKS1_PKT1_SA_S7_PKT3_PKT4_S5_PT5_21rocsparse_index_base_b.kd
    .uniform_work_group_size: 1
    .uses_dynamic_stack: false
    .vgpr_count:     21
    .vgpr_spill_count: 0
    .wavefront_size: 64
  - .args:
      - .offset:         0
        .size:           8
        .value_kind:     by_value
      - .offset:         8
        .size:           4
        .value_kind:     by_value
      - .offset:         16
        .size:           8
        .value_kind:     by_value
      - .offset:         24
        .size:           8
        .value_kind:     by_value
      - .actual_access:  read_only
        .address_space:  global
        .offset:         32
        .size:           8
        .value_kind:     global_buffer
      - .actual_access:  read_only
        .address_space:  global
        .offset:         40
        .size:           8
        .value_kind:     global_buffer
      - .actual_access:  read_only
        .address_space:  global
        .offset:         48
        .size:           8
        .value_kind:     global_buffer
      - .actual_access:  read_only
        .address_space:  global
        .offset:         56
        .size:           8
        .value_kind:     global_buffer
      - .actual_access:  read_only
        .address_space:  global
        .offset:         64
        .size:           8
        .value_kind:     global_buffer
      - .actual_access:  read_only
        .address_space:  global
        .offset:         72
        .size:           8
        .value_kind:     global_buffer
      - .offset:         80
        .size:           8
        .value_kind:     by_value
      - .address_space:  global
        .offset:         88
        .size:           8
        .value_kind:     global_buffer
      - .offset:         96
        .size:           4
        .value_kind:     by_value
      - .offset:         100
        .size:           1
        .value_kind:     by_value
    .group_segment_fixed_size: 4608
    .kernarg_segment_align: 8
    .kernarg_segment_size: 104
    .language:       OpenCL C
    .language_version:
      - 2
      - 0
    .max_flat_workgroup_size: 576
    .name:           _ZN9rocsparseL20bsrxmvn_17_32_kernelILj24EdllfddEEvT2_20rocsparse_direction_NS_24const_host_device_scalarIT0_EES1_PKS1_PKT1_SA_S7_PKT3_PKT4_S5_PT5_21rocsparse_index_base_b
    .private_segment_fixed_size: 0
    .sgpr_count:     26
    .sgpr_spill_count: 0
    .symbol:         _ZN9rocsparseL20bsrxmvn_17_32_kernelILj24EdllfddEEvT2_20rocsparse_direction_NS_24const_host_device_scalarIT0_EES1_PKS1_PKT1_SA_S7_PKT3_PKT4_S5_PT5_21rocsparse_index_base_b.kd
    .uniform_work_group_size: 1
    .uses_dynamic_stack: false
    .vgpr_count:     21
    .vgpr_spill_count: 0
    .wavefront_size: 64
  - .args:
      - .offset:         0
        .size:           8
        .value_kind:     by_value
      - .offset:         8
        .size:           4
        .value_kind:     by_value
      - .offset:         16
        .size:           8
        .value_kind:     by_value
      - .offset:         24
        .size:           8
        .value_kind:     by_value
      - .actual_access:  read_only
        .address_space:  global
        .offset:         32
        .size:           8
        .value_kind:     global_buffer
      - .actual_access:  read_only
        .address_space:  global
        .offset:         40
        .size:           8
        .value_kind:     global_buffer
      - .actual_access:  read_only
        .address_space:  global
        .offset:         48
        .size:           8
        .value_kind:     global_buffer
      - .actual_access:  read_only
        .address_space:  global
        .offset:         56
        .size:           8
        .value_kind:     global_buffer
      - .actual_access:  read_only
        .address_space:  global
        .offset:         64
        .size:           8
        .value_kind:     global_buffer
      - .actual_access:  read_only
        .address_space:  global
        .offset:         72
        .size:           8
        .value_kind:     global_buffer
      - .offset:         80
        .size:           8
        .value_kind:     by_value
      - .address_space:  global
        .offset:         88
        .size:           8
        .value_kind:     global_buffer
      - .offset:         96
        .size:           4
        .value_kind:     by_value
      - .offset:         100
        .size:           1
        .value_kind:     by_value
    .group_segment_fixed_size: 5000
    .kernarg_segment_align: 8
    .kernarg_segment_size: 104
    .language:       OpenCL C
    .language_version:
      - 2
      - 0
    .max_flat_workgroup_size: 625
    .name:           _ZN9rocsparseL20bsrxmvn_17_32_kernelILj25EdllfddEEvT2_20rocsparse_direction_NS_24const_host_device_scalarIT0_EES1_PKS1_PKT1_SA_S7_PKT3_PKT4_S5_PT5_21rocsparse_index_base_b
    .private_segment_fixed_size: 0
    .sgpr_count:     26
    .sgpr_spill_count: 0
    .symbol:         _ZN9rocsparseL20bsrxmvn_17_32_kernelILj25EdllfddEEvT2_20rocsparse_direction_NS_24const_host_device_scalarIT0_EES1_PKS1_PKT1_SA_S7_PKT3_PKT4_S5_PT5_21rocsparse_index_base_b.kd
    .uniform_work_group_size: 1
    .uses_dynamic_stack: false
    .vgpr_count:     21
    .vgpr_spill_count: 0
    .wavefront_size: 64
  - .args:
      - .offset:         0
        .size:           8
        .value_kind:     by_value
      - .offset:         8
        .size:           4
        .value_kind:     by_value
      - .offset:         16
        .size:           8
        .value_kind:     by_value
      - .offset:         24
        .size:           8
        .value_kind:     by_value
      - .actual_access:  read_only
        .address_space:  global
        .offset:         32
        .size:           8
        .value_kind:     global_buffer
      - .actual_access:  read_only
        .address_space:  global
        .offset:         40
        .size:           8
        .value_kind:     global_buffer
      - .actual_access:  read_only
        .address_space:  global
        .offset:         48
        .size:           8
        .value_kind:     global_buffer
      - .actual_access:  read_only
        .address_space:  global
        .offset:         56
        .size:           8
        .value_kind:     global_buffer
      - .actual_access:  read_only
        .address_space:  global
        .offset:         64
        .size:           8
        .value_kind:     global_buffer
      - .actual_access:  read_only
        .address_space:  global
        .offset:         72
        .size:           8
        .value_kind:     global_buffer
      - .offset:         80
        .size:           8
        .value_kind:     by_value
      - .address_space:  global
        .offset:         88
        .size:           8
        .value_kind:     global_buffer
      - .offset:         96
        .size:           4
        .value_kind:     by_value
      - .offset:         100
        .size:           1
        .value_kind:     by_value
    .group_segment_fixed_size: 5408
    .kernarg_segment_align: 8
    .kernarg_segment_size: 104
    .language:       OpenCL C
    .language_version:
      - 2
      - 0
    .max_flat_workgroup_size: 676
    .name:           _ZN9rocsparseL20bsrxmvn_17_32_kernelILj26EdllfddEEvT2_20rocsparse_direction_NS_24const_host_device_scalarIT0_EES1_PKS1_PKT1_SA_S7_PKT3_PKT4_S5_PT5_21rocsparse_index_base_b
    .private_segment_fixed_size: 0
    .sgpr_count:     26
    .sgpr_spill_count: 0
    .symbol:         _ZN9rocsparseL20bsrxmvn_17_32_kernelILj26EdllfddEEvT2_20rocsparse_direction_NS_24const_host_device_scalarIT0_EES1_PKS1_PKT1_SA_S7_PKT3_PKT4_S5_PT5_21rocsparse_index_base_b.kd
    .uniform_work_group_size: 1
    .uses_dynamic_stack: false
    .vgpr_count:     21
    .vgpr_spill_count: 0
    .wavefront_size: 64
  - .args:
      - .offset:         0
        .size:           8
        .value_kind:     by_value
      - .offset:         8
        .size:           4
        .value_kind:     by_value
      - .offset:         16
        .size:           8
        .value_kind:     by_value
      - .offset:         24
        .size:           8
        .value_kind:     by_value
      - .actual_access:  read_only
        .address_space:  global
        .offset:         32
        .size:           8
        .value_kind:     global_buffer
      - .actual_access:  read_only
        .address_space:  global
        .offset:         40
        .size:           8
        .value_kind:     global_buffer
      - .actual_access:  read_only
        .address_space:  global
        .offset:         48
        .size:           8
        .value_kind:     global_buffer
      - .actual_access:  read_only
        .address_space:  global
        .offset:         56
        .size:           8
        .value_kind:     global_buffer
      - .actual_access:  read_only
        .address_space:  global
        .offset:         64
        .size:           8
        .value_kind:     global_buffer
      - .actual_access:  read_only
        .address_space:  global
        .offset:         72
        .size:           8
        .value_kind:     global_buffer
      - .offset:         80
        .size:           8
        .value_kind:     by_value
      - .address_space:  global
        .offset:         88
        .size:           8
        .value_kind:     global_buffer
      - .offset:         96
        .size:           4
        .value_kind:     by_value
      - .offset:         100
        .size:           1
        .value_kind:     by_value
    .group_segment_fixed_size: 5832
    .kernarg_segment_align: 8
    .kernarg_segment_size: 104
    .language:       OpenCL C
    .language_version:
      - 2
      - 0
    .max_flat_workgroup_size: 729
    .name:           _ZN9rocsparseL20bsrxmvn_17_32_kernelILj27EdllfddEEvT2_20rocsparse_direction_NS_24const_host_device_scalarIT0_EES1_PKS1_PKT1_SA_S7_PKT3_PKT4_S5_PT5_21rocsparse_index_base_b
    .private_segment_fixed_size: 0
    .sgpr_count:     26
    .sgpr_spill_count: 0
    .symbol:         _ZN9rocsparseL20bsrxmvn_17_32_kernelILj27EdllfddEEvT2_20rocsparse_direction_NS_24const_host_device_scalarIT0_EES1_PKS1_PKT1_SA_S7_PKT3_PKT4_S5_PT5_21rocsparse_index_base_b.kd
    .uniform_work_group_size: 1
    .uses_dynamic_stack: false
    .vgpr_count:     21
    .vgpr_spill_count: 0
    .wavefront_size: 64
  - .args:
      - .offset:         0
        .size:           8
        .value_kind:     by_value
      - .offset:         8
        .size:           4
        .value_kind:     by_value
      - .offset:         16
        .size:           8
        .value_kind:     by_value
      - .offset:         24
        .size:           8
        .value_kind:     by_value
      - .actual_access:  read_only
        .address_space:  global
        .offset:         32
        .size:           8
        .value_kind:     global_buffer
      - .actual_access:  read_only
        .address_space:  global
        .offset:         40
        .size:           8
        .value_kind:     global_buffer
      - .actual_access:  read_only
        .address_space:  global
        .offset:         48
        .size:           8
        .value_kind:     global_buffer
      - .actual_access:  read_only
        .address_space:  global
        .offset:         56
        .size:           8
        .value_kind:     global_buffer
      - .actual_access:  read_only
        .address_space:  global
        .offset:         64
        .size:           8
        .value_kind:     global_buffer
      - .actual_access:  read_only
        .address_space:  global
        .offset:         72
        .size:           8
        .value_kind:     global_buffer
      - .offset:         80
        .size:           8
        .value_kind:     by_value
      - .address_space:  global
        .offset:         88
        .size:           8
        .value_kind:     global_buffer
      - .offset:         96
        .size:           4
        .value_kind:     by_value
      - .offset:         100
        .size:           1
        .value_kind:     by_value
    .group_segment_fixed_size: 6272
    .kernarg_segment_align: 8
    .kernarg_segment_size: 104
    .language:       OpenCL C
    .language_version:
      - 2
      - 0
    .max_flat_workgroup_size: 784
    .name:           _ZN9rocsparseL20bsrxmvn_17_32_kernelILj28EdllfddEEvT2_20rocsparse_direction_NS_24const_host_device_scalarIT0_EES1_PKS1_PKT1_SA_S7_PKT3_PKT4_S5_PT5_21rocsparse_index_base_b
    .private_segment_fixed_size: 0
    .sgpr_count:     26
    .sgpr_spill_count: 0
    .symbol:         _ZN9rocsparseL20bsrxmvn_17_32_kernelILj28EdllfddEEvT2_20rocsparse_direction_NS_24const_host_device_scalarIT0_EES1_PKS1_PKT1_SA_S7_PKT3_PKT4_S5_PT5_21rocsparse_index_base_b.kd
    .uniform_work_group_size: 1
    .uses_dynamic_stack: false
    .vgpr_count:     21
    .vgpr_spill_count: 0
    .wavefront_size: 64
  - .args:
      - .offset:         0
        .size:           8
        .value_kind:     by_value
      - .offset:         8
        .size:           4
        .value_kind:     by_value
      - .offset:         16
        .size:           8
        .value_kind:     by_value
      - .offset:         24
        .size:           8
        .value_kind:     by_value
      - .actual_access:  read_only
        .address_space:  global
        .offset:         32
        .size:           8
        .value_kind:     global_buffer
      - .actual_access:  read_only
        .address_space:  global
        .offset:         40
        .size:           8
        .value_kind:     global_buffer
      - .actual_access:  read_only
        .address_space:  global
        .offset:         48
        .size:           8
        .value_kind:     global_buffer
      - .actual_access:  read_only
        .address_space:  global
        .offset:         56
        .size:           8
        .value_kind:     global_buffer
      - .actual_access:  read_only
        .address_space:  global
        .offset:         64
        .size:           8
        .value_kind:     global_buffer
      - .actual_access:  read_only
        .address_space:  global
        .offset:         72
        .size:           8
        .value_kind:     global_buffer
      - .offset:         80
        .size:           8
        .value_kind:     by_value
      - .address_space:  global
        .offset:         88
        .size:           8
        .value_kind:     global_buffer
      - .offset:         96
        .size:           4
        .value_kind:     by_value
      - .offset:         100
        .size:           1
        .value_kind:     by_value
    .group_segment_fixed_size: 6728
    .kernarg_segment_align: 8
    .kernarg_segment_size: 104
    .language:       OpenCL C
    .language_version:
      - 2
      - 0
    .max_flat_workgroup_size: 841
    .name:           _ZN9rocsparseL20bsrxmvn_17_32_kernelILj29EdllfddEEvT2_20rocsparse_direction_NS_24const_host_device_scalarIT0_EES1_PKS1_PKT1_SA_S7_PKT3_PKT4_S5_PT5_21rocsparse_index_base_b
    .private_segment_fixed_size: 0
    .sgpr_count:     26
    .sgpr_spill_count: 0
    .symbol:         _ZN9rocsparseL20bsrxmvn_17_32_kernelILj29EdllfddEEvT2_20rocsparse_direction_NS_24const_host_device_scalarIT0_EES1_PKS1_PKT1_SA_S7_PKT3_PKT4_S5_PT5_21rocsparse_index_base_b.kd
    .uniform_work_group_size: 1
    .uses_dynamic_stack: false
    .vgpr_count:     21
    .vgpr_spill_count: 0
    .wavefront_size: 64
  - .args:
      - .offset:         0
        .size:           8
        .value_kind:     by_value
      - .offset:         8
        .size:           4
        .value_kind:     by_value
      - .offset:         16
        .size:           8
        .value_kind:     by_value
      - .offset:         24
        .size:           8
        .value_kind:     by_value
      - .actual_access:  read_only
        .address_space:  global
        .offset:         32
        .size:           8
        .value_kind:     global_buffer
      - .actual_access:  read_only
        .address_space:  global
        .offset:         40
        .size:           8
        .value_kind:     global_buffer
      - .actual_access:  read_only
        .address_space:  global
        .offset:         48
        .size:           8
        .value_kind:     global_buffer
      - .actual_access:  read_only
        .address_space:  global
        .offset:         56
        .size:           8
        .value_kind:     global_buffer
      - .actual_access:  read_only
        .address_space:  global
        .offset:         64
        .size:           8
        .value_kind:     global_buffer
      - .actual_access:  read_only
        .address_space:  global
        .offset:         72
        .size:           8
        .value_kind:     global_buffer
      - .offset:         80
        .size:           8
        .value_kind:     by_value
      - .address_space:  global
        .offset:         88
        .size:           8
        .value_kind:     global_buffer
      - .offset:         96
        .size:           4
        .value_kind:     by_value
      - .offset:         100
        .size:           1
        .value_kind:     by_value
    .group_segment_fixed_size: 7200
    .kernarg_segment_align: 8
    .kernarg_segment_size: 104
    .language:       OpenCL C
    .language_version:
      - 2
      - 0
    .max_flat_workgroup_size: 900
    .name:           _ZN9rocsparseL20bsrxmvn_17_32_kernelILj30EdllfddEEvT2_20rocsparse_direction_NS_24const_host_device_scalarIT0_EES1_PKS1_PKT1_SA_S7_PKT3_PKT4_S5_PT5_21rocsparse_index_base_b
    .private_segment_fixed_size: 0
    .sgpr_count:     26
    .sgpr_spill_count: 0
    .symbol:         _ZN9rocsparseL20bsrxmvn_17_32_kernelILj30EdllfddEEvT2_20rocsparse_direction_NS_24const_host_device_scalarIT0_EES1_PKS1_PKT1_SA_S7_PKT3_PKT4_S5_PT5_21rocsparse_index_base_b.kd
    .uniform_work_group_size: 1
    .uses_dynamic_stack: false
    .vgpr_count:     21
    .vgpr_spill_count: 0
    .wavefront_size: 64
  - .args:
      - .offset:         0
        .size:           8
        .value_kind:     by_value
      - .offset:         8
        .size:           4
        .value_kind:     by_value
      - .offset:         16
        .size:           8
        .value_kind:     by_value
      - .offset:         24
        .size:           8
        .value_kind:     by_value
      - .actual_access:  read_only
        .address_space:  global
        .offset:         32
        .size:           8
        .value_kind:     global_buffer
      - .actual_access:  read_only
        .address_space:  global
        .offset:         40
        .size:           8
        .value_kind:     global_buffer
      - .actual_access:  read_only
        .address_space:  global
        .offset:         48
        .size:           8
        .value_kind:     global_buffer
      - .actual_access:  read_only
        .address_space:  global
        .offset:         56
        .size:           8
        .value_kind:     global_buffer
      - .actual_access:  read_only
        .address_space:  global
        .offset:         64
        .size:           8
        .value_kind:     global_buffer
      - .actual_access:  read_only
        .address_space:  global
        .offset:         72
        .size:           8
        .value_kind:     global_buffer
      - .offset:         80
        .size:           8
        .value_kind:     by_value
      - .address_space:  global
        .offset:         88
        .size:           8
        .value_kind:     global_buffer
      - .offset:         96
        .size:           4
        .value_kind:     by_value
      - .offset:         100
        .size:           1
        .value_kind:     by_value
    .group_segment_fixed_size: 7688
    .kernarg_segment_align: 8
    .kernarg_segment_size: 104
    .language:       OpenCL C
    .language_version:
      - 2
      - 0
    .max_flat_workgroup_size: 961
    .name:           _ZN9rocsparseL20bsrxmvn_17_32_kernelILj31EdllfddEEvT2_20rocsparse_direction_NS_24const_host_device_scalarIT0_EES1_PKS1_PKT1_SA_S7_PKT3_PKT4_S5_PT5_21rocsparse_index_base_b
    .private_segment_fixed_size: 0
    .sgpr_count:     26
    .sgpr_spill_count: 0
    .symbol:         _ZN9rocsparseL20bsrxmvn_17_32_kernelILj31EdllfddEEvT2_20rocsparse_direction_NS_24const_host_device_scalarIT0_EES1_PKS1_PKT1_SA_S7_PKT3_PKT4_S5_PT5_21rocsparse_index_base_b.kd
    .uniform_work_group_size: 1
    .uses_dynamic_stack: false
    .vgpr_count:     21
    .vgpr_spill_count: 0
    .wavefront_size: 64
  - .args:
      - .offset:         0
        .size:           8
        .value_kind:     by_value
      - .offset:         8
        .size:           4
        .value_kind:     by_value
      - .offset:         16
        .size:           8
        .value_kind:     by_value
      - .offset:         24
        .size:           8
        .value_kind:     by_value
      - .actual_access:  read_only
        .address_space:  global
        .offset:         32
        .size:           8
        .value_kind:     global_buffer
      - .actual_access:  read_only
        .address_space:  global
        .offset:         40
        .size:           8
        .value_kind:     global_buffer
      - .actual_access:  read_only
        .address_space:  global
        .offset:         48
        .size:           8
        .value_kind:     global_buffer
      - .actual_access:  read_only
        .address_space:  global
        .offset:         56
        .size:           8
        .value_kind:     global_buffer
      - .actual_access:  read_only
        .address_space:  global
        .offset:         64
        .size:           8
        .value_kind:     global_buffer
      - .actual_access:  read_only
        .address_space:  global
        .offset:         72
        .size:           8
        .value_kind:     global_buffer
      - .offset:         80
        .size:           8
        .value_kind:     by_value
      - .address_space:  global
        .offset:         88
        .size:           8
        .value_kind:     global_buffer
      - .offset:         96
        .size:           4
        .value_kind:     by_value
      - .offset:         100
        .size:           1
        .value_kind:     by_value
    .group_segment_fixed_size: 8192
    .kernarg_segment_align: 8
    .kernarg_segment_size: 104
    .language:       OpenCL C
    .language_version:
      - 2
      - 0
    .max_flat_workgroup_size: 1024
    .name:           _ZN9rocsparseL20bsrxmvn_17_32_kernelILj32EdllfddEEvT2_20rocsparse_direction_NS_24const_host_device_scalarIT0_EES1_PKS1_PKT1_SA_S7_PKT3_PKT4_S5_PT5_21rocsparse_index_base_b
    .private_segment_fixed_size: 0
    .sgpr_count:     26
    .sgpr_spill_count: 0
    .symbol:         _ZN9rocsparseL20bsrxmvn_17_32_kernelILj32EdllfddEEvT2_20rocsparse_direction_NS_24const_host_device_scalarIT0_EES1_PKS1_PKT1_SA_S7_PKT3_PKT4_S5_PT5_21rocsparse_index_base_b.kd
    .uniform_work_group_size: 1
    .uses_dynamic_stack: false
    .vgpr_count:     18
    .vgpr_spill_count: 0
    .wavefront_size: 64
  - .args:
      - .offset:         0
        .size:           4
        .value_kind:     by_value
      - .offset:         4
        .size:           4
        .value_kind:     by_value
      - .offset:         8
        .size:           16
        .value_kind:     by_value
      - .offset:         24
        .size:           4
        .value_kind:     by_value
      - .actual_access:  read_only
        .address_space:  global
        .offset:         32
        .size:           8
        .value_kind:     global_buffer
      - .actual_access:  read_only
        .address_space:  global
        .offset:         40
        .size:           8
        .value_kind:     global_buffer
      - .actual_access:  read_only
        .address_space:  global
        .offset:         48
        .size:           8
        .value_kind:     global_buffer
      - .actual_access:  read_only
        .address_space:  global
        .offset:         56
        .size:           8
        .value_kind:     global_buffer
      - .actual_access:  read_only
        .address_space:  global
        .offset:         64
        .size:           8
        .value_kind:     global_buffer
      - .actual_access:  read_only
        .address_space:  global
        .offset:         72
        .size:           8
        .value_kind:     global_buffer
      - .offset:         80
        .size:           16
        .value_kind:     by_value
      - .address_space:  global
        .offset:         96
        .size:           8
        .value_kind:     global_buffer
      - .offset:         104
        .size:           4
        .value_kind:     by_value
      - .offset:         108
        .size:           1
        .value_kind:     by_value
    .group_segment_fixed_size: 4624
    .kernarg_segment_align: 8
    .kernarg_segment_size: 112
    .language:       OpenCL C
    .language_version:
      - 2
      - 0
    .max_flat_workgroup_size: 289
    .name:           _ZN9rocsparseL20bsrxmvn_17_32_kernelILj17E21rocsparse_complex_numIdEiiS1_IfES2_S2_EEvT2_20rocsparse_direction_NS_24const_host_device_scalarIT0_EES4_PKS4_PKT1_SD_SA_PKT3_PKT4_S8_PT5_21rocsparse_index_base_b
    .private_segment_fixed_size: 0
    .sgpr_count:     22
    .sgpr_spill_count: 0
    .symbol:         _ZN9rocsparseL20bsrxmvn_17_32_kernelILj17E21rocsparse_complex_numIdEiiS1_IfES2_S2_EEvT2_20rocsparse_direction_NS_24const_host_device_scalarIT0_EES4_PKS4_PKT1_SD_SA_PKT3_PKT4_S8_PT5_21rocsparse_index_base_b.kd
    .uniform_work_group_size: 1
    .uses_dynamic_stack: false
    .vgpr_count:     26
    .vgpr_spill_count: 0
    .wavefront_size: 64
  - .args:
      - .offset:         0
        .size:           4
        .value_kind:     by_value
      - .offset:         4
        .size:           4
        .value_kind:     by_value
      - .offset:         8
        .size:           16
        .value_kind:     by_value
      - .offset:         24
        .size:           4
        .value_kind:     by_value
      - .actual_access:  read_only
        .address_space:  global
        .offset:         32
        .size:           8
        .value_kind:     global_buffer
      - .actual_access:  read_only
        .address_space:  global
        .offset:         40
        .size:           8
        .value_kind:     global_buffer
      - .actual_access:  read_only
        .address_space:  global
        .offset:         48
        .size:           8
        .value_kind:     global_buffer
      - .actual_access:  read_only
        .address_space:  global
        .offset:         56
        .size:           8
        .value_kind:     global_buffer
      - .actual_access:  read_only
        .address_space:  global
        .offset:         64
        .size:           8
        .value_kind:     global_buffer
      - .actual_access:  read_only
        .address_space:  global
        .offset:         72
        .size:           8
        .value_kind:     global_buffer
      - .offset:         80
        .size:           16
        .value_kind:     by_value
      - .address_space:  global
        .offset:         96
        .size:           8
        .value_kind:     global_buffer
      - .offset:         104
        .size:           4
        .value_kind:     by_value
      - .offset:         108
        .size:           1
        .value_kind:     by_value
    .group_segment_fixed_size: 5184
    .kernarg_segment_align: 8
    .kernarg_segment_size: 112
    .language:       OpenCL C
    .language_version:
      - 2
      - 0
    .max_flat_workgroup_size: 324
    .name:           _ZN9rocsparseL20bsrxmvn_17_32_kernelILj18E21rocsparse_complex_numIdEiiS1_IfES2_S2_EEvT2_20rocsparse_direction_NS_24const_host_device_scalarIT0_EES4_PKS4_PKT1_SD_SA_PKT3_PKT4_S8_PT5_21rocsparse_index_base_b
    .private_segment_fixed_size: 0
    .sgpr_count:     22
    .sgpr_spill_count: 0
    .symbol:         _ZN9rocsparseL20bsrxmvn_17_32_kernelILj18E21rocsparse_complex_numIdEiiS1_IfES2_S2_EEvT2_20rocsparse_direction_NS_24const_host_device_scalarIT0_EES4_PKS4_PKT1_SD_SA_PKT3_PKT4_S8_PT5_21rocsparse_index_base_b.kd
    .uniform_work_group_size: 1
    .uses_dynamic_stack: false
    .vgpr_count:     26
    .vgpr_spill_count: 0
    .wavefront_size: 64
  - .args:
      - .offset:         0
        .size:           4
        .value_kind:     by_value
      - .offset:         4
        .size:           4
        .value_kind:     by_value
      - .offset:         8
        .size:           16
        .value_kind:     by_value
      - .offset:         24
        .size:           4
        .value_kind:     by_value
      - .actual_access:  read_only
        .address_space:  global
        .offset:         32
        .size:           8
        .value_kind:     global_buffer
      - .actual_access:  read_only
        .address_space:  global
        .offset:         40
        .size:           8
        .value_kind:     global_buffer
      - .actual_access:  read_only
        .address_space:  global
        .offset:         48
        .size:           8
        .value_kind:     global_buffer
      - .actual_access:  read_only
        .address_space:  global
        .offset:         56
        .size:           8
        .value_kind:     global_buffer
      - .actual_access:  read_only
        .address_space:  global
        .offset:         64
        .size:           8
        .value_kind:     global_buffer
      - .actual_access:  read_only
        .address_space:  global
        .offset:         72
        .size:           8
        .value_kind:     global_buffer
      - .offset:         80
        .size:           16
        .value_kind:     by_value
      - .address_space:  global
        .offset:         96
        .size:           8
        .value_kind:     global_buffer
      - .offset:         104
        .size:           4
        .value_kind:     by_value
      - .offset:         108
        .size:           1
        .value_kind:     by_value
    .group_segment_fixed_size: 5776
    .kernarg_segment_align: 8
    .kernarg_segment_size: 112
    .language:       OpenCL C
    .language_version:
      - 2
      - 0
    .max_flat_workgroup_size: 361
    .name:           _ZN9rocsparseL20bsrxmvn_17_32_kernelILj19E21rocsparse_complex_numIdEiiS1_IfES2_S2_EEvT2_20rocsparse_direction_NS_24const_host_device_scalarIT0_EES4_PKS4_PKT1_SD_SA_PKT3_PKT4_S8_PT5_21rocsparse_index_base_b
    .private_segment_fixed_size: 0
    .sgpr_count:     22
    .sgpr_spill_count: 0
    .symbol:         _ZN9rocsparseL20bsrxmvn_17_32_kernelILj19E21rocsparse_complex_numIdEiiS1_IfES2_S2_EEvT2_20rocsparse_direction_NS_24const_host_device_scalarIT0_EES4_PKS4_PKT1_SD_SA_PKT3_PKT4_S8_PT5_21rocsparse_index_base_b.kd
    .uniform_work_group_size: 1
    .uses_dynamic_stack: false
    .vgpr_count:     26
    .vgpr_spill_count: 0
    .wavefront_size: 64
  - .args:
      - .offset:         0
        .size:           4
        .value_kind:     by_value
      - .offset:         4
        .size:           4
        .value_kind:     by_value
      - .offset:         8
        .size:           16
        .value_kind:     by_value
      - .offset:         24
        .size:           4
        .value_kind:     by_value
      - .actual_access:  read_only
        .address_space:  global
        .offset:         32
        .size:           8
        .value_kind:     global_buffer
      - .actual_access:  read_only
        .address_space:  global
        .offset:         40
        .size:           8
        .value_kind:     global_buffer
      - .actual_access:  read_only
        .address_space:  global
        .offset:         48
        .size:           8
        .value_kind:     global_buffer
      - .actual_access:  read_only
        .address_space:  global
        .offset:         56
        .size:           8
        .value_kind:     global_buffer
      - .actual_access:  read_only
        .address_space:  global
        .offset:         64
        .size:           8
        .value_kind:     global_buffer
      - .actual_access:  read_only
        .address_space:  global
        .offset:         72
        .size:           8
        .value_kind:     global_buffer
      - .offset:         80
        .size:           16
        .value_kind:     by_value
      - .address_space:  global
        .offset:         96
        .size:           8
        .value_kind:     global_buffer
      - .offset:         104
        .size:           4
        .value_kind:     by_value
      - .offset:         108
        .size:           1
        .value_kind:     by_value
    .group_segment_fixed_size: 6400
    .kernarg_segment_align: 8
    .kernarg_segment_size: 112
    .language:       OpenCL C
    .language_version:
      - 2
      - 0
    .max_flat_workgroup_size: 400
    .name:           _ZN9rocsparseL20bsrxmvn_17_32_kernelILj20E21rocsparse_complex_numIdEiiS1_IfES2_S2_EEvT2_20rocsparse_direction_NS_24const_host_device_scalarIT0_EES4_PKS4_PKT1_SD_SA_PKT3_PKT4_S8_PT5_21rocsparse_index_base_b
    .private_segment_fixed_size: 0
    .sgpr_count:     22
    .sgpr_spill_count: 0
    .symbol:         _ZN9rocsparseL20bsrxmvn_17_32_kernelILj20E21rocsparse_complex_numIdEiiS1_IfES2_S2_EEvT2_20rocsparse_direction_NS_24const_host_device_scalarIT0_EES4_PKS4_PKT1_SD_SA_PKT3_PKT4_S8_PT5_21rocsparse_index_base_b.kd
    .uniform_work_group_size: 1
    .uses_dynamic_stack: false
    .vgpr_count:     26
    .vgpr_spill_count: 0
    .wavefront_size: 64
  - .args:
      - .offset:         0
        .size:           4
        .value_kind:     by_value
      - .offset:         4
        .size:           4
        .value_kind:     by_value
      - .offset:         8
        .size:           16
        .value_kind:     by_value
      - .offset:         24
        .size:           4
        .value_kind:     by_value
      - .actual_access:  read_only
        .address_space:  global
        .offset:         32
        .size:           8
        .value_kind:     global_buffer
      - .actual_access:  read_only
        .address_space:  global
        .offset:         40
        .size:           8
        .value_kind:     global_buffer
      - .actual_access:  read_only
        .address_space:  global
        .offset:         48
        .size:           8
        .value_kind:     global_buffer
      - .actual_access:  read_only
        .address_space:  global
        .offset:         56
        .size:           8
        .value_kind:     global_buffer
      - .actual_access:  read_only
        .address_space:  global
        .offset:         64
        .size:           8
        .value_kind:     global_buffer
      - .actual_access:  read_only
        .address_space:  global
        .offset:         72
        .size:           8
        .value_kind:     global_buffer
      - .offset:         80
        .size:           16
        .value_kind:     by_value
      - .address_space:  global
        .offset:         96
        .size:           8
        .value_kind:     global_buffer
      - .offset:         104
        .size:           4
        .value_kind:     by_value
      - .offset:         108
        .size:           1
        .value_kind:     by_value
    .group_segment_fixed_size: 7056
    .kernarg_segment_align: 8
    .kernarg_segment_size: 112
    .language:       OpenCL C
    .language_version:
      - 2
      - 0
    .max_flat_workgroup_size: 441
    .name:           _ZN9rocsparseL20bsrxmvn_17_32_kernelILj21E21rocsparse_complex_numIdEiiS1_IfES2_S2_EEvT2_20rocsparse_direction_NS_24const_host_device_scalarIT0_EES4_PKS4_PKT1_SD_SA_PKT3_PKT4_S8_PT5_21rocsparse_index_base_b
    .private_segment_fixed_size: 0
    .sgpr_count:     22
    .sgpr_spill_count: 0
    .symbol:         _ZN9rocsparseL20bsrxmvn_17_32_kernelILj21E21rocsparse_complex_numIdEiiS1_IfES2_S2_EEvT2_20rocsparse_direction_NS_24const_host_device_scalarIT0_EES4_PKS4_PKT1_SD_SA_PKT3_PKT4_S8_PT5_21rocsparse_index_base_b.kd
    .uniform_work_group_size: 1
    .uses_dynamic_stack: false
    .vgpr_count:     26
    .vgpr_spill_count: 0
    .wavefront_size: 64
  - .args:
      - .offset:         0
        .size:           4
        .value_kind:     by_value
      - .offset:         4
        .size:           4
        .value_kind:     by_value
      - .offset:         8
        .size:           16
        .value_kind:     by_value
      - .offset:         24
        .size:           4
        .value_kind:     by_value
      - .actual_access:  read_only
        .address_space:  global
        .offset:         32
        .size:           8
        .value_kind:     global_buffer
      - .actual_access:  read_only
        .address_space:  global
        .offset:         40
        .size:           8
        .value_kind:     global_buffer
      - .actual_access:  read_only
        .address_space:  global
        .offset:         48
        .size:           8
        .value_kind:     global_buffer
      - .actual_access:  read_only
        .address_space:  global
        .offset:         56
        .size:           8
        .value_kind:     global_buffer
      - .actual_access:  read_only
        .address_space:  global
        .offset:         64
        .size:           8
        .value_kind:     global_buffer
      - .actual_access:  read_only
        .address_space:  global
        .offset:         72
        .size:           8
        .value_kind:     global_buffer
      - .offset:         80
        .size:           16
        .value_kind:     by_value
      - .address_space:  global
        .offset:         96
        .size:           8
        .value_kind:     global_buffer
      - .offset:         104
        .size:           4
        .value_kind:     by_value
      - .offset:         108
        .size:           1
        .value_kind:     by_value
    .group_segment_fixed_size: 7744
    .kernarg_segment_align: 8
    .kernarg_segment_size: 112
    .language:       OpenCL C
    .language_version:
      - 2
      - 0
    .max_flat_workgroup_size: 484
    .name:           _ZN9rocsparseL20bsrxmvn_17_32_kernelILj22E21rocsparse_complex_numIdEiiS1_IfES2_S2_EEvT2_20rocsparse_direction_NS_24const_host_device_scalarIT0_EES4_PKS4_PKT1_SD_SA_PKT3_PKT4_S8_PT5_21rocsparse_index_base_b
    .private_segment_fixed_size: 0
    .sgpr_count:     22
    .sgpr_spill_count: 0
    .symbol:         _ZN9rocsparseL20bsrxmvn_17_32_kernelILj22E21rocsparse_complex_numIdEiiS1_IfES2_S2_EEvT2_20rocsparse_direction_NS_24const_host_device_scalarIT0_EES4_PKS4_PKT1_SD_SA_PKT3_PKT4_S8_PT5_21rocsparse_index_base_b.kd
    .uniform_work_group_size: 1
    .uses_dynamic_stack: false
    .vgpr_count:     26
    .vgpr_spill_count: 0
    .wavefront_size: 64
  - .args:
      - .offset:         0
        .size:           4
        .value_kind:     by_value
      - .offset:         4
        .size:           4
        .value_kind:     by_value
      - .offset:         8
        .size:           16
        .value_kind:     by_value
      - .offset:         24
        .size:           4
        .value_kind:     by_value
      - .actual_access:  read_only
        .address_space:  global
        .offset:         32
        .size:           8
        .value_kind:     global_buffer
      - .actual_access:  read_only
        .address_space:  global
        .offset:         40
        .size:           8
        .value_kind:     global_buffer
      - .actual_access:  read_only
        .address_space:  global
        .offset:         48
        .size:           8
        .value_kind:     global_buffer
      - .actual_access:  read_only
        .address_space:  global
        .offset:         56
        .size:           8
        .value_kind:     global_buffer
      - .actual_access:  read_only
        .address_space:  global
        .offset:         64
        .size:           8
        .value_kind:     global_buffer
      - .actual_access:  read_only
        .address_space:  global
        .offset:         72
        .size:           8
        .value_kind:     global_buffer
      - .offset:         80
        .size:           16
        .value_kind:     by_value
      - .address_space:  global
        .offset:         96
        .size:           8
        .value_kind:     global_buffer
      - .offset:         104
        .size:           4
        .value_kind:     by_value
      - .offset:         108
        .size:           1
        .value_kind:     by_value
    .group_segment_fixed_size: 8464
    .kernarg_segment_align: 8
    .kernarg_segment_size: 112
    .language:       OpenCL C
    .language_version:
      - 2
      - 0
    .max_flat_workgroup_size: 529
    .name:           _ZN9rocsparseL20bsrxmvn_17_32_kernelILj23E21rocsparse_complex_numIdEiiS1_IfES2_S2_EEvT2_20rocsparse_direction_NS_24const_host_device_scalarIT0_EES4_PKS4_PKT1_SD_SA_PKT3_PKT4_S8_PT5_21rocsparse_index_base_b
    .private_segment_fixed_size: 0
    .sgpr_count:     22
    .sgpr_spill_count: 0
    .symbol:         _ZN9rocsparseL20bsrxmvn_17_32_kernelILj23E21rocsparse_complex_numIdEiiS1_IfES2_S2_EEvT2_20rocsparse_direction_NS_24const_host_device_scalarIT0_EES4_PKS4_PKT1_SD_SA_PKT3_PKT4_S8_PT5_21rocsparse_index_base_b.kd
    .uniform_work_group_size: 1
    .uses_dynamic_stack: false
    .vgpr_count:     26
    .vgpr_spill_count: 0
    .wavefront_size: 64
  - .args:
      - .offset:         0
        .size:           4
        .value_kind:     by_value
      - .offset:         4
        .size:           4
        .value_kind:     by_value
      - .offset:         8
        .size:           16
        .value_kind:     by_value
      - .offset:         24
        .size:           4
        .value_kind:     by_value
      - .actual_access:  read_only
        .address_space:  global
        .offset:         32
        .size:           8
        .value_kind:     global_buffer
      - .actual_access:  read_only
        .address_space:  global
        .offset:         40
        .size:           8
        .value_kind:     global_buffer
      - .actual_access:  read_only
        .address_space:  global
        .offset:         48
        .size:           8
        .value_kind:     global_buffer
      - .actual_access:  read_only
        .address_space:  global
        .offset:         56
        .size:           8
        .value_kind:     global_buffer
      - .actual_access:  read_only
        .address_space:  global
        .offset:         64
        .size:           8
        .value_kind:     global_buffer
      - .actual_access:  read_only
        .address_space:  global
        .offset:         72
        .size:           8
        .value_kind:     global_buffer
      - .offset:         80
        .size:           16
        .value_kind:     by_value
      - .address_space:  global
        .offset:         96
        .size:           8
        .value_kind:     global_buffer
      - .offset:         104
        .size:           4
        .value_kind:     by_value
      - .offset:         108
        .size:           1
        .value_kind:     by_value
    .group_segment_fixed_size: 9216
    .kernarg_segment_align: 8
    .kernarg_segment_size: 112
    .language:       OpenCL C
    .language_version:
      - 2
      - 0
    .max_flat_workgroup_size: 576
    .name:           _ZN9rocsparseL20bsrxmvn_17_32_kernelILj24E21rocsparse_complex_numIdEiiS1_IfES2_S2_EEvT2_20rocsparse_direction_NS_24const_host_device_scalarIT0_EES4_PKS4_PKT1_SD_SA_PKT3_PKT4_S8_PT5_21rocsparse_index_base_b
    .private_segment_fixed_size: 0
    .sgpr_count:     22
    .sgpr_spill_count: 0
    .symbol:         _ZN9rocsparseL20bsrxmvn_17_32_kernelILj24E21rocsparse_complex_numIdEiiS1_IfES2_S2_EEvT2_20rocsparse_direction_NS_24const_host_device_scalarIT0_EES4_PKS4_PKT1_SD_SA_PKT3_PKT4_S8_PT5_21rocsparse_index_base_b.kd
    .uniform_work_group_size: 1
    .uses_dynamic_stack: false
    .vgpr_count:     26
    .vgpr_spill_count: 0
    .wavefront_size: 64
  - .args:
      - .offset:         0
        .size:           4
        .value_kind:     by_value
      - .offset:         4
        .size:           4
        .value_kind:     by_value
      - .offset:         8
        .size:           16
        .value_kind:     by_value
      - .offset:         24
        .size:           4
        .value_kind:     by_value
      - .actual_access:  read_only
        .address_space:  global
        .offset:         32
        .size:           8
        .value_kind:     global_buffer
      - .actual_access:  read_only
        .address_space:  global
        .offset:         40
        .size:           8
        .value_kind:     global_buffer
      - .actual_access:  read_only
        .address_space:  global
        .offset:         48
        .size:           8
        .value_kind:     global_buffer
      - .actual_access:  read_only
        .address_space:  global
        .offset:         56
        .size:           8
        .value_kind:     global_buffer
      - .actual_access:  read_only
        .address_space:  global
        .offset:         64
        .size:           8
        .value_kind:     global_buffer
      - .actual_access:  read_only
        .address_space:  global
        .offset:         72
        .size:           8
        .value_kind:     global_buffer
      - .offset:         80
        .size:           16
        .value_kind:     by_value
      - .address_space:  global
        .offset:         96
        .size:           8
        .value_kind:     global_buffer
      - .offset:         104
        .size:           4
        .value_kind:     by_value
      - .offset:         108
        .size:           1
        .value_kind:     by_value
    .group_segment_fixed_size: 10000
    .kernarg_segment_align: 8
    .kernarg_segment_size: 112
    .language:       OpenCL C
    .language_version:
      - 2
      - 0
    .max_flat_workgroup_size: 625
    .name:           _ZN9rocsparseL20bsrxmvn_17_32_kernelILj25E21rocsparse_complex_numIdEiiS1_IfES2_S2_EEvT2_20rocsparse_direction_NS_24const_host_device_scalarIT0_EES4_PKS4_PKT1_SD_SA_PKT3_PKT4_S8_PT5_21rocsparse_index_base_b
    .private_segment_fixed_size: 0
    .sgpr_count:     22
    .sgpr_spill_count: 0
    .symbol:         _ZN9rocsparseL20bsrxmvn_17_32_kernelILj25E21rocsparse_complex_numIdEiiS1_IfES2_S2_EEvT2_20rocsparse_direction_NS_24const_host_device_scalarIT0_EES4_PKS4_PKT1_SD_SA_PKT3_PKT4_S8_PT5_21rocsparse_index_base_b.kd
    .uniform_work_group_size: 1
    .uses_dynamic_stack: false
    .vgpr_count:     26
    .vgpr_spill_count: 0
    .wavefront_size: 64
  - .args:
      - .offset:         0
        .size:           4
        .value_kind:     by_value
      - .offset:         4
        .size:           4
        .value_kind:     by_value
      - .offset:         8
        .size:           16
        .value_kind:     by_value
      - .offset:         24
        .size:           4
        .value_kind:     by_value
      - .actual_access:  read_only
        .address_space:  global
        .offset:         32
        .size:           8
        .value_kind:     global_buffer
      - .actual_access:  read_only
        .address_space:  global
        .offset:         40
        .size:           8
        .value_kind:     global_buffer
      - .actual_access:  read_only
        .address_space:  global
        .offset:         48
        .size:           8
        .value_kind:     global_buffer
      - .actual_access:  read_only
        .address_space:  global
        .offset:         56
        .size:           8
        .value_kind:     global_buffer
      - .actual_access:  read_only
        .address_space:  global
        .offset:         64
        .size:           8
        .value_kind:     global_buffer
      - .actual_access:  read_only
        .address_space:  global
        .offset:         72
        .size:           8
        .value_kind:     global_buffer
      - .offset:         80
        .size:           16
        .value_kind:     by_value
      - .address_space:  global
        .offset:         96
        .size:           8
        .value_kind:     global_buffer
      - .offset:         104
        .size:           4
        .value_kind:     by_value
      - .offset:         108
        .size:           1
        .value_kind:     by_value
    .group_segment_fixed_size: 10816
    .kernarg_segment_align: 8
    .kernarg_segment_size: 112
    .language:       OpenCL C
    .language_version:
      - 2
      - 0
    .max_flat_workgroup_size: 676
    .name:           _ZN9rocsparseL20bsrxmvn_17_32_kernelILj26E21rocsparse_complex_numIdEiiS1_IfES2_S2_EEvT2_20rocsparse_direction_NS_24const_host_device_scalarIT0_EES4_PKS4_PKT1_SD_SA_PKT3_PKT4_S8_PT5_21rocsparse_index_base_b
    .private_segment_fixed_size: 0
    .sgpr_count:     22
    .sgpr_spill_count: 0
    .symbol:         _ZN9rocsparseL20bsrxmvn_17_32_kernelILj26E21rocsparse_complex_numIdEiiS1_IfES2_S2_EEvT2_20rocsparse_direction_NS_24const_host_device_scalarIT0_EES4_PKS4_PKT1_SD_SA_PKT3_PKT4_S8_PT5_21rocsparse_index_base_b.kd
    .uniform_work_group_size: 1
    .uses_dynamic_stack: false
    .vgpr_count:     26
    .vgpr_spill_count: 0
    .wavefront_size: 64
  - .args:
      - .offset:         0
        .size:           4
        .value_kind:     by_value
      - .offset:         4
        .size:           4
        .value_kind:     by_value
      - .offset:         8
        .size:           16
        .value_kind:     by_value
      - .offset:         24
        .size:           4
        .value_kind:     by_value
      - .actual_access:  read_only
        .address_space:  global
        .offset:         32
        .size:           8
        .value_kind:     global_buffer
      - .actual_access:  read_only
        .address_space:  global
        .offset:         40
        .size:           8
        .value_kind:     global_buffer
      - .actual_access:  read_only
        .address_space:  global
        .offset:         48
        .size:           8
        .value_kind:     global_buffer
      - .actual_access:  read_only
        .address_space:  global
        .offset:         56
        .size:           8
        .value_kind:     global_buffer
      - .actual_access:  read_only
        .address_space:  global
        .offset:         64
        .size:           8
        .value_kind:     global_buffer
      - .actual_access:  read_only
        .address_space:  global
        .offset:         72
        .size:           8
        .value_kind:     global_buffer
      - .offset:         80
        .size:           16
        .value_kind:     by_value
      - .address_space:  global
        .offset:         96
        .size:           8
        .value_kind:     global_buffer
      - .offset:         104
        .size:           4
        .value_kind:     by_value
      - .offset:         108
        .size:           1
        .value_kind:     by_value
    .group_segment_fixed_size: 11664
    .kernarg_segment_align: 8
    .kernarg_segment_size: 112
    .language:       OpenCL C
    .language_version:
      - 2
      - 0
    .max_flat_workgroup_size: 729
    .name:           _ZN9rocsparseL20bsrxmvn_17_32_kernelILj27E21rocsparse_complex_numIdEiiS1_IfES2_S2_EEvT2_20rocsparse_direction_NS_24const_host_device_scalarIT0_EES4_PKS4_PKT1_SD_SA_PKT3_PKT4_S8_PT5_21rocsparse_index_base_b
    .private_segment_fixed_size: 0
    .sgpr_count:     22
    .sgpr_spill_count: 0
    .symbol:         _ZN9rocsparseL20bsrxmvn_17_32_kernelILj27E21rocsparse_complex_numIdEiiS1_IfES2_S2_EEvT2_20rocsparse_direction_NS_24const_host_device_scalarIT0_EES4_PKS4_PKT1_SD_SA_PKT3_PKT4_S8_PT5_21rocsparse_index_base_b.kd
    .uniform_work_group_size: 1
    .uses_dynamic_stack: false
    .vgpr_count:     26
    .vgpr_spill_count: 0
    .wavefront_size: 64
  - .args:
      - .offset:         0
        .size:           4
        .value_kind:     by_value
      - .offset:         4
        .size:           4
        .value_kind:     by_value
      - .offset:         8
        .size:           16
        .value_kind:     by_value
      - .offset:         24
        .size:           4
        .value_kind:     by_value
      - .actual_access:  read_only
        .address_space:  global
        .offset:         32
        .size:           8
        .value_kind:     global_buffer
      - .actual_access:  read_only
        .address_space:  global
        .offset:         40
        .size:           8
        .value_kind:     global_buffer
      - .actual_access:  read_only
        .address_space:  global
        .offset:         48
        .size:           8
        .value_kind:     global_buffer
      - .actual_access:  read_only
        .address_space:  global
        .offset:         56
        .size:           8
        .value_kind:     global_buffer
      - .actual_access:  read_only
        .address_space:  global
        .offset:         64
        .size:           8
        .value_kind:     global_buffer
      - .actual_access:  read_only
        .address_space:  global
        .offset:         72
        .size:           8
        .value_kind:     global_buffer
      - .offset:         80
        .size:           16
        .value_kind:     by_value
      - .address_space:  global
        .offset:         96
        .size:           8
        .value_kind:     global_buffer
      - .offset:         104
        .size:           4
        .value_kind:     by_value
      - .offset:         108
        .size:           1
        .value_kind:     by_value
    .group_segment_fixed_size: 12544
    .kernarg_segment_align: 8
    .kernarg_segment_size: 112
    .language:       OpenCL C
    .language_version:
      - 2
      - 0
    .max_flat_workgroup_size: 784
    .name:           _ZN9rocsparseL20bsrxmvn_17_32_kernelILj28E21rocsparse_complex_numIdEiiS1_IfES2_S2_EEvT2_20rocsparse_direction_NS_24const_host_device_scalarIT0_EES4_PKS4_PKT1_SD_SA_PKT3_PKT4_S8_PT5_21rocsparse_index_base_b
    .private_segment_fixed_size: 0
    .sgpr_count:     22
    .sgpr_spill_count: 0
    .symbol:         _ZN9rocsparseL20bsrxmvn_17_32_kernelILj28E21rocsparse_complex_numIdEiiS1_IfES2_S2_EEvT2_20rocsparse_direction_NS_24const_host_device_scalarIT0_EES4_PKS4_PKT1_SD_SA_PKT3_PKT4_S8_PT5_21rocsparse_index_base_b.kd
    .uniform_work_group_size: 1
    .uses_dynamic_stack: false
    .vgpr_count:     26
    .vgpr_spill_count: 0
    .wavefront_size: 64
  - .args:
      - .offset:         0
        .size:           4
        .value_kind:     by_value
      - .offset:         4
        .size:           4
        .value_kind:     by_value
      - .offset:         8
        .size:           16
        .value_kind:     by_value
      - .offset:         24
        .size:           4
        .value_kind:     by_value
      - .actual_access:  read_only
        .address_space:  global
        .offset:         32
        .size:           8
        .value_kind:     global_buffer
      - .actual_access:  read_only
        .address_space:  global
        .offset:         40
        .size:           8
        .value_kind:     global_buffer
      - .actual_access:  read_only
        .address_space:  global
        .offset:         48
        .size:           8
        .value_kind:     global_buffer
      - .actual_access:  read_only
        .address_space:  global
        .offset:         56
        .size:           8
        .value_kind:     global_buffer
      - .actual_access:  read_only
        .address_space:  global
        .offset:         64
        .size:           8
        .value_kind:     global_buffer
      - .actual_access:  read_only
        .address_space:  global
        .offset:         72
        .size:           8
        .value_kind:     global_buffer
      - .offset:         80
        .size:           16
        .value_kind:     by_value
      - .address_space:  global
        .offset:         96
        .size:           8
        .value_kind:     global_buffer
      - .offset:         104
        .size:           4
        .value_kind:     by_value
      - .offset:         108
        .size:           1
        .value_kind:     by_value
    .group_segment_fixed_size: 13456
    .kernarg_segment_align: 8
    .kernarg_segment_size: 112
    .language:       OpenCL C
    .language_version:
      - 2
      - 0
    .max_flat_workgroup_size: 841
    .name:           _ZN9rocsparseL20bsrxmvn_17_32_kernelILj29E21rocsparse_complex_numIdEiiS1_IfES2_S2_EEvT2_20rocsparse_direction_NS_24const_host_device_scalarIT0_EES4_PKS4_PKT1_SD_SA_PKT3_PKT4_S8_PT5_21rocsparse_index_base_b
    .private_segment_fixed_size: 0
    .sgpr_count:     22
    .sgpr_spill_count: 0
    .symbol:         _ZN9rocsparseL20bsrxmvn_17_32_kernelILj29E21rocsparse_complex_numIdEiiS1_IfES2_S2_EEvT2_20rocsparse_direction_NS_24const_host_device_scalarIT0_EES4_PKS4_PKT1_SD_SA_PKT3_PKT4_S8_PT5_21rocsparse_index_base_b.kd
    .uniform_work_group_size: 1
    .uses_dynamic_stack: false
    .vgpr_count:     26
    .vgpr_spill_count: 0
    .wavefront_size: 64
  - .args:
      - .offset:         0
        .size:           4
        .value_kind:     by_value
      - .offset:         4
        .size:           4
        .value_kind:     by_value
      - .offset:         8
        .size:           16
        .value_kind:     by_value
      - .offset:         24
        .size:           4
        .value_kind:     by_value
      - .actual_access:  read_only
        .address_space:  global
        .offset:         32
        .size:           8
        .value_kind:     global_buffer
      - .actual_access:  read_only
        .address_space:  global
        .offset:         40
        .size:           8
        .value_kind:     global_buffer
      - .actual_access:  read_only
        .address_space:  global
        .offset:         48
        .size:           8
        .value_kind:     global_buffer
      - .actual_access:  read_only
        .address_space:  global
        .offset:         56
        .size:           8
        .value_kind:     global_buffer
      - .actual_access:  read_only
        .address_space:  global
        .offset:         64
        .size:           8
        .value_kind:     global_buffer
      - .actual_access:  read_only
        .address_space:  global
        .offset:         72
        .size:           8
        .value_kind:     global_buffer
      - .offset:         80
        .size:           16
        .value_kind:     by_value
      - .address_space:  global
        .offset:         96
        .size:           8
        .value_kind:     global_buffer
      - .offset:         104
        .size:           4
        .value_kind:     by_value
      - .offset:         108
        .size:           1
        .value_kind:     by_value
    .group_segment_fixed_size: 14400
    .kernarg_segment_align: 8
    .kernarg_segment_size: 112
    .language:       OpenCL C
    .language_version:
      - 2
      - 0
    .max_flat_workgroup_size: 900
    .name:           _ZN9rocsparseL20bsrxmvn_17_32_kernelILj30E21rocsparse_complex_numIdEiiS1_IfES2_S2_EEvT2_20rocsparse_direction_NS_24const_host_device_scalarIT0_EES4_PKS4_PKT1_SD_SA_PKT3_PKT4_S8_PT5_21rocsparse_index_base_b
    .private_segment_fixed_size: 0
    .sgpr_count:     22
    .sgpr_spill_count: 0
    .symbol:         _ZN9rocsparseL20bsrxmvn_17_32_kernelILj30E21rocsparse_complex_numIdEiiS1_IfES2_S2_EEvT2_20rocsparse_direction_NS_24const_host_device_scalarIT0_EES4_PKS4_PKT1_SD_SA_PKT3_PKT4_S8_PT5_21rocsparse_index_base_b.kd
    .uniform_work_group_size: 1
    .uses_dynamic_stack: false
    .vgpr_count:     26
    .vgpr_spill_count: 0
    .wavefront_size: 64
  - .args:
      - .offset:         0
        .size:           4
        .value_kind:     by_value
      - .offset:         4
        .size:           4
        .value_kind:     by_value
      - .offset:         8
        .size:           16
        .value_kind:     by_value
      - .offset:         24
        .size:           4
        .value_kind:     by_value
      - .actual_access:  read_only
        .address_space:  global
        .offset:         32
        .size:           8
        .value_kind:     global_buffer
      - .actual_access:  read_only
        .address_space:  global
        .offset:         40
        .size:           8
        .value_kind:     global_buffer
      - .actual_access:  read_only
        .address_space:  global
        .offset:         48
        .size:           8
        .value_kind:     global_buffer
      - .actual_access:  read_only
        .address_space:  global
        .offset:         56
        .size:           8
        .value_kind:     global_buffer
      - .actual_access:  read_only
        .address_space:  global
        .offset:         64
        .size:           8
        .value_kind:     global_buffer
      - .actual_access:  read_only
        .address_space:  global
        .offset:         72
        .size:           8
        .value_kind:     global_buffer
      - .offset:         80
        .size:           16
        .value_kind:     by_value
      - .address_space:  global
        .offset:         96
        .size:           8
        .value_kind:     global_buffer
      - .offset:         104
        .size:           4
        .value_kind:     by_value
      - .offset:         108
        .size:           1
        .value_kind:     by_value
    .group_segment_fixed_size: 15376
    .kernarg_segment_align: 8
    .kernarg_segment_size: 112
    .language:       OpenCL C
    .language_version:
      - 2
      - 0
    .max_flat_workgroup_size: 961
    .name:           _ZN9rocsparseL20bsrxmvn_17_32_kernelILj31E21rocsparse_complex_numIdEiiS1_IfES2_S2_EEvT2_20rocsparse_direction_NS_24const_host_device_scalarIT0_EES4_PKS4_PKT1_SD_SA_PKT3_PKT4_S8_PT5_21rocsparse_index_base_b
    .private_segment_fixed_size: 0
    .sgpr_count:     22
    .sgpr_spill_count: 0
    .symbol:         _ZN9rocsparseL20bsrxmvn_17_32_kernelILj31E21rocsparse_complex_numIdEiiS1_IfES2_S2_EEvT2_20rocsparse_direction_NS_24const_host_device_scalarIT0_EES4_PKS4_PKT1_SD_SA_PKT3_PKT4_S8_PT5_21rocsparse_index_base_b.kd
    .uniform_work_group_size: 1
    .uses_dynamic_stack: false
    .vgpr_count:     26
    .vgpr_spill_count: 0
    .wavefront_size: 64
  - .args:
      - .offset:         0
        .size:           4
        .value_kind:     by_value
      - .offset:         4
        .size:           4
        .value_kind:     by_value
      - .offset:         8
        .size:           16
        .value_kind:     by_value
      - .offset:         24
        .size:           4
        .value_kind:     by_value
      - .actual_access:  read_only
        .address_space:  global
        .offset:         32
        .size:           8
        .value_kind:     global_buffer
      - .actual_access:  read_only
        .address_space:  global
        .offset:         40
        .size:           8
        .value_kind:     global_buffer
      - .actual_access:  read_only
        .address_space:  global
        .offset:         48
        .size:           8
        .value_kind:     global_buffer
      - .actual_access:  read_only
        .address_space:  global
        .offset:         56
        .size:           8
        .value_kind:     global_buffer
      - .actual_access:  read_only
        .address_space:  global
        .offset:         64
        .size:           8
        .value_kind:     global_buffer
      - .actual_access:  read_only
        .address_space:  global
        .offset:         72
        .size:           8
        .value_kind:     global_buffer
      - .offset:         80
        .size:           16
        .value_kind:     by_value
      - .address_space:  global
        .offset:         96
        .size:           8
        .value_kind:     global_buffer
      - .offset:         104
        .size:           4
        .value_kind:     by_value
      - .offset:         108
        .size:           1
        .value_kind:     by_value
    .group_segment_fixed_size: 16384
    .kernarg_segment_align: 8
    .kernarg_segment_size: 112
    .language:       OpenCL C
    .language_version:
      - 2
      - 0
    .max_flat_workgroup_size: 1024
    .name:           _ZN9rocsparseL20bsrxmvn_17_32_kernelILj32E21rocsparse_complex_numIdEiiS1_IfES2_S2_EEvT2_20rocsparse_direction_NS_24const_host_device_scalarIT0_EES4_PKS4_PKT1_SD_SA_PKT3_PKT4_S8_PT5_21rocsparse_index_base_b
    .private_segment_fixed_size: 0
    .sgpr_count:     22
    .sgpr_spill_count: 0
    .symbol:         _ZN9rocsparseL20bsrxmvn_17_32_kernelILj32E21rocsparse_complex_numIdEiiS1_IfES2_S2_EEvT2_20rocsparse_direction_NS_24const_host_device_scalarIT0_EES4_PKS4_PKT1_SD_SA_PKT3_PKT4_S8_PT5_21rocsparse_index_base_b.kd
    .uniform_work_group_size: 1
    .uses_dynamic_stack: false
    .vgpr_count:     26
    .vgpr_spill_count: 0
    .wavefront_size: 64
  - .args:
      - .offset:         0
        .size:           4
        .value_kind:     by_value
      - .offset:         4
        .size:           4
        .value_kind:     by_value
      - .offset:         8
        .size:           16
        .value_kind:     by_value
      - .offset:         24
        .size:           4
        .value_kind:     by_value
      - .actual_access:  read_only
        .address_space:  global
        .offset:         32
        .size:           8
        .value_kind:     global_buffer
      - .actual_access:  read_only
        .address_space:  global
        .offset:         40
        .size:           8
        .value_kind:     global_buffer
      - .actual_access:  read_only
        .address_space:  global
        .offset:         48
        .size:           8
        .value_kind:     global_buffer
      - .actual_access:  read_only
        .address_space:  global
        .offset:         56
        .size:           8
        .value_kind:     global_buffer
      - .actual_access:  read_only
        .address_space:  global
        .offset:         64
        .size:           8
        .value_kind:     global_buffer
      - .actual_access:  read_only
        .address_space:  global
        .offset:         72
        .size:           8
        .value_kind:     global_buffer
      - .offset:         80
        .size:           16
        .value_kind:     by_value
      - .address_space:  global
        .offset:         96
        .size:           8
        .value_kind:     global_buffer
      - .offset:         104
        .size:           4
        .value_kind:     by_value
      - .offset:         108
        .size:           1
        .value_kind:     by_value
    .group_segment_fixed_size: 4624
    .kernarg_segment_align: 8
    .kernarg_segment_size: 112
    .language:       OpenCL C
    .language_version:
      - 2
      - 0
    .max_flat_workgroup_size: 289
    .name:           _ZN9rocsparseL20bsrxmvn_17_32_kernelILj17E21rocsparse_complex_numIdEliS1_IfES2_S2_EEvT2_20rocsparse_direction_NS_24const_host_device_scalarIT0_EES4_PKS4_PKT1_SD_SA_PKT3_PKT4_S8_PT5_21rocsparse_index_base_b
    .private_segment_fixed_size: 0
    .sgpr_count:     26
    .sgpr_spill_count: 0
    .symbol:         _ZN9rocsparseL20bsrxmvn_17_32_kernelILj17E21rocsparse_complex_numIdEliS1_IfES2_S2_EEvT2_20rocsparse_direction_NS_24const_host_device_scalarIT0_EES4_PKS4_PKT1_SD_SA_PKT3_PKT4_S8_PT5_21rocsparse_index_base_b.kd
    .uniform_work_group_size: 1
    .uses_dynamic_stack: false
    .vgpr_count:     30
    .vgpr_spill_count: 0
    .wavefront_size: 64
  - .args:
      - .offset:         0
        .size:           4
        .value_kind:     by_value
      - .offset:         4
        .size:           4
        .value_kind:     by_value
      - .offset:         8
        .size:           16
        .value_kind:     by_value
      - .offset:         24
        .size:           4
        .value_kind:     by_value
      - .actual_access:  read_only
        .address_space:  global
        .offset:         32
        .size:           8
        .value_kind:     global_buffer
      - .actual_access:  read_only
        .address_space:  global
        .offset:         40
        .size:           8
        .value_kind:     global_buffer
      - .actual_access:  read_only
        .address_space:  global
        .offset:         48
        .size:           8
        .value_kind:     global_buffer
      - .actual_access:  read_only
        .address_space:  global
        .offset:         56
        .size:           8
        .value_kind:     global_buffer
      - .actual_access:  read_only
        .address_space:  global
        .offset:         64
        .size:           8
        .value_kind:     global_buffer
      - .actual_access:  read_only
        .address_space:  global
        .offset:         72
        .size:           8
        .value_kind:     global_buffer
      - .offset:         80
        .size:           16
        .value_kind:     by_value
      - .address_space:  global
        .offset:         96
        .size:           8
        .value_kind:     global_buffer
      - .offset:         104
        .size:           4
        .value_kind:     by_value
      - .offset:         108
        .size:           1
        .value_kind:     by_value
    .group_segment_fixed_size: 5184
    .kernarg_segment_align: 8
    .kernarg_segment_size: 112
    .language:       OpenCL C
    .language_version:
      - 2
      - 0
    .max_flat_workgroup_size: 324
    .name:           _ZN9rocsparseL20bsrxmvn_17_32_kernelILj18E21rocsparse_complex_numIdEliS1_IfES2_S2_EEvT2_20rocsparse_direction_NS_24const_host_device_scalarIT0_EES4_PKS4_PKT1_SD_SA_PKT3_PKT4_S8_PT5_21rocsparse_index_base_b
    .private_segment_fixed_size: 0
    .sgpr_count:     28
    .sgpr_spill_count: 0
    .symbol:         _ZN9rocsparseL20bsrxmvn_17_32_kernelILj18E21rocsparse_complex_numIdEliS1_IfES2_S2_EEvT2_20rocsparse_direction_NS_24const_host_device_scalarIT0_EES4_PKS4_PKT1_SD_SA_PKT3_PKT4_S8_PT5_21rocsparse_index_base_b.kd
    .uniform_work_group_size: 1
    .uses_dynamic_stack: false
    .vgpr_count:     30
    .vgpr_spill_count: 0
    .wavefront_size: 64
  - .args:
      - .offset:         0
        .size:           4
        .value_kind:     by_value
      - .offset:         4
        .size:           4
        .value_kind:     by_value
      - .offset:         8
        .size:           16
        .value_kind:     by_value
      - .offset:         24
        .size:           4
        .value_kind:     by_value
      - .actual_access:  read_only
        .address_space:  global
        .offset:         32
        .size:           8
        .value_kind:     global_buffer
      - .actual_access:  read_only
        .address_space:  global
        .offset:         40
        .size:           8
        .value_kind:     global_buffer
      - .actual_access:  read_only
        .address_space:  global
        .offset:         48
        .size:           8
        .value_kind:     global_buffer
      - .actual_access:  read_only
        .address_space:  global
        .offset:         56
        .size:           8
        .value_kind:     global_buffer
      - .actual_access:  read_only
        .address_space:  global
        .offset:         64
        .size:           8
        .value_kind:     global_buffer
      - .actual_access:  read_only
        .address_space:  global
        .offset:         72
        .size:           8
        .value_kind:     global_buffer
      - .offset:         80
        .size:           16
        .value_kind:     by_value
      - .address_space:  global
        .offset:         96
        .size:           8
        .value_kind:     global_buffer
      - .offset:         104
        .size:           4
        .value_kind:     by_value
      - .offset:         108
        .size:           1
        .value_kind:     by_value
    .group_segment_fixed_size: 5776
    .kernarg_segment_align: 8
    .kernarg_segment_size: 112
    .language:       OpenCL C
    .language_version:
      - 2
      - 0
    .max_flat_workgroup_size: 361
    .name:           _ZN9rocsparseL20bsrxmvn_17_32_kernelILj19E21rocsparse_complex_numIdEliS1_IfES2_S2_EEvT2_20rocsparse_direction_NS_24const_host_device_scalarIT0_EES4_PKS4_PKT1_SD_SA_PKT3_PKT4_S8_PT5_21rocsparse_index_base_b
    .private_segment_fixed_size: 0
    .sgpr_count:     28
    .sgpr_spill_count: 0
    .symbol:         _ZN9rocsparseL20bsrxmvn_17_32_kernelILj19E21rocsparse_complex_numIdEliS1_IfES2_S2_EEvT2_20rocsparse_direction_NS_24const_host_device_scalarIT0_EES4_PKS4_PKT1_SD_SA_PKT3_PKT4_S8_PT5_21rocsparse_index_base_b.kd
    .uniform_work_group_size: 1
    .uses_dynamic_stack: false
    .vgpr_count:     30
    .vgpr_spill_count: 0
    .wavefront_size: 64
  - .args:
      - .offset:         0
        .size:           4
        .value_kind:     by_value
      - .offset:         4
        .size:           4
        .value_kind:     by_value
      - .offset:         8
        .size:           16
        .value_kind:     by_value
      - .offset:         24
        .size:           4
        .value_kind:     by_value
      - .actual_access:  read_only
        .address_space:  global
        .offset:         32
        .size:           8
        .value_kind:     global_buffer
      - .actual_access:  read_only
        .address_space:  global
        .offset:         40
        .size:           8
        .value_kind:     global_buffer
      - .actual_access:  read_only
        .address_space:  global
        .offset:         48
        .size:           8
        .value_kind:     global_buffer
      - .actual_access:  read_only
        .address_space:  global
        .offset:         56
        .size:           8
        .value_kind:     global_buffer
      - .actual_access:  read_only
        .address_space:  global
        .offset:         64
        .size:           8
        .value_kind:     global_buffer
      - .actual_access:  read_only
        .address_space:  global
        .offset:         72
        .size:           8
        .value_kind:     global_buffer
      - .offset:         80
        .size:           16
        .value_kind:     by_value
      - .address_space:  global
        .offset:         96
        .size:           8
        .value_kind:     global_buffer
      - .offset:         104
        .size:           4
        .value_kind:     by_value
      - .offset:         108
        .size:           1
        .value_kind:     by_value
    .group_segment_fixed_size: 6400
    .kernarg_segment_align: 8
    .kernarg_segment_size: 112
    .language:       OpenCL C
    .language_version:
      - 2
      - 0
    .max_flat_workgroup_size: 400
    .name:           _ZN9rocsparseL20bsrxmvn_17_32_kernelILj20E21rocsparse_complex_numIdEliS1_IfES2_S2_EEvT2_20rocsparse_direction_NS_24const_host_device_scalarIT0_EES4_PKS4_PKT1_SD_SA_PKT3_PKT4_S8_PT5_21rocsparse_index_base_b
    .private_segment_fixed_size: 0
    .sgpr_count:     28
    .sgpr_spill_count: 0
    .symbol:         _ZN9rocsparseL20bsrxmvn_17_32_kernelILj20E21rocsparse_complex_numIdEliS1_IfES2_S2_EEvT2_20rocsparse_direction_NS_24const_host_device_scalarIT0_EES4_PKS4_PKT1_SD_SA_PKT3_PKT4_S8_PT5_21rocsparse_index_base_b.kd
    .uniform_work_group_size: 1
    .uses_dynamic_stack: false
    .vgpr_count:     30
    .vgpr_spill_count: 0
    .wavefront_size: 64
  - .args:
      - .offset:         0
        .size:           4
        .value_kind:     by_value
      - .offset:         4
        .size:           4
        .value_kind:     by_value
      - .offset:         8
        .size:           16
        .value_kind:     by_value
      - .offset:         24
        .size:           4
        .value_kind:     by_value
      - .actual_access:  read_only
        .address_space:  global
        .offset:         32
        .size:           8
        .value_kind:     global_buffer
      - .actual_access:  read_only
        .address_space:  global
        .offset:         40
        .size:           8
        .value_kind:     global_buffer
      - .actual_access:  read_only
        .address_space:  global
        .offset:         48
        .size:           8
        .value_kind:     global_buffer
      - .actual_access:  read_only
        .address_space:  global
        .offset:         56
        .size:           8
        .value_kind:     global_buffer
      - .actual_access:  read_only
        .address_space:  global
        .offset:         64
        .size:           8
        .value_kind:     global_buffer
      - .actual_access:  read_only
        .address_space:  global
        .offset:         72
        .size:           8
        .value_kind:     global_buffer
      - .offset:         80
        .size:           16
        .value_kind:     by_value
      - .address_space:  global
        .offset:         96
        .size:           8
        .value_kind:     global_buffer
      - .offset:         104
        .size:           4
        .value_kind:     by_value
      - .offset:         108
        .size:           1
        .value_kind:     by_value
    .group_segment_fixed_size: 7056
    .kernarg_segment_align: 8
    .kernarg_segment_size: 112
    .language:       OpenCL C
    .language_version:
      - 2
      - 0
    .max_flat_workgroup_size: 441
    .name:           _ZN9rocsparseL20bsrxmvn_17_32_kernelILj21E21rocsparse_complex_numIdEliS1_IfES2_S2_EEvT2_20rocsparse_direction_NS_24const_host_device_scalarIT0_EES4_PKS4_PKT1_SD_SA_PKT3_PKT4_S8_PT5_21rocsparse_index_base_b
    .private_segment_fixed_size: 0
    .sgpr_count:     26
    .sgpr_spill_count: 0
    .symbol:         _ZN9rocsparseL20bsrxmvn_17_32_kernelILj21E21rocsparse_complex_numIdEliS1_IfES2_S2_EEvT2_20rocsparse_direction_NS_24const_host_device_scalarIT0_EES4_PKS4_PKT1_SD_SA_PKT3_PKT4_S8_PT5_21rocsparse_index_base_b.kd
    .uniform_work_group_size: 1
    .uses_dynamic_stack: false
    .vgpr_count:     30
    .vgpr_spill_count: 0
    .wavefront_size: 64
  - .args:
      - .offset:         0
        .size:           4
        .value_kind:     by_value
      - .offset:         4
        .size:           4
        .value_kind:     by_value
      - .offset:         8
        .size:           16
        .value_kind:     by_value
      - .offset:         24
        .size:           4
        .value_kind:     by_value
      - .actual_access:  read_only
        .address_space:  global
        .offset:         32
        .size:           8
        .value_kind:     global_buffer
      - .actual_access:  read_only
        .address_space:  global
        .offset:         40
        .size:           8
        .value_kind:     global_buffer
      - .actual_access:  read_only
        .address_space:  global
        .offset:         48
        .size:           8
        .value_kind:     global_buffer
      - .actual_access:  read_only
        .address_space:  global
        .offset:         56
        .size:           8
        .value_kind:     global_buffer
      - .actual_access:  read_only
        .address_space:  global
        .offset:         64
        .size:           8
        .value_kind:     global_buffer
      - .actual_access:  read_only
        .address_space:  global
        .offset:         72
        .size:           8
        .value_kind:     global_buffer
      - .offset:         80
        .size:           16
        .value_kind:     by_value
      - .address_space:  global
        .offset:         96
        .size:           8
        .value_kind:     global_buffer
      - .offset:         104
        .size:           4
        .value_kind:     by_value
      - .offset:         108
        .size:           1
        .value_kind:     by_value
    .group_segment_fixed_size: 7744
    .kernarg_segment_align: 8
    .kernarg_segment_size: 112
    .language:       OpenCL C
    .language_version:
      - 2
      - 0
    .max_flat_workgroup_size: 484
    .name:           _ZN9rocsparseL20bsrxmvn_17_32_kernelILj22E21rocsparse_complex_numIdEliS1_IfES2_S2_EEvT2_20rocsparse_direction_NS_24const_host_device_scalarIT0_EES4_PKS4_PKT1_SD_SA_PKT3_PKT4_S8_PT5_21rocsparse_index_base_b
    .private_segment_fixed_size: 0
    .sgpr_count:     28
    .sgpr_spill_count: 0
    .symbol:         _ZN9rocsparseL20bsrxmvn_17_32_kernelILj22E21rocsparse_complex_numIdEliS1_IfES2_S2_EEvT2_20rocsparse_direction_NS_24const_host_device_scalarIT0_EES4_PKS4_PKT1_SD_SA_PKT3_PKT4_S8_PT5_21rocsparse_index_base_b.kd
    .uniform_work_group_size: 1
    .uses_dynamic_stack: false
    .vgpr_count:     30
    .vgpr_spill_count: 0
    .wavefront_size: 64
  - .args:
      - .offset:         0
        .size:           4
        .value_kind:     by_value
      - .offset:         4
        .size:           4
        .value_kind:     by_value
      - .offset:         8
        .size:           16
        .value_kind:     by_value
      - .offset:         24
        .size:           4
        .value_kind:     by_value
      - .actual_access:  read_only
        .address_space:  global
        .offset:         32
        .size:           8
        .value_kind:     global_buffer
      - .actual_access:  read_only
        .address_space:  global
        .offset:         40
        .size:           8
        .value_kind:     global_buffer
      - .actual_access:  read_only
        .address_space:  global
        .offset:         48
        .size:           8
        .value_kind:     global_buffer
      - .actual_access:  read_only
        .address_space:  global
        .offset:         56
        .size:           8
        .value_kind:     global_buffer
      - .actual_access:  read_only
        .address_space:  global
        .offset:         64
        .size:           8
        .value_kind:     global_buffer
      - .actual_access:  read_only
        .address_space:  global
        .offset:         72
        .size:           8
        .value_kind:     global_buffer
      - .offset:         80
        .size:           16
        .value_kind:     by_value
      - .address_space:  global
        .offset:         96
        .size:           8
        .value_kind:     global_buffer
      - .offset:         104
        .size:           4
        .value_kind:     by_value
      - .offset:         108
        .size:           1
        .value_kind:     by_value
    .group_segment_fixed_size: 8464
    .kernarg_segment_align: 8
    .kernarg_segment_size: 112
    .language:       OpenCL C
    .language_version:
      - 2
      - 0
    .max_flat_workgroup_size: 529
    .name:           _ZN9rocsparseL20bsrxmvn_17_32_kernelILj23E21rocsparse_complex_numIdEliS1_IfES2_S2_EEvT2_20rocsparse_direction_NS_24const_host_device_scalarIT0_EES4_PKS4_PKT1_SD_SA_PKT3_PKT4_S8_PT5_21rocsparse_index_base_b
    .private_segment_fixed_size: 0
    .sgpr_count:     26
    .sgpr_spill_count: 0
    .symbol:         _ZN9rocsparseL20bsrxmvn_17_32_kernelILj23E21rocsparse_complex_numIdEliS1_IfES2_S2_EEvT2_20rocsparse_direction_NS_24const_host_device_scalarIT0_EES4_PKS4_PKT1_SD_SA_PKT3_PKT4_S8_PT5_21rocsparse_index_base_b.kd
    .uniform_work_group_size: 1
    .uses_dynamic_stack: false
    .vgpr_count:     30
    .vgpr_spill_count: 0
    .wavefront_size: 64
  - .args:
      - .offset:         0
        .size:           4
        .value_kind:     by_value
      - .offset:         4
        .size:           4
        .value_kind:     by_value
      - .offset:         8
        .size:           16
        .value_kind:     by_value
      - .offset:         24
        .size:           4
        .value_kind:     by_value
      - .actual_access:  read_only
        .address_space:  global
        .offset:         32
        .size:           8
        .value_kind:     global_buffer
      - .actual_access:  read_only
        .address_space:  global
        .offset:         40
        .size:           8
        .value_kind:     global_buffer
      - .actual_access:  read_only
        .address_space:  global
        .offset:         48
        .size:           8
        .value_kind:     global_buffer
      - .actual_access:  read_only
        .address_space:  global
        .offset:         56
        .size:           8
        .value_kind:     global_buffer
      - .actual_access:  read_only
        .address_space:  global
        .offset:         64
        .size:           8
        .value_kind:     global_buffer
      - .actual_access:  read_only
        .address_space:  global
        .offset:         72
        .size:           8
        .value_kind:     global_buffer
      - .offset:         80
        .size:           16
        .value_kind:     by_value
      - .address_space:  global
        .offset:         96
        .size:           8
        .value_kind:     global_buffer
      - .offset:         104
        .size:           4
        .value_kind:     by_value
      - .offset:         108
        .size:           1
        .value_kind:     by_value
    .group_segment_fixed_size: 9216
    .kernarg_segment_align: 8
    .kernarg_segment_size: 112
    .language:       OpenCL C
    .language_version:
      - 2
      - 0
    .max_flat_workgroup_size: 576
    .name:           _ZN9rocsparseL20bsrxmvn_17_32_kernelILj24E21rocsparse_complex_numIdEliS1_IfES2_S2_EEvT2_20rocsparse_direction_NS_24const_host_device_scalarIT0_EES4_PKS4_PKT1_SD_SA_PKT3_PKT4_S8_PT5_21rocsparse_index_base_b
    .private_segment_fixed_size: 0
    .sgpr_count:     26
    .sgpr_spill_count: 0
    .symbol:         _ZN9rocsparseL20bsrxmvn_17_32_kernelILj24E21rocsparse_complex_numIdEliS1_IfES2_S2_EEvT2_20rocsparse_direction_NS_24const_host_device_scalarIT0_EES4_PKS4_PKT1_SD_SA_PKT3_PKT4_S8_PT5_21rocsparse_index_base_b.kd
    .uniform_work_group_size: 1
    .uses_dynamic_stack: false
    .vgpr_count:     30
    .vgpr_spill_count: 0
    .wavefront_size: 64
  - .args:
      - .offset:         0
        .size:           4
        .value_kind:     by_value
      - .offset:         4
        .size:           4
        .value_kind:     by_value
      - .offset:         8
        .size:           16
        .value_kind:     by_value
      - .offset:         24
        .size:           4
        .value_kind:     by_value
      - .actual_access:  read_only
        .address_space:  global
        .offset:         32
        .size:           8
        .value_kind:     global_buffer
      - .actual_access:  read_only
        .address_space:  global
        .offset:         40
        .size:           8
        .value_kind:     global_buffer
      - .actual_access:  read_only
        .address_space:  global
        .offset:         48
        .size:           8
        .value_kind:     global_buffer
      - .actual_access:  read_only
        .address_space:  global
        .offset:         56
        .size:           8
        .value_kind:     global_buffer
      - .actual_access:  read_only
        .address_space:  global
        .offset:         64
        .size:           8
        .value_kind:     global_buffer
      - .actual_access:  read_only
        .address_space:  global
        .offset:         72
        .size:           8
        .value_kind:     global_buffer
      - .offset:         80
        .size:           16
        .value_kind:     by_value
      - .address_space:  global
        .offset:         96
        .size:           8
        .value_kind:     global_buffer
      - .offset:         104
        .size:           4
        .value_kind:     by_value
      - .offset:         108
        .size:           1
        .value_kind:     by_value
    .group_segment_fixed_size: 10000
    .kernarg_segment_align: 8
    .kernarg_segment_size: 112
    .language:       OpenCL C
    .language_version:
      - 2
      - 0
    .max_flat_workgroup_size: 625
    .name:           _ZN9rocsparseL20bsrxmvn_17_32_kernelILj25E21rocsparse_complex_numIdEliS1_IfES2_S2_EEvT2_20rocsparse_direction_NS_24const_host_device_scalarIT0_EES4_PKS4_PKT1_SD_SA_PKT3_PKT4_S8_PT5_21rocsparse_index_base_b
    .private_segment_fixed_size: 0
    .sgpr_count:     26
    .sgpr_spill_count: 0
    .symbol:         _ZN9rocsparseL20bsrxmvn_17_32_kernelILj25E21rocsparse_complex_numIdEliS1_IfES2_S2_EEvT2_20rocsparse_direction_NS_24const_host_device_scalarIT0_EES4_PKS4_PKT1_SD_SA_PKT3_PKT4_S8_PT5_21rocsparse_index_base_b.kd
    .uniform_work_group_size: 1
    .uses_dynamic_stack: false
    .vgpr_count:     30
    .vgpr_spill_count: 0
    .wavefront_size: 64
  - .args:
      - .offset:         0
        .size:           4
        .value_kind:     by_value
      - .offset:         4
        .size:           4
        .value_kind:     by_value
      - .offset:         8
        .size:           16
        .value_kind:     by_value
      - .offset:         24
        .size:           4
        .value_kind:     by_value
      - .actual_access:  read_only
        .address_space:  global
        .offset:         32
        .size:           8
        .value_kind:     global_buffer
      - .actual_access:  read_only
        .address_space:  global
        .offset:         40
        .size:           8
        .value_kind:     global_buffer
      - .actual_access:  read_only
        .address_space:  global
        .offset:         48
        .size:           8
        .value_kind:     global_buffer
      - .actual_access:  read_only
        .address_space:  global
        .offset:         56
        .size:           8
        .value_kind:     global_buffer
      - .actual_access:  read_only
        .address_space:  global
        .offset:         64
        .size:           8
        .value_kind:     global_buffer
      - .actual_access:  read_only
        .address_space:  global
        .offset:         72
        .size:           8
        .value_kind:     global_buffer
      - .offset:         80
        .size:           16
        .value_kind:     by_value
      - .address_space:  global
        .offset:         96
        .size:           8
        .value_kind:     global_buffer
      - .offset:         104
        .size:           4
        .value_kind:     by_value
      - .offset:         108
        .size:           1
        .value_kind:     by_value
    .group_segment_fixed_size: 10816
    .kernarg_segment_align: 8
    .kernarg_segment_size: 112
    .language:       OpenCL C
    .language_version:
      - 2
      - 0
    .max_flat_workgroup_size: 676
    .name:           _ZN9rocsparseL20bsrxmvn_17_32_kernelILj26E21rocsparse_complex_numIdEliS1_IfES2_S2_EEvT2_20rocsparse_direction_NS_24const_host_device_scalarIT0_EES4_PKS4_PKT1_SD_SA_PKT3_PKT4_S8_PT5_21rocsparse_index_base_b
    .private_segment_fixed_size: 0
    .sgpr_count:     26
    .sgpr_spill_count: 0
    .symbol:         _ZN9rocsparseL20bsrxmvn_17_32_kernelILj26E21rocsparse_complex_numIdEliS1_IfES2_S2_EEvT2_20rocsparse_direction_NS_24const_host_device_scalarIT0_EES4_PKS4_PKT1_SD_SA_PKT3_PKT4_S8_PT5_21rocsparse_index_base_b.kd
    .uniform_work_group_size: 1
    .uses_dynamic_stack: false
    .vgpr_count:     30
    .vgpr_spill_count: 0
    .wavefront_size: 64
  - .args:
      - .offset:         0
        .size:           4
        .value_kind:     by_value
      - .offset:         4
        .size:           4
        .value_kind:     by_value
      - .offset:         8
        .size:           16
        .value_kind:     by_value
      - .offset:         24
        .size:           4
        .value_kind:     by_value
      - .actual_access:  read_only
        .address_space:  global
        .offset:         32
        .size:           8
        .value_kind:     global_buffer
      - .actual_access:  read_only
        .address_space:  global
        .offset:         40
        .size:           8
        .value_kind:     global_buffer
      - .actual_access:  read_only
        .address_space:  global
        .offset:         48
        .size:           8
        .value_kind:     global_buffer
      - .actual_access:  read_only
        .address_space:  global
        .offset:         56
        .size:           8
        .value_kind:     global_buffer
      - .actual_access:  read_only
        .address_space:  global
        .offset:         64
        .size:           8
        .value_kind:     global_buffer
      - .actual_access:  read_only
        .address_space:  global
        .offset:         72
        .size:           8
        .value_kind:     global_buffer
      - .offset:         80
        .size:           16
        .value_kind:     by_value
      - .address_space:  global
        .offset:         96
        .size:           8
        .value_kind:     global_buffer
      - .offset:         104
        .size:           4
        .value_kind:     by_value
      - .offset:         108
        .size:           1
        .value_kind:     by_value
    .group_segment_fixed_size: 11664
    .kernarg_segment_align: 8
    .kernarg_segment_size: 112
    .language:       OpenCL C
    .language_version:
      - 2
      - 0
    .max_flat_workgroup_size: 729
    .name:           _ZN9rocsparseL20bsrxmvn_17_32_kernelILj27E21rocsparse_complex_numIdEliS1_IfES2_S2_EEvT2_20rocsparse_direction_NS_24const_host_device_scalarIT0_EES4_PKS4_PKT1_SD_SA_PKT3_PKT4_S8_PT5_21rocsparse_index_base_b
    .private_segment_fixed_size: 0
    .sgpr_count:     26
    .sgpr_spill_count: 0
    .symbol:         _ZN9rocsparseL20bsrxmvn_17_32_kernelILj27E21rocsparse_complex_numIdEliS1_IfES2_S2_EEvT2_20rocsparse_direction_NS_24const_host_device_scalarIT0_EES4_PKS4_PKT1_SD_SA_PKT3_PKT4_S8_PT5_21rocsparse_index_base_b.kd
    .uniform_work_group_size: 1
    .uses_dynamic_stack: false
    .vgpr_count:     30
    .vgpr_spill_count: 0
    .wavefront_size: 64
  - .args:
      - .offset:         0
        .size:           4
        .value_kind:     by_value
      - .offset:         4
        .size:           4
        .value_kind:     by_value
      - .offset:         8
        .size:           16
        .value_kind:     by_value
      - .offset:         24
        .size:           4
        .value_kind:     by_value
      - .actual_access:  read_only
        .address_space:  global
        .offset:         32
        .size:           8
        .value_kind:     global_buffer
      - .actual_access:  read_only
        .address_space:  global
        .offset:         40
        .size:           8
        .value_kind:     global_buffer
      - .actual_access:  read_only
        .address_space:  global
        .offset:         48
        .size:           8
        .value_kind:     global_buffer
      - .actual_access:  read_only
        .address_space:  global
        .offset:         56
        .size:           8
        .value_kind:     global_buffer
      - .actual_access:  read_only
        .address_space:  global
        .offset:         64
        .size:           8
        .value_kind:     global_buffer
      - .actual_access:  read_only
        .address_space:  global
        .offset:         72
        .size:           8
        .value_kind:     global_buffer
      - .offset:         80
        .size:           16
        .value_kind:     by_value
      - .address_space:  global
        .offset:         96
        .size:           8
        .value_kind:     global_buffer
      - .offset:         104
        .size:           4
        .value_kind:     by_value
      - .offset:         108
        .size:           1
        .value_kind:     by_value
    .group_segment_fixed_size: 12544
    .kernarg_segment_align: 8
    .kernarg_segment_size: 112
    .language:       OpenCL C
    .language_version:
      - 2
      - 0
    .max_flat_workgroup_size: 784
    .name:           _ZN9rocsparseL20bsrxmvn_17_32_kernelILj28E21rocsparse_complex_numIdEliS1_IfES2_S2_EEvT2_20rocsparse_direction_NS_24const_host_device_scalarIT0_EES4_PKS4_PKT1_SD_SA_PKT3_PKT4_S8_PT5_21rocsparse_index_base_b
    .private_segment_fixed_size: 0
    .sgpr_count:     26
    .sgpr_spill_count: 0
    .symbol:         _ZN9rocsparseL20bsrxmvn_17_32_kernelILj28E21rocsparse_complex_numIdEliS1_IfES2_S2_EEvT2_20rocsparse_direction_NS_24const_host_device_scalarIT0_EES4_PKS4_PKT1_SD_SA_PKT3_PKT4_S8_PT5_21rocsparse_index_base_b.kd
    .uniform_work_group_size: 1
    .uses_dynamic_stack: false
    .vgpr_count:     30
    .vgpr_spill_count: 0
    .wavefront_size: 64
  - .args:
      - .offset:         0
        .size:           4
        .value_kind:     by_value
      - .offset:         4
        .size:           4
        .value_kind:     by_value
      - .offset:         8
        .size:           16
        .value_kind:     by_value
      - .offset:         24
        .size:           4
        .value_kind:     by_value
      - .actual_access:  read_only
        .address_space:  global
        .offset:         32
        .size:           8
        .value_kind:     global_buffer
      - .actual_access:  read_only
        .address_space:  global
        .offset:         40
        .size:           8
        .value_kind:     global_buffer
      - .actual_access:  read_only
        .address_space:  global
        .offset:         48
        .size:           8
        .value_kind:     global_buffer
      - .actual_access:  read_only
        .address_space:  global
        .offset:         56
        .size:           8
        .value_kind:     global_buffer
      - .actual_access:  read_only
        .address_space:  global
        .offset:         64
        .size:           8
        .value_kind:     global_buffer
      - .actual_access:  read_only
        .address_space:  global
        .offset:         72
        .size:           8
        .value_kind:     global_buffer
      - .offset:         80
        .size:           16
        .value_kind:     by_value
      - .address_space:  global
        .offset:         96
        .size:           8
        .value_kind:     global_buffer
      - .offset:         104
        .size:           4
        .value_kind:     by_value
      - .offset:         108
        .size:           1
        .value_kind:     by_value
    .group_segment_fixed_size: 13456
    .kernarg_segment_align: 8
    .kernarg_segment_size: 112
    .language:       OpenCL C
    .language_version:
      - 2
      - 0
    .max_flat_workgroup_size: 841
    .name:           _ZN9rocsparseL20bsrxmvn_17_32_kernelILj29E21rocsparse_complex_numIdEliS1_IfES2_S2_EEvT2_20rocsparse_direction_NS_24const_host_device_scalarIT0_EES4_PKS4_PKT1_SD_SA_PKT3_PKT4_S8_PT5_21rocsparse_index_base_b
    .private_segment_fixed_size: 0
    .sgpr_count:     26
    .sgpr_spill_count: 0
    .symbol:         _ZN9rocsparseL20bsrxmvn_17_32_kernelILj29E21rocsparse_complex_numIdEliS1_IfES2_S2_EEvT2_20rocsparse_direction_NS_24const_host_device_scalarIT0_EES4_PKS4_PKT1_SD_SA_PKT3_PKT4_S8_PT5_21rocsparse_index_base_b.kd
    .uniform_work_group_size: 1
    .uses_dynamic_stack: false
    .vgpr_count:     30
    .vgpr_spill_count: 0
    .wavefront_size: 64
  - .args:
      - .offset:         0
        .size:           4
        .value_kind:     by_value
      - .offset:         4
        .size:           4
        .value_kind:     by_value
      - .offset:         8
        .size:           16
        .value_kind:     by_value
      - .offset:         24
        .size:           4
        .value_kind:     by_value
      - .actual_access:  read_only
        .address_space:  global
        .offset:         32
        .size:           8
        .value_kind:     global_buffer
      - .actual_access:  read_only
        .address_space:  global
        .offset:         40
        .size:           8
        .value_kind:     global_buffer
      - .actual_access:  read_only
        .address_space:  global
        .offset:         48
        .size:           8
        .value_kind:     global_buffer
      - .actual_access:  read_only
        .address_space:  global
        .offset:         56
        .size:           8
        .value_kind:     global_buffer
      - .actual_access:  read_only
        .address_space:  global
        .offset:         64
        .size:           8
        .value_kind:     global_buffer
      - .actual_access:  read_only
        .address_space:  global
        .offset:         72
        .size:           8
        .value_kind:     global_buffer
      - .offset:         80
        .size:           16
        .value_kind:     by_value
      - .address_space:  global
        .offset:         96
        .size:           8
        .value_kind:     global_buffer
      - .offset:         104
        .size:           4
        .value_kind:     by_value
      - .offset:         108
        .size:           1
        .value_kind:     by_value
    .group_segment_fixed_size: 14400
    .kernarg_segment_align: 8
    .kernarg_segment_size: 112
    .language:       OpenCL C
    .language_version:
      - 2
      - 0
    .max_flat_workgroup_size: 900
    .name:           _ZN9rocsparseL20bsrxmvn_17_32_kernelILj30E21rocsparse_complex_numIdEliS1_IfES2_S2_EEvT2_20rocsparse_direction_NS_24const_host_device_scalarIT0_EES4_PKS4_PKT1_SD_SA_PKT3_PKT4_S8_PT5_21rocsparse_index_base_b
    .private_segment_fixed_size: 0
    .sgpr_count:     26
    .sgpr_spill_count: 0
    .symbol:         _ZN9rocsparseL20bsrxmvn_17_32_kernelILj30E21rocsparse_complex_numIdEliS1_IfES2_S2_EEvT2_20rocsparse_direction_NS_24const_host_device_scalarIT0_EES4_PKS4_PKT1_SD_SA_PKT3_PKT4_S8_PT5_21rocsparse_index_base_b.kd
    .uniform_work_group_size: 1
    .uses_dynamic_stack: false
    .vgpr_count:     30
    .vgpr_spill_count: 0
    .wavefront_size: 64
  - .args:
      - .offset:         0
        .size:           4
        .value_kind:     by_value
      - .offset:         4
        .size:           4
        .value_kind:     by_value
      - .offset:         8
        .size:           16
        .value_kind:     by_value
      - .offset:         24
        .size:           4
        .value_kind:     by_value
      - .actual_access:  read_only
        .address_space:  global
        .offset:         32
        .size:           8
        .value_kind:     global_buffer
      - .actual_access:  read_only
        .address_space:  global
        .offset:         40
        .size:           8
        .value_kind:     global_buffer
      - .actual_access:  read_only
        .address_space:  global
        .offset:         48
        .size:           8
        .value_kind:     global_buffer
      - .actual_access:  read_only
        .address_space:  global
        .offset:         56
        .size:           8
        .value_kind:     global_buffer
      - .actual_access:  read_only
        .address_space:  global
        .offset:         64
        .size:           8
        .value_kind:     global_buffer
      - .actual_access:  read_only
        .address_space:  global
        .offset:         72
        .size:           8
        .value_kind:     global_buffer
      - .offset:         80
        .size:           16
        .value_kind:     by_value
      - .address_space:  global
        .offset:         96
        .size:           8
        .value_kind:     global_buffer
      - .offset:         104
        .size:           4
        .value_kind:     by_value
      - .offset:         108
        .size:           1
        .value_kind:     by_value
    .group_segment_fixed_size: 15376
    .kernarg_segment_align: 8
    .kernarg_segment_size: 112
    .language:       OpenCL C
    .language_version:
      - 2
      - 0
    .max_flat_workgroup_size: 961
    .name:           _ZN9rocsparseL20bsrxmvn_17_32_kernelILj31E21rocsparse_complex_numIdEliS1_IfES2_S2_EEvT2_20rocsparse_direction_NS_24const_host_device_scalarIT0_EES4_PKS4_PKT1_SD_SA_PKT3_PKT4_S8_PT5_21rocsparse_index_base_b
    .private_segment_fixed_size: 0
    .sgpr_count:     26
    .sgpr_spill_count: 0
    .symbol:         _ZN9rocsparseL20bsrxmvn_17_32_kernelILj31E21rocsparse_complex_numIdEliS1_IfES2_S2_EEvT2_20rocsparse_direction_NS_24const_host_device_scalarIT0_EES4_PKS4_PKT1_SD_SA_PKT3_PKT4_S8_PT5_21rocsparse_index_base_b.kd
    .uniform_work_group_size: 1
    .uses_dynamic_stack: false
    .vgpr_count:     30
    .vgpr_spill_count: 0
    .wavefront_size: 64
  - .args:
      - .offset:         0
        .size:           4
        .value_kind:     by_value
      - .offset:         4
        .size:           4
        .value_kind:     by_value
      - .offset:         8
        .size:           16
        .value_kind:     by_value
      - .offset:         24
        .size:           4
        .value_kind:     by_value
      - .actual_access:  read_only
        .address_space:  global
        .offset:         32
        .size:           8
        .value_kind:     global_buffer
      - .actual_access:  read_only
        .address_space:  global
        .offset:         40
        .size:           8
        .value_kind:     global_buffer
      - .actual_access:  read_only
        .address_space:  global
        .offset:         48
        .size:           8
        .value_kind:     global_buffer
      - .actual_access:  read_only
        .address_space:  global
        .offset:         56
        .size:           8
        .value_kind:     global_buffer
      - .actual_access:  read_only
        .address_space:  global
        .offset:         64
        .size:           8
        .value_kind:     global_buffer
      - .actual_access:  read_only
        .address_space:  global
        .offset:         72
        .size:           8
        .value_kind:     global_buffer
      - .offset:         80
        .size:           16
        .value_kind:     by_value
      - .address_space:  global
        .offset:         96
        .size:           8
        .value_kind:     global_buffer
      - .offset:         104
        .size:           4
        .value_kind:     by_value
      - .offset:         108
        .size:           1
        .value_kind:     by_value
    .group_segment_fixed_size: 16384
    .kernarg_segment_align: 8
    .kernarg_segment_size: 112
    .language:       OpenCL C
    .language_version:
      - 2
      - 0
    .max_flat_workgroup_size: 1024
    .name:           _ZN9rocsparseL20bsrxmvn_17_32_kernelILj32E21rocsparse_complex_numIdEliS1_IfES2_S2_EEvT2_20rocsparse_direction_NS_24const_host_device_scalarIT0_EES4_PKS4_PKT1_SD_SA_PKT3_PKT4_S8_PT5_21rocsparse_index_base_b
    .private_segment_fixed_size: 0
    .sgpr_count:     28
    .sgpr_spill_count: 0
    .symbol:         _ZN9rocsparseL20bsrxmvn_17_32_kernelILj32E21rocsparse_complex_numIdEliS1_IfES2_S2_EEvT2_20rocsparse_direction_NS_24const_host_device_scalarIT0_EES4_PKS4_PKT1_SD_SA_PKT3_PKT4_S8_PT5_21rocsparse_index_base_b.kd
    .uniform_work_group_size: 1
    .uses_dynamic_stack: false
    .vgpr_count:     28
    .vgpr_spill_count: 0
    .wavefront_size: 64
  - .args:
      - .offset:         0
        .size:           8
        .value_kind:     by_value
      - .offset:         8
        .size:           4
        .value_kind:     by_value
      - .offset:         16
        .size:           16
        .value_kind:     by_value
      - .offset:         32
        .size:           8
        .value_kind:     by_value
      - .actual_access:  read_only
        .address_space:  global
        .offset:         40
        .size:           8
        .value_kind:     global_buffer
      - .actual_access:  read_only
        .address_space:  global
        .offset:         48
        .size:           8
        .value_kind:     global_buffer
      - .actual_access:  read_only
        .address_space:  global
        .offset:         56
        .size:           8
        .value_kind:     global_buffer
      - .actual_access:  read_only
        .address_space:  global
        .offset:         64
        .size:           8
        .value_kind:     global_buffer
      - .actual_access:  read_only
        .address_space:  global
        .offset:         72
        .size:           8
        .value_kind:     global_buffer
      - .actual_access:  read_only
        .address_space:  global
        .offset:         80
        .size:           8
        .value_kind:     global_buffer
      - .offset:         88
        .size:           16
        .value_kind:     by_value
      - .address_space:  global
        .offset:         104
        .size:           8
        .value_kind:     global_buffer
      - .offset:         112
        .size:           4
        .value_kind:     by_value
      - .offset:         116
        .size:           1
        .value_kind:     by_value
    .group_segment_fixed_size: 4624
    .kernarg_segment_align: 8
    .kernarg_segment_size: 120
    .language:       OpenCL C
    .language_version:
      - 2
      - 0
    .max_flat_workgroup_size: 289
    .name:           _ZN9rocsparseL20bsrxmvn_17_32_kernelILj17E21rocsparse_complex_numIdEllS1_IfES2_S2_EEvT2_20rocsparse_direction_NS_24const_host_device_scalarIT0_EES4_PKS4_PKT1_SD_SA_PKT3_PKT4_S8_PT5_21rocsparse_index_base_b
    .private_segment_fixed_size: 0
    .sgpr_count:     26
    .sgpr_spill_count: 0
    .symbol:         _ZN9rocsparseL20bsrxmvn_17_32_kernelILj17E21rocsparse_complex_numIdEllS1_IfES2_S2_EEvT2_20rocsparse_direction_NS_24const_host_device_scalarIT0_EES4_PKS4_PKT1_SD_SA_PKT3_PKT4_S8_PT5_21rocsparse_index_base_b.kd
    .uniform_work_group_size: 1
    .uses_dynamic_stack: false
    .vgpr_count:     31
    .vgpr_spill_count: 0
    .wavefront_size: 64
  - .args:
      - .offset:         0
        .size:           8
        .value_kind:     by_value
      - .offset:         8
        .size:           4
        .value_kind:     by_value
      - .offset:         16
        .size:           16
        .value_kind:     by_value
      - .offset:         32
        .size:           8
        .value_kind:     by_value
      - .actual_access:  read_only
        .address_space:  global
        .offset:         40
        .size:           8
        .value_kind:     global_buffer
      - .actual_access:  read_only
        .address_space:  global
        .offset:         48
        .size:           8
        .value_kind:     global_buffer
      - .actual_access:  read_only
        .address_space:  global
        .offset:         56
        .size:           8
        .value_kind:     global_buffer
      - .actual_access:  read_only
        .address_space:  global
        .offset:         64
        .size:           8
        .value_kind:     global_buffer
      - .actual_access:  read_only
        .address_space:  global
        .offset:         72
        .size:           8
        .value_kind:     global_buffer
      - .actual_access:  read_only
        .address_space:  global
        .offset:         80
        .size:           8
        .value_kind:     global_buffer
      - .offset:         88
        .size:           16
        .value_kind:     by_value
      - .address_space:  global
        .offset:         104
        .size:           8
        .value_kind:     global_buffer
      - .offset:         112
        .size:           4
        .value_kind:     by_value
      - .offset:         116
        .size:           1
        .value_kind:     by_value
    .group_segment_fixed_size: 5184
    .kernarg_segment_align: 8
    .kernarg_segment_size: 120
    .language:       OpenCL C
    .language_version:
      - 2
      - 0
    .max_flat_workgroup_size: 324
    .name:           _ZN9rocsparseL20bsrxmvn_17_32_kernelILj18E21rocsparse_complex_numIdEllS1_IfES2_S2_EEvT2_20rocsparse_direction_NS_24const_host_device_scalarIT0_EES4_PKS4_PKT1_SD_SA_PKT3_PKT4_S8_PT5_21rocsparse_index_base_b
    .private_segment_fixed_size: 0
    .sgpr_count:     26
    .sgpr_spill_count: 0
    .symbol:         _ZN9rocsparseL20bsrxmvn_17_32_kernelILj18E21rocsparse_complex_numIdEllS1_IfES2_S2_EEvT2_20rocsparse_direction_NS_24const_host_device_scalarIT0_EES4_PKS4_PKT1_SD_SA_PKT3_PKT4_S8_PT5_21rocsparse_index_base_b.kd
    .uniform_work_group_size: 1
    .uses_dynamic_stack: false
    .vgpr_count:     31
    .vgpr_spill_count: 0
    .wavefront_size: 64
  - .args:
      - .offset:         0
        .size:           8
        .value_kind:     by_value
      - .offset:         8
        .size:           4
        .value_kind:     by_value
      - .offset:         16
        .size:           16
        .value_kind:     by_value
      - .offset:         32
        .size:           8
        .value_kind:     by_value
      - .actual_access:  read_only
        .address_space:  global
        .offset:         40
        .size:           8
        .value_kind:     global_buffer
      - .actual_access:  read_only
        .address_space:  global
        .offset:         48
        .size:           8
        .value_kind:     global_buffer
      - .actual_access:  read_only
        .address_space:  global
        .offset:         56
        .size:           8
        .value_kind:     global_buffer
      - .actual_access:  read_only
        .address_space:  global
        .offset:         64
        .size:           8
        .value_kind:     global_buffer
      - .actual_access:  read_only
        .address_space:  global
        .offset:         72
        .size:           8
        .value_kind:     global_buffer
      - .actual_access:  read_only
        .address_space:  global
        .offset:         80
        .size:           8
        .value_kind:     global_buffer
      - .offset:         88
        .size:           16
        .value_kind:     by_value
      - .address_space:  global
        .offset:         104
        .size:           8
        .value_kind:     global_buffer
      - .offset:         112
        .size:           4
        .value_kind:     by_value
      - .offset:         116
        .size:           1
        .value_kind:     by_value
    .group_segment_fixed_size: 5776
    .kernarg_segment_align: 8
    .kernarg_segment_size: 120
    .language:       OpenCL C
    .language_version:
      - 2
      - 0
    .max_flat_workgroup_size: 361
    .name:           _ZN9rocsparseL20bsrxmvn_17_32_kernelILj19E21rocsparse_complex_numIdEllS1_IfES2_S2_EEvT2_20rocsparse_direction_NS_24const_host_device_scalarIT0_EES4_PKS4_PKT1_SD_SA_PKT3_PKT4_S8_PT5_21rocsparse_index_base_b
    .private_segment_fixed_size: 0
    .sgpr_count:     26
    .sgpr_spill_count: 0
    .symbol:         _ZN9rocsparseL20bsrxmvn_17_32_kernelILj19E21rocsparse_complex_numIdEllS1_IfES2_S2_EEvT2_20rocsparse_direction_NS_24const_host_device_scalarIT0_EES4_PKS4_PKT1_SD_SA_PKT3_PKT4_S8_PT5_21rocsparse_index_base_b.kd
    .uniform_work_group_size: 1
    .uses_dynamic_stack: false
    .vgpr_count:     31
    .vgpr_spill_count: 0
    .wavefront_size: 64
  - .args:
      - .offset:         0
        .size:           8
        .value_kind:     by_value
      - .offset:         8
        .size:           4
        .value_kind:     by_value
      - .offset:         16
        .size:           16
        .value_kind:     by_value
      - .offset:         32
        .size:           8
        .value_kind:     by_value
      - .actual_access:  read_only
        .address_space:  global
        .offset:         40
        .size:           8
        .value_kind:     global_buffer
      - .actual_access:  read_only
        .address_space:  global
        .offset:         48
        .size:           8
        .value_kind:     global_buffer
      - .actual_access:  read_only
        .address_space:  global
        .offset:         56
        .size:           8
        .value_kind:     global_buffer
      - .actual_access:  read_only
        .address_space:  global
        .offset:         64
        .size:           8
        .value_kind:     global_buffer
      - .actual_access:  read_only
        .address_space:  global
        .offset:         72
        .size:           8
        .value_kind:     global_buffer
      - .actual_access:  read_only
        .address_space:  global
        .offset:         80
        .size:           8
        .value_kind:     global_buffer
      - .offset:         88
        .size:           16
        .value_kind:     by_value
      - .address_space:  global
        .offset:         104
        .size:           8
        .value_kind:     global_buffer
      - .offset:         112
        .size:           4
        .value_kind:     by_value
      - .offset:         116
        .size:           1
        .value_kind:     by_value
    .group_segment_fixed_size: 6400
    .kernarg_segment_align: 8
    .kernarg_segment_size: 120
    .language:       OpenCL C
    .language_version:
      - 2
      - 0
    .max_flat_workgroup_size: 400
    .name:           _ZN9rocsparseL20bsrxmvn_17_32_kernelILj20E21rocsparse_complex_numIdEllS1_IfES2_S2_EEvT2_20rocsparse_direction_NS_24const_host_device_scalarIT0_EES4_PKS4_PKT1_SD_SA_PKT3_PKT4_S8_PT5_21rocsparse_index_base_b
    .private_segment_fixed_size: 0
    .sgpr_count:     26
    .sgpr_spill_count: 0
    .symbol:         _ZN9rocsparseL20bsrxmvn_17_32_kernelILj20E21rocsparse_complex_numIdEllS1_IfES2_S2_EEvT2_20rocsparse_direction_NS_24const_host_device_scalarIT0_EES4_PKS4_PKT1_SD_SA_PKT3_PKT4_S8_PT5_21rocsparse_index_base_b.kd
    .uniform_work_group_size: 1
    .uses_dynamic_stack: false
    .vgpr_count:     31
    .vgpr_spill_count: 0
    .wavefront_size: 64
  - .args:
      - .offset:         0
        .size:           8
        .value_kind:     by_value
      - .offset:         8
        .size:           4
        .value_kind:     by_value
      - .offset:         16
        .size:           16
        .value_kind:     by_value
      - .offset:         32
        .size:           8
        .value_kind:     by_value
      - .actual_access:  read_only
        .address_space:  global
        .offset:         40
        .size:           8
        .value_kind:     global_buffer
      - .actual_access:  read_only
        .address_space:  global
        .offset:         48
        .size:           8
        .value_kind:     global_buffer
      - .actual_access:  read_only
        .address_space:  global
        .offset:         56
        .size:           8
        .value_kind:     global_buffer
      - .actual_access:  read_only
        .address_space:  global
        .offset:         64
        .size:           8
        .value_kind:     global_buffer
      - .actual_access:  read_only
        .address_space:  global
        .offset:         72
        .size:           8
        .value_kind:     global_buffer
      - .actual_access:  read_only
        .address_space:  global
        .offset:         80
        .size:           8
        .value_kind:     global_buffer
      - .offset:         88
        .size:           16
        .value_kind:     by_value
      - .address_space:  global
        .offset:         104
        .size:           8
        .value_kind:     global_buffer
      - .offset:         112
        .size:           4
        .value_kind:     by_value
      - .offset:         116
        .size:           1
        .value_kind:     by_value
    .group_segment_fixed_size: 7056
    .kernarg_segment_align: 8
    .kernarg_segment_size: 120
    .language:       OpenCL C
    .language_version:
      - 2
      - 0
    .max_flat_workgroup_size: 441
    .name:           _ZN9rocsparseL20bsrxmvn_17_32_kernelILj21E21rocsparse_complex_numIdEllS1_IfES2_S2_EEvT2_20rocsparse_direction_NS_24const_host_device_scalarIT0_EES4_PKS4_PKT1_SD_SA_PKT3_PKT4_S8_PT5_21rocsparse_index_base_b
    .private_segment_fixed_size: 0
    .sgpr_count:     26
    .sgpr_spill_count: 0
    .symbol:         _ZN9rocsparseL20bsrxmvn_17_32_kernelILj21E21rocsparse_complex_numIdEllS1_IfES2_S2_EEvT2_20rocsparse_direction_NS_24const_host_device_scalarIT0_EES4_PKS4_PKT1_SD_SA_PKT3_PKT4_S8_PT5_21rocsparse_index_base_b.kd
    .uniform_work_group_size: 1
    .uses_dynamic_stack: false
    .vgpr_count:     31
    .vgpr_spill_count: 0
    .wavefront_size: 64
  - .args:
      - .offset:         0
        .size:           8
        .value_kind:     by_value
      - .offset:         8
        .size:           4
        .value_kind:     by_value
      - .offset:         16
        .size:           16
        .value_kind:     by_value
      - .offset:         32
        .size:           8
        .value_kind:     by_value
      - .actual_access:  read_only
        .address_space:  global
        .offset:         40
        .size:           8
        .value_kind:     global_buffer
      - .actual_access:  read_only
        .address_space:  global
        .offset:         48
        .size:           8
        .value_kind:     global_buffer
      - .actual_access:  read_only
        .address_space:  global
        .offset:         56
        .size:           8
        .value_kind:     global_buffer
      - .actual_access:  read_only
        .address_space:  global
        .offset:         64
        .size:           8
        .value_kind:     global_buffer
      - .actual_access:  read_only
        .address_space:  global
        .offset:         72
        .size:           8
        .value_kind:     global_buffer
      - .actual_access:  read_only
        .address_space:  global
        .offset:         80
        .size:           8
        .value_kind:     global_buffer
      - .offset:         88
        .size:           16
        .value_kind:     by_value
      - .address_space:  global
        .offset:         104
        .size:           8
        .value_kind:     global_buffer
      - .offset:         112
        .size:           4
        .value_kind:     by_value
      - .offset:         116
        .size:           1
        .value_kind:     by_value
    .group_segment_fixed_size: 7744
    .kernarg_segment_align: 8
    .kernarg_segment_size: 120
    .language:       OpenCL C
    .language_version:
      - 2
      - 0
    .max_flat_workgroup_size: 484
    .name:           _ZN9rocsparseL20bsrxmvn_17_32_kernelILj22E21rocsparse_complex_numIdEllS1_IfES2_S2_EEvT2_20rocsparse_direction_NS_24const_host_device_scalarIT0_EES4_PKS4_PKT1_SD_SA_PKT3_PKT4_S8_PT5_21rocsparse_index_base_b
    .private_segment_fixed_size: 0
    .sgpr_count:     26
    .sgpr_spill_count: 0
    .symbol:         _ZN9rocsparseL20bsrxmvn_17_32_kernelILj22E21rocsparse_complex_numIdEllS1_IfES2_S2_EEvT2_20rocsparse_direction_NS_24const_host_device_scalarIT0_EES4_PKS4_PKT1_SD_SA_PKT3_PKT4_S8_PT5_21rocsparse_index_base_b.kd
    .uniform_work_group_size: 1
    .uses_dynamic_stack: false
    .vgpr_count:     31
    .vgpr_spill_count: 0
    .wavefront_size: 64
  - .args:
      - .offset:         0
        .size:           8
        .value_kind:     by_value
      - .offset:         8
        .size:           4
        .value_kind:     by_value
      - .offset:         16
        .size:           16
        .value_kind:     by_value
      - .offset:         32
        .size:           8
        .value_kind:     by_value
      - .actual_access:  read_only
        .address_space:  global
        .offset:         40
        .size:           8
        .value_kind:     global_buffer
      - .actual_access:  read_only
        .address_space:  global
        .offset:         48
        .size:           8
        .value_kind:     global_buffer
      - .actual_access:  read_only
        .address_space:  global
        .offset:         56
        .size:           8
        .value_kind:     global_buffer
      - .actual_access:  read_only
        .address_space:  global
        .offset:         64
        .size:           8
        .value_kind:     global_buffer
      - .actual_access:  read_only
        .address_space:  global
        .offset:         72
        .size:           8
        .value_kind:     global_buffer
      - .actual_access:  read_only
        .address_space:  global
        .offset:         80
        .size:           8
        .value_kind:     global_buffer
      - .offset:         88
        .size:           16
        .value_kind:     by_value
      - .address_space:  global
        .offset:         104
        .size:           8
        .value_kind:     global_buffer
      - .offset:         112
        .size:           4
        .value_kind:     by_value
      - .offset:         116
        .size:           1
        .value_kind:     by_value
    .group_segment_fixed_size: 8464
    .kernarg_segment_align: 8
    .kernarg_segment_size: 120
    .language:       OpenCL C
    .language_version:
      - 2
      - 0
    .max_flat_workgroup_size: 529
    .name:           _ZN9rocsparseL20bsrxmvn_17_32_kernelILj23E21rocsparse_complex_numIdEllS1_IfES2_S2_EEvT2_20rocsparse_direction_NS_24const_host_device_scalarIT0_EES4_PKS4_PKT1_SD_SA_PKT3_PKT4_S8_PT5_21rocsparse_index_base_b
    .private_segment_fixed_size: 0
    .sgpr_count:     26
    .sgpr_spill_count: 0
    .symbol:         _ZN9rocsparseL20bsrxmvn_17_32_kernelILj23E21rocsparse_complex_numIdEllS1_IfES2_S2_EEvT2_20rocsparse_direction_NS_24const_host_device_scalarIT0_EES4_PKS4_PKT1_SD_SA_PKT3_PKT4_S8_PT5_21rocsparse_index_base_b.kd
    .uniform_work_group_size: 1
    .uses_dynamic_stack: false
    .vgpr_count:     31
    .vgpr_spill_count: 0
    .wavefront_size: 64
  - .args:
      - .offset:         0
        .size:           8
        .value_kind:     by_value
      - .offset:         8
        .size:           4
        .value_kind:     by_value
      - .offset:         16
        .size:           16
        .value_kind:     by_value
      - .offset:         32
        .size:           8
        .value_kind:     by_value
      - .actual_access:  read_only
        .address_space:  global
        .offset:         40
        .size:           8
        .value_kind:     global_buffer
      - .actual_access:  read_only
        .address_space:  global
        .offset:         48
        .size:           8
        .value_kind:     global_buffer
      - .actual_access:  read_only
        .address_space:  global
        .offset:         56
        .size:           8
        .value_kind:     global_buffer
      - .actual_access:  read_only
        .address_space:  global
        .offset:         64
        .size:           8
        .value_kind:     global_buffer
      - .actual_access:  read_only
        .address_space:  global
        .offset:         72
        .size:           8
        .value_kind:     global_buffer
      - .actual_access:  read_only
        .address_space:  global
        .offset:         80
        .size:           8
        .value_kind:     global_buffer
      - .offset:         88
        .size:           16
        .value_kind:     by_value
      - .address_space:  global
        .offset:         104
        .size:           8
        .value_kind:     global_buffer
      - .offset:         112
        .size:           4
        .value_kind:     by_value
      - .offset:         116
        .size:           1
        .value_kind:     by_value
    .group_segment_fixed_size: 9216
    .kernarg_segment_align: 8
    .kernarg_segment_size: 120
    .language:       OpenCL C
    .language_version:
      - 2
      - 0
    .max_flat_workgroup_size: 576
    .name:           _ZN9rocsparseL20bsrxmvn_17_32_kernelILj24E21rocsparse_complex_numIdEllS1_IfES2_S2_EEvT2_20rocsparse_direction_NS_24const_host_device_scalarIT0_EES4_PKS4_PKT1_SD_SA_PKT3_PKT4_S8_PT5_21rocsparse_index_base_b
    .private_segment_fixed_size: 0
    .sgpr_count:     26
    .sgpr_spill_count: 0
    .symbol:         _ZN9rocsparseL20bsrxmvn_17_32_kernelILj24E21rocsparse_complex_numIdEllS1_IfES2_S2_EEvT2_20rocsparse_direction_NS_24const_host_device_scalarIT0_EES4_PKS4_PKT1_SD_SA_PKT3_PKT4_S8_PT5_21rocsparse_index_base_b.kd
    .uniform_work_group_size: 1
    .uses_dynamic_stack: false
    .vgpr_count:     31
    .vgpr_spill_count: 0
    .wavefront_size: 64
  - .args:
      - .offset:         0
        .size:           8
        .value_kind:     by_value
      - .offset:         8
        .size:           4
        .value_kind:     by_value
      - .offset:         16
        .size:           16
        .value_kind:     by_value
      - .offset:         32
        .size:           8
        .value_kind:     by_value
      - .actual_access:  read_only
        .address_space:  global
        .offset:         40
        .size:           8
        .value_kind:     global_buffer
      - .actual_access:  read_only
        .address_space:  global
        .offset:         48
        .size:           8
        .value_kind:     global_buffer
      - .actual_access:  read_only
        .address_space:  global
        .offset:         56
        .size:           8
        .value_kind:     global_buffer
      - .actual_access:  read_only
        .address_space:  global
        .offset:         64
        .size:           8
        .value_kind:     global_buffer
      - .actual_access:  read_only
        .address_space:  global
        .offset:         72
        .size:           8
        .value_kind:     global_buffer
      - .actual_access:  read_only
        .address_space:  global
        .offset:         80
        .size:           8
        .value_kind:     global_buffer
      - .offset:         88
        .size:           16
        .value_kind:     by_value
      - .address_space:  global
        .offset:         104
        .size:           8
        .value_kind:     global_buffer
      - .offset:         112
        .size:           4
        .value_kind:     by_value
      - .offset:         116
        .size:           1
        .value_kind:     by_value
    .group_segment_fixed_size: 10000
    .kernarg_segment_align: 8
    .kernarg_segment_size: 120
    .language:       OpenCL C
    .language_version:
      - 2
      - 0
    .max_flat_workgroup_size: 625
    .name:           _ZN9rocsparseL20bsrxmvn_17_32_kernelILj25E21rocsparse_complex_numIdEllS1_IfES2_S2_EEvT2_20rocsparse_direction_NS_24const_host_device_scalarIT0_EES4_PKS4_PKT1_SD_SA_PKT3_PKT4_S8_PT5_21rocsparse_index_base_b
    .private_segment_fixed_size: 0
    .sgpr_count:     26
    .sgpr_spill_count: 0
    .symbol:         _ZN9rocsparseL20bsrxmvn_17_32_kernelILj25E21rocsparse_complex_numIdEllS1_IfES2_S2_EEvT2_20rocsparse_direction_NS_24const_host_device_scalarIT0_EES4_PKS4_PKT1_SD_SA_PKT3_PKT4_S8_PT5_21rocsparse_index_base_b.kd
    .uniform_work_group_size: 1
    .uses_dynamic_stack: false
    .vgpr_count:     31
    .vgpr_spill_count: 0
    .wavefront_size: 64
  - .args:
      - .offset:         0
        .size:           8
        .value_kind:     by_value
      - .offset:         8
        .size:           4
        .value_kind:     by_value
      - .offset:         16
        .size:           16
        .value_kind:     by_value
      - .offset:         32
        .size:           8
        .value_kind:     by_value
      - .actual_access:  read_only
        .address_space:  global
        .offset:         40
        .size:           8
        .value_kind:     global_buffer
      - .actual_access:  read_only
        .address_space:  global
        .offset:         48
        .size:           8
        .value_kind:     global_buffer
      - .actual_access:  read_only
        .address_space:  global
        .offset:         56
        .size:           8
        .value_kind:     global_buffer
      - .actual_access:  read_only
        .address_space:  global
        .offset:         64
        .size:           8
        .value_kind:     global_buffer
      - .actual_access:  read_only
        .address_space:  global
        .offset:         72
        .size:           8
        .value_kind:     global_buffer
      - .actual_access:  read_only
        .address_space:  global
        .offset:         80
        .size:           8
        .value_kind:     global_buffer
      - .offset:         88
        .size:           16
        .value_kind:     by_value
      - .address_space:  global
        .offset:         104
        .size:           8
        .value_kind:     global_buffer
      - .offset:         112
        .size:           4
        .value_kind:     by_value
      - .offset:         116
        .size:           1
        .value_kind:     by_value
    .group_segment_fixed_size: 10816
    .kernarg_segment_align: 8
    .kernarg_segment_size: 120
    .language:       OpenCL C
    .language_version:
      - 2
      - 0
    .max_flat_workgroup_size: 676
    .name:           _ZN9rocsparseL20bsrxmvn_17_32_kernelILj26E21rocsparse_complex_numIdEllS1_IfES2_S2_EEvT2_20rocsparse_direction_NS_24const_host_device_scalarIT0_EES4_PKS4_PKT1_SD_SA_PKT3_PKT4_S8_PT5_21rocsparse_index_base_b
    .private_segment_fixed_size: 0
    .sgpr_count:     26
    .sgpr_spill_count: 0
    .symbol:         _ZN9rocsparseL20bsrxmvn_17_32_kernelILj26E21rocsparse_complex_numIdEllS1_IfES2_S2_EEvT2_20rocsparse_direction_NS_24const_host_device_scalarIT0_EES4_PKS4_PKT1_SD_SA_PKT3_PKT4_S8_PT5_21rocsparse_index_base_b.kd
    .uniform_work_group_size: 1
    .uses_dynamic_stack: false
    .vgpr_count:     31
    .vgpr_spill_count: 0
    .wavefront_size: 64
  - .args:
      - .offset:         0
        .size:           8
        .value_kind:     by_value
      - .offset:         8
        .size:           4
        .value_kind:     by_value
      - .offset:         16
        .size:           16
        .value_kind:     by_value
      - .offset:         32
        .size:           8
        .value_kind:     by_value
      - .actual_access:  read_only
        .address_space:  global
        .offset:         40
        .size:           8
        .value_kind:     global_buffer
      - .actual_access:  read_only
        .address_space:  global
        .offset:         48
        .size:           8
        .value_kind:     global_buffer
      - .actual_access:  read_only
        .address_space:  global
        .offset:         56
        .size:           8
        .value_kind:     global_buffer
      - .actual_access:  read_only
        .address_space:  global
        .offset:         64
        .size:           8
        .value_kind:     global_buffer
      - .actual_access:  read_only
        .address_space:  global
        .offset:         72
        .size:           8
        .value_kind:     global_buffer
      - .actual_access:  read_only
        .address_space:  global
        .offset:         80
        .size:           8
        .value_kind:     global_buffer
      - .offset:         88
        .size:           16
        .value_kind:     by_value
      - .address_space:  global
        .offset:         104
        .size:           8
        .value_kind:     global_buffer
      - .offset:         112
        .size:           4
        .value_kind:     by_value
      - .offset:         116
        .size:           1
        .value_kind:     by_value
    .group_segment_fixed_size: 11664
    .kernarg_segment_align: 8
    .kernarg_segment_size: 120
    .language:       OpenCL C
    .language_version:
      - 2
      - 0
    .max_flat_workgroup_size: 729
    .name:           _ZN9rocsparseL20bsrxmvn_17_32_kernelILj27E21rocsparse_complex_numIdEllS1_IfES2_S2_EEvT2_20rocsparse_direction_NS_24const_host_device_scalarIT0_EES4_PKS4_PKT1_SD_SA_PKT3_PKT4_S8_PT5_21rocsparse_index_base_b
    .private_segment_fixed_size: 0
    .sgpr_count:     26
    .sgpr_spill_count: 0
    .symbol:         _ZN9rocsparseL20bsrxmvn_17_32_kernelILj27E21rocsparse_complex_numIdEllS1_IfES2_S2_EEvT2_20rocsparse_direction_NS_24const_host_device_scalarIT0_EES4_PKS4_PKT1_SD_SA_PKT3_PKT4_S8_PT5_21rocsparse_index_base_b.kd
    .uniform_work_group_size: 1
    .uses_dynamic_stack: false
    .vgpr_count:     31
    .vgpr_spill_count: 0
    .wavefront_size: 64
  - .args:
      - .offset:         0
        .size:           8
        .value_kind:     by_value
      - .offset:         8
        .size:           4
        .value_kind:     by_value
      - .offset:         16
        .size:           16
        .value_kind:     by_value
      - .offset:         32
        .size:           8
        .value_kind:     by_value
      - .actual_access:  read_only
        .address_space:  global
        .offset:         40
        .size:           8
        .value_kind:     global_buffer
      - .actual_access:  read_only
        .address_space:  global
        .offset:         48
        .size:           8
        .value_kind:     global_buffer
      - .actual_access:  read_only
        .address_space:  global
        .offset:         56
        .size:           8
        .value_kind:     global_buffer
      - .actual_access:  read_only
        .address_space:  global
        .offset:         64
        .size:           8
        .value_kind:     global_buffer
      - .actual_access:  read_only
        .address_space:  global
        .offset:         72
        .size:           8
        .value_kind:     global_buffer
      - .actual_access:  read_only
        .address_space:  global
        .offset:         80
        .size:           8
        .value_kind:     global_buffer
      - .offset:         88
        .size:           16
        .value_kind:     by_value
      - .address_space:  global
        .offset:         104
        .size:           8
        .value_kind:     global_buffer
      - .offset:         112
        .size:           4
        .value_kind:     by_value
      - .offset:         116
        .size:           1
        .value_kind:     by_value
    .group_segment_fixed_size: 12544
    .kernarg_segment_align: 8
    .kernarg_segment_size: 120
    .language:       OpenCL C
    .language_version:
      - 2
      - 0
    .max_flat_workgroup_size: 784
    .name:           _ZN9rocsparseL20bsrxmvn_17_32_kernelILj28E21rocsparse_complex_numIdEllS1_IfES2_S2_EEvT2_20rocsparse_direction_NS_24const_host_device_scalarIT0_EES4_PKS4_PKT1_SD_SA_PKT3_PKT4_S8_PT5_21rocsparse_index_base_b
    .private_segment_fixed_size: 0
    .sgpr_count:     26
    .sgpr_spill_count: 0
    .symbol:         _ZN9rocsparseL20bsrxmvn_17_32_kernelILj28E21rocsparse_complex_numIdEllS1_IfES2_S2_EEvT2_20rocsparse_direction_NS_24const_host_device_scalarIT0_EES4_PKS4_PKT1_SD_SA_PKT3_PKT4_S8_PT5_21rocsparse_index_base_b.kd
    .uniform_work_group_size: 1
    .uses_dynamic_stack: false
    .vgpr_count:     31
    .vgpr_spill_count: 0
    .wavefront_size: 64
  - .args:
      - .offset:         0
        .size:           8
        .value_kind:     by_value
      - .offset:         8
        .size:           4
        .value_kind:     by_value
      - .offset:         16
        .size:           16
        .value_kind:     by_value
      - .offset:         32
        .size:           8
        .value_kind:     by_value
      - .actual_access:  read_only
        .address_space:  global
        .offset:         40
        .size:           8
        .value_kind:     global_buffer
      - .actual_access:  read_only
        .address_space:  global
        .offset:         48
        .size:           8
        .value_kind:     global_buffer
      - .actual_access:  read_only
        .address_space:  global
        .offset:         56
        .size:           8
        .value_kind:     global_buffer
      - .actual_access:  read_only
        .address_space:  global
        .offset:         64
        .size:           8
        .value_kind:     global_buffer
      - .actual_access:  read_only
        .address_space:  global
        .offset:         72
        .size:           8
        .value_kind:     global_buffer
      - .actual_access:  read_only
        .address_space:  global
        .offset:         80
        .size:           8
        .value_kind:     global_buffer
      - .offset:         88
        .size:           16
        .value_kind:     by_value
      - .address_space:  global
        .offset:         104
        .size:           8
        .value_kind:     global_buffer
      - .offset:         112
        .size:           4
        .value_kind:     by_value
      - .offset:         116
        .size:           1
        .value_kind:     by_value
    .group_segment_fixed_size: 13456
    .kernarg_segment_align: 8
    .kernarg_segment_size: 120
    .language:       OpenCL C
    .language_version:
      - 2
      - 0
    .max_flat_workgroup_size: 841
    .name:           _ZN9rocsparseL20bsrxmvn_17_32_kernelILj29E21rocsparse_complex_numIdEllS1_IfES2_S2_EEvT2_20rocsparse_direction_NS_24const_host_device_scalarIT0_EES4_PKS4_PKT1_SD_SA_PKT3_PKT4_S8_PT5_21rocsparse_index_base_b
    .private_segment_fixed_size: 0
    .sgpr_count:     26
    .sgpr_spill_count: 0
    .symbol:         _ZN9rocsparseL20bsrxmvn_17_32_kernelILj29E21rocsparse_complex_numIdEllS1_IfES2_S2_EEvT2_20rocsparse_direction_NS_24const_host_device_scalarIT0_EES4_PKS4_PKT1_SD_SA_PKT3_PKT4_S8_PT5_21rocsparse_index_base_b.kd
    .uniform_work_group_size: 1
    .uses_dynamic_stack: false
    .vgpr_count:     31
    .vgpr_spill_count: 0
    .wavefront_size: 64
  - .args:
      - .offset:         0
        .size:           8
        .value_kind:     by_value
      - .offset:         8
        .size:           4
        .value_kind:     by_value
      - .offset:         16
        .size:           16
        .value_kind:     by_value
      - .offset:         32
        .size:           8
        .value_kind:     by_value
      - .actual_access:  read_only
        .address_space:  global
        .offset:         40
        .size:           8
        .value_kind:     global_buffer
      - .actual_access:  read_only
        .address_space:  global
        .offset:         48
        .size:           8
        .value_kind:     global_buffer
      - .actual_access:  read_only
        .address_space:  global
        .offset:         56
        .size:           8
        .value_kind:     global_buffer
      - .actual_access:  read_only
        .address_space:  global
        .offset:         64
        .size:           8
        .value_kind:     global_buffer
      - .actual_access:  read_only
        .address_space:  global
        .offset:         72
        .size:           8
        .value_kind:     global_buffer
      - .actual_access:  read_only
        .address_space:  global
        .offset:         80
        .size:           8
        .value_kind:     global_buffer
      - .offset:         88
        .size:           16
        .value_kind:     by_value
      - .address_space:  global
        .offset:         104
        .size:           8
        .value_kind:     global_buffer
      - .offset:         112
        .size:           4
        .value_kind:     by_value
      - .offset:         116
        .size:           1
        .value_kind:     by_value
    .group_segment_fixed_size: 14400
    .kernarg_segment_align: 8
    .kernarg_segment_size: 120
    .language:       OpenCL C
    .language_version:
      - 2
      - 0
    .max_flat_workgroup_size: 900
    .name:           _ZN9rocsparseL20bsrxmvn_17_32_kernelILj30E21rocsparse_complex_numIdEllS1_IfES2_S2_EEvT2_20rocsparse_direction_NS_24const_host_device_scalarIT0_EES4_PKS4_PKT1_SD_SA_PKT3_PKT4_S8_PT5_21rocsparse_index_base_b
    .private_segment_fixed_size: 0
    .sgpr_count:     26
    .sgpr_spill_count: 0
    .symbol:         _ZN9rocsparseL20bsrxmvn_17_32_kernelILj30E21rocsparse_complex_numIdEllS1_IfES2_S2_EEvT2_20rocsparse_direction_NS_24const_host_device_scalarIT0_EES4_PKS4_PKT1_SD_SA_PKT3_PKT4_S8_PT5_21rocsparse_index_base_b.kd
    .uniform_work_group_size: 1
    .uses_dynamic_stack: false
    .vgpr_count:     31
    .vgpr_spill_count: 0
    .wavefront_size: 64
  - .args:
      - .offset:         0
        .size:           8
        .value_kind:     by_value
      - .offset:         8
        .size:           4
        .value_kind:     by_value
      - .offset:         16
        .size:           16
        .value_kind:     by_value
      - .offset:         32
        .size:           8
        .value_kind:     by_value
      - .actual_access:  read_only
        .address_space:  global
        .offset:         40
        .size:           8
        .value_kind:     global_buffer
      - .actual_access:  read_only
        .address_space:  global
        .offset:         48
        .size:           8
        .value_kind:     global_buffer
      - .actual_access:  read_only
        .address_space:  global
        .offset:         56
        .size:           8
        .value_kind:     global_buffer
      - .actual_access:  read_only
        .address_space:  global
        .offset:         64
        .size:           8
        .value_kind:     global_buffer
      - .actual_access:  read_only
        .address_space:  global
        .offset:         72
        .size:           8
        .value_kind:     global_buffer
      - .actual_access:  read_only
        .address_space:  global
        .offset:         80
        .size:           8
        .value_kind:     global_buffer
      - .offset:         88
        .size:           16
        .value_kind:     by_value
      - .address_space:  global
        .offset:         104
        .size:           8
        .value_kind:     global_buffer
      - .offset:         112
        .size:           4
        .value_kind:     by_value
      - .offset:         116
        .size:           1
        .value_kind:     by_value
    .group_segment_fixed_size: 15376
    .kernarg_segment_align: 8
    .kernarg_segment_size: 120
    .language:       OpenCL C
    .language_version:
      - 2
      - 0
    .max_flat_workgroup_size: 961
    .name:           _ZN9rocsparseL20bsrxmvn_17_32_kernelILj31E21rocsparse_complex_numIdEllS1_IfES2_S2_EEvT2_20rocsparse_direction_NS_24const_host_device_scalarIT0_EES4_PKS4_PKT1_SD_SA_PKT3_PKT4_S8_PT5_21rocsparse_index_base_b
    .private_segment_fixed_size: 0
    .sgpr_count:     26
    .sgpr_spill_count: 0
    .symbol:         _ZN9rocsparseL20bsrxmvn_17_32_kernelILj31E21rocsparse_complex_numIdEllS1_IfES2_S2_EEvT2_20rocsparse_direction_NS_24const_host_device_scalarIT0_EES4_PKS4_PKT1_SD_SA_PKT3_PKT4_S8_PT5_21rocsparse_index_base_b.kd
    .uniform_work_group_size: 1
    .uses_dynamic_stack: false
    .vgpr_count:     31
    .vgpr_spill_count: 0
    .wavefront_size: 64
  - .args:
      - .offset:         0
        .size:           8
        .value_kind:     by_value
      - .offset:         8
        .size:           4
        .value_kind:     by_value
      - .offset:         16
        .size:           16
        .value_kind:     by_value
      - .offset:         32
        .size:           8
        .value_kind:     by_value
      - .actual_access:  read_only
        .address_space:  global
        .offset:         40
        .size:           8
        .value_kind:     global_buffer
      - .actual_access:  read_only
        .address_space:  global
        .offset:         48
        .size:           8
        .value_kind:     global_buffer
      - .actual_access:  read_only
        .address_space:  global
        .offset:         56
        .size:           8
        .value_kind:     global_buffer
      - .actual_access:  read_only
        .address_space:  global
        .offset:         64
        .size:           8
        .value_kind:     global_buffer
      - .actual_access:  read_only
        .address_space:  global
        .offset:         72
        .size:           8
        .value_kind:     global_buffer
      - .actual_access:  read_only
        .address_space:  global
        .offset:         80
        .size:           8
        .value_kind:     global_buffer
      - .offset:         88
        .size:           16
        .value_kind:     by_value
      - .address_space:  global
        .offset:         104
        .size:           8
        .value_kind:     global_buffer
      - .offset:         112
        .size:           4
        .value_kind:     by_value
      - .offset:         116
        .size:           1
        .value_kind:     by_value
    .group_segment_fixed_size: 16384
    .kernarg_segment_align: 8
    .kernarg_segment_size: 120
    .language:       OpenCL C
    .language_version:
      - 2
      - 0
    .max_flat_workgroup_size: 1024
    .name:           _ZN9rocsparseL20bsrxmvn_17_32_kernelILj32E21rocsparse_complex_numIdEllS1_IfES2_S2_EEvT2_20rocsparse_direction_NS_24const_host_device_scalarIT0_EES4_PKS4_PKT1_SD_SA_PKT3_PKT4_S8_PT5_21rocsparse_index_base_b
    .private_segment_fixed_size: 0
    .sgpr_count:     26
    .sgpr_spill_count: 0
    .symbol:         _ZN9rocsparseL20bsrxmvn_17_32_kernelILj32E21rocsparse_complex_numIdEllS1_IfES2_S2_EEvT2_20rocsparse_direction_NS_24const_host_device_scalarIT0_EES4_PKS4_PKT1_SD_SA_PKT3_PKT4_S8_PT5_21rocsparse_index_base_b.kd
    .uniform_work_group_size: 1
    .uses_dynamic_stack: false
    .vgpr_count:     28
    .vgpr_spill_count: 0
    .wavefront_size: 64
amdhsa.target:   amdgcn-amd-amdhsa--gfx906
amdhsa.version:
  - 1
  - 2
...

	.end_amdgpu_metadata
